;; amdgpu-corpus repo=ROCm/rocSPARSE kind=compiled arch=gfx906 opt=O3
	.amdgcn_target "amdgcn-amd-amdhsa--gfx906"
	.amdhsa_code_object_version 6
	.section	.text._ZN9rocsparseL19gebsrmvn_4xn_kernelILj128ELj1ELj4EfEEvi20rocsparse_direction_NS_24const_host_device_scalarIT2_EEPKiS6_PKS3_S8_S4_PS3_21rocsparse_index_base_b,"axG",@progbits,_ZN9rocsparseL19gebsrmvn_4xn_kernelILj128ELj1ELj4EfEEvi20rocsparse_direction_NS_24const_host_device_scalarIT2_EEPKiS6_PKS3_S8_S4_PS3_21rocsparse_index_base_b,comdat
	.globl	_ZN9rocsparseL19gebsrmvn_4xn_kernelILj128ELj1ELj4EfEEvi20rocsparse_direction_NS_24const_host_device_scalarIT2_EEPKiS6_PKS3_S8_S4_PS3_21rocsparse_index_base_b ; -- Begin function _ZN9rocsparseL19gebsrmvn_4xn_kernelILj128ELj1ELj4EfEEvi20rocsparse_direction_NS_24const_host_device_scalarIT2_EEPKiS6_PKS3_S8_S4_PS3_21rocsparse_index_base_b
	.p2align	8
	.type	_ZN9rocsparseL19gebsrmvn_4xn_kernelILj128ELj1ELj4EfEEvi20rocsparse_direction_NS_24const_host_device_scalarIT2_EEPKiS6_PKS3_S8_S4_PS3_21rocsparse_index_base_b,@function
_ZN9rocsparseL19gebsrmvn_4xn_kernelILj128ELj1ELj4EfEEvi20rocsparse_direction_NS_24const_host_device_scalarIT2_EEPKiS6_PKS3_S8_S4_PS3_21rocsparse_index_base_b: ; @_ZN9rocsparseL19gebsrmvn_4xn_kernelILj128ELj1ELj4EfEEvi20rocsparse_direction_NS_24const_host_device_scalarIT2_EEPKiS6_PKS3_S8_S4_PS3_21rocsparse_index_base_b
; %bb.0:
	s_load_dwordx2 s[18:19], s[4:5], 0x40
	s_load_dwordx2 s[16:17], s[4:5], 0x8
	;; [unrolled: 1-line block ×3, first 2 shown]
	s_waitcnt lgkmcnt(0)
	s_bitcmp1_b32 s19, 0
	s_cselect_b64 s[8:9], -1, 0
	s_xor_b64 s[0:1], s[8:9], -1
	s_and_b64 vcc, exec, s[8:9]
	s_cbranch_vccnz .LBB0_2
; %bb.1:
	s_load_dword s16, s[16:17], 0x0
.LBB0_2:
	s_andn2_b64 vcc, exec, s[0:1]
	s_cbranch_vccnz .LBB0_4
; %bb.3:
	s_load_dword s2, s[2:3], 0x0
.LBB0_4:
	s_waitcnt lgkmcnt(0)
	v_cmp_eq_f32_e64 s[0:1], s16, 0
	v_cmp_eq_f32_e64 s[8:9], s2, 1.0
	s_and_b64 s[0:1], s[0:1], s[8:9]
	s_and_b64 vcc, exec, s[0:1]
	s_cbranch_vccnz .LBB0_22
; %bb.5:
	s_load_dwordx2 s[0:1], s[4:5], 0x0
	v_lshrrev_b32_e32 v1, 2, v0
	v_lshl_or_b32 v4, s6, 5, v1
	s_waitcnt lgkmcnt(0)
	v_cmp_gt_i32_e32 vcc, s0, v4
	s_and_saveexec_b64 s[6:7], vcc
	s_cbranch_execz .LBB0_22
; %bb.6:
	s_load_dwordx8 s[8:15], s[4:5], 0x10
	v_ashrrev_i32_e32 v5, 31, v4
	v_lshlrev_b64 v[1:2], 2, v[4:5]
	v_and_b32_e32 v7, 3, v0
	s_cmp_lg_u32 s1, 0
	s_waitcnt lgkmcnt(0)
	v_mov_b32_e32 v3, s9
	v_add_co_u32_e32 v1, vcc, s8, v1
	v_addc_co_u32_e32 v2, vcc, v3, v2, vcc
	global_load_dwordx2 v[1:2], v[1:2], off
	s_waitcnt vmcnt(0)
	v_subrev_u32_e32 v0, s18, v1
	v_subrev_u32_e32 v8, s18, v2
	v_add_u32_e32 v0, v0, v7
	v_cmp_lt_i32_e64 s[0:1], v0, v8
	s_cbranch_scc0 .LBB0_12
; %bb.7:
	v_mov_b32_e32 v10, 0
	v_mov_b32_e32 v9, 0
	;; [unrolled: 1-line block ×4, first 2 shown]
	s_and_saveexec_b64 s[6:7], s[0:1]
	s_cbranch_execz .LBB0_11
; %bb.8:
	v_mov_b32_e32 v2, 0
	v_lshlrev_b32_e32 v1, 2, v0
	s_mov_b64 s[8:9], 0
	v_mov_b32_e32 v3, s11
	v_mov_b32_e32 v13, s13
	;; [unrolled: 1-line block ×8, first 2 shown]
.LBB0_9:                                ; =>This Inner Loop Header: Depth=1
	v_ashrrev_i32_e32 v6, 31, v5
	v_lshlrev_b64 v[15:16], 2, v[5:6]
	v_mov_b32_e32 v20, v2
	v_add_co_u32_e32 v15, vcc, s10, v15
	v_addc_co_u32_e32 v16, vcc, v3, v16, vcc
	global_load_dword v6, v[15:16], off
	v_lshlrev_b64 v[15:16], 2, v[1:2]
	v_add_u32_e32 v5, 4, v5
	v_add_co_u32_e32 v15, vcc, s12, v15
	v_addc_co_u32_e32 v16, vcc, v13, v16, vcc
	global_load_dwordx4 v[15:18], v[15:16], off
	v_add_u32_e32 v1, 16, v1
	s_waitcnt vmcnt(1)
	v_subrev_u32_e32 v19, s18, v6
	v_lshlrev_b64 v[19:20], 2, v[19:20]
	v_add_co_u32_e32 v19, vcc, s14, v19
	v_addc_co_u32_e32 v20, vcc, v14, v20, vcc
	global_load_dword v6, v[19:20], off
	v_cmp_ge_i32_e32 vcc, v5, v8
	s_or_b64 s[8:9], vcc, s[8:9]
	s_waitcnt vmcnt(0)
	v_fmac_f32_e32 v10, v15, v6
	v_fmac_f32_e32 v12, v16, v6
	;; [unrolled: 1-line block ×4, first 2 shown]
	s_andn2_b64 exec, exec, s[8:9]
	s_cbranch_execnz .LBB0_9
; %bb.10:
	s_or_b64 exec, exec, s[8:9]
.LBB0_11:
	s_or_b64 exec, exec, s[6:7]
	s_cbranch_execz .LBB0_13
	s_branch .LBB0_18
.LBB0_12:
                                        ; implicit-def: $vgpr10
                                        ; implicit-def: $vgpr9
                                        ; implicit-def: $vgpr11
                                        ; implicit-def: $vgpr12
.LBB0_13:
	v_mov_b32_e32 v10, 0
	v_mov_b32_e32 v9, 0
	;; [unrolled: 1-line block ×4, first 2 shown]
	s_and_saveexec_b64 s[6:7], s[0:1]
	s_cbranch_execz .LBB0_17
; %bb.14:
	v_mov_b32_e32 v3, 0
	v_lshlrev_b32_e32 v2, 2, v0
	s_mov_b64 s[0:1], 0
	v_mov_b32_e32 v5, s11
	v_mov_b32_e32 v6, s13
	;; [unrolled: 1-line block ×7, first 2 shown]
.LBB0_15:                               ; =>This Inner Loop Header: Depth=1
	v_ashrrev_i32_e32 v1, 31, v0
	v_lshlrev_b64 v[14:15], 2, v[0:1]
	v_mov_b32_e32 v19, v3
	v_add_co_u32_e32 v14, vcc, s10, v14
	v_addc_co_u32_e32 v15, vcc, v5, v15, vcc
	global_load_dword v1, v[14:15], off
	v_lshlrev_b64 v[14:15], 2, v[2:3]
	v_add_u32_e32 v0, 4, v0
	v_add_co_u32_e32 v14, vcc, s12, v14
	v_addc_co_u32_e32 v15, vcc, v6, v15, vcc
	global_load_dwordx4 v[14:17], v[14:15], off
	v_add_u32_e32 v2, 16, v2
	s_waitcnt vmcnt(1)
	v_subrev_u32_e32 v18, s18, v1
	v_lshlrev_b64 v[18:19], 2, v[18:19]
	v_add_co_u32_e32 v18, vcc, s14, v18
	v_addc_co_u32_e32 v19, vcc, v13, v19, vcc
	global_load_dword v1, v[18:19], off
	v_cmp_ge_i32_e32 vcc, v0, v8
	s_or_b64 s[0:1], vcc, s[0:1]
	s_waitcnt vmcnt(0)
	v_fmac_f32_e32 v10, v14, v1
	v_fmac_f32_e32 v12, v15, v1
	;; [unrolled: 1-line block ×4, first 2 shown]
	s_andn2_b64 exec, exec, s[0:1]
	s_cbranch_execnz .LBB0_15
; %bb.16:
	s_or_b64 exec, exec, s[0:1]
.LBB0_17:
	s_or_b64 exec, exec, s[6:7]
.LBB0_18:
	v_mov_b32_dpp v0, v10 row_shr:1 row_mask:0xf bank_mask:0xf
	v_mov_b32_dpp v2, v12 row_shr:1 row_mask:0xf bank_mask:0xf
	;; [unrolled: 1-line block ×4, first 2 shown]
	v_add_f32_e32 v0, v10, v0
	v_add_f32_e32 v2, v12, v2
	;; [unrolled: 1-line block ×4, first 2 shown]
	v_mov_b32_dpp v1, v0 row_shr:2 row_mask:0xf bank_mask:0xf
	v_mov_b32_dpp v3, v2 row_shr:2 row_mask:0xf bank_mask:0xf
	;; [unrolled: 1-line block ×4, first 2 shown]
	v_cmp_eq_u32_e32 vcc, 3, v7
	s_and_b64 exec, exec, vcc
	s_cbranch_execz .LBB0_22
; %bb.19:
	s_load_dwordx2 s[0:1], s[4:5], 0x38
	v_add_f32_e32 v0, v0, v1
	v_add_f32_e32 v1, v2, v3
	v_add_f32_e32 v2, v5, v6
	v_add_f32_e32 v3, v8, v9
	v_cmp_eq_f32_e64 s[4:5], s2, 0
	s_and_b64 vcc, exec, s[4:5]
	v_mul_f32_e32 v0, s16, v0
	v_mul_f32_e32 v1, s16, v1
	;; [unrolled: 1-line block ×4, first 2 shown]
	v_lshlrev_b32_e32 v4, 2, v4
	s_cbranch_vccz .LBB0_23
; %bb.20:
	v_ashrrev_i32_e32 v5, 31, v4
	v_lshlrev_b64 v[5:6], 2, v[4:5]
	s_waitcnt lgkmcnt(0)
	v_mov_b32_e32 v7, s1
	v_add_co_u32_e32 v5, vcc, s0, v5
	v_addc_co_u32_e32 v6, vcc, v7, v6, vcc
	global_store_dwordx4 v[5:6], v[0:3], off
	s_cbranch_execnz .LBB0_22
.LBB0_21:
	v_ashrrev_i32_e32 v5, 31, v4
	v_lshlrev_b64 v[4:5], 2, v[4:5]
	s_waitcnt lgkmcnt(0)
	v_mov_b32_e32 v6, s1
	v_add_co_u32_e32 v8, vcc, s0, v4
	v_addc_co_u32_e32 v9, vcc, v6, v5, vcc
	global_load_dwordx4 v[4:7], v[8:9], off
	s_waitcnt vmcnt(0)
	v_fmac_f32_e32 v0, s2, v4
	v_fmac_f32_e32 v1, s2, v5
	v_fmac_f32_e32 v2, s2, v6
	v_fmac_f32_e32 v3, s2, v7
	global_store_dwordx4 v[8:9], v[0:3], off
.LBB0_22:
	s_endpgm
.LBB0_23:
	s_branch .LBB0_21
	.section	.rodata,"a",@progbits
	.p2align	6, 0x0
	.amdhsa_kernel _ZN9rocsparseL19gebsrmvn_4xn_kernelILj128ELj1ELj4EfEEvi20rocsparse_direction_NS_24const_host_device_scalarIT2_EEPKiS6_PKS3_S8_S4_PS3_21rocsparse_index_base_b
		.amdhsa_group_segment_fixed_size 0
		.amdhsa_private_segment_fixed_size 0
		.amdhsa_kernarg_size 72
		.amdhsa_user_sgpr_count 6
		.amdhsa_user_sgpr_private_segment_buffer 1
		.amdhsa_user_sgpr_dispatch_ptr 0
		.amdhsa_user_sgpr_queue_ptr 0
		.amdhsa_user_sgpr_kernarg_segment_ptr 1
		.amdhsa_user_sgpr_dispatch_id 0
		.amdhsa_user_sgpr_flat_scratch_init 0
		.amdhsa_user_sgpr_private_segment_size 0
		.amdhsa_uses_dynamic_stack 0
		.amdhsa_system_sgpr_private_segment_wavefront_offset 0
		.amdhsa_system_sgpr_workgroup_id_x 1
		.amdhsa_system_sgpr_workgroup_id_y 0
		.amdhsa_system_sgpr_workgroup_id_z 0
		.amdhsa_system_sgpr_workgroup_info 0
		.amdhsa_system_vgpr_workitem_id 0
		.amdhsa_next_free_vgpr 21
		.amdhsa_next_free_sgpr 20
		.amdhsa_reserve_vcc 1
		.amdhsa_reserve_flat_scratch 0
		.amdhsa_float_round_mode_32 0
		.amdhsa_float_round_mode_16_64 0
		.amdhsa_float_denorm_mode_32 3
		.amdhsa_float_denorm_mode_16_64 3
		.amdhsa_dx10_clamp 1
		.amdhsa_ieee_mode 1
		.amdhsa_fp16_overflow 0
		.amdhsa_exception_fp_ieee_invalid_op 0
		.amdhsa_exception_fp_denorm_src 0
		.amdhsa_exception_fp_ieee_div_zero 0
		.amdhsa_exception_fp_ieee_overflow 0
		.amdhsa_exception_fp_ieee_underflow 0
		.amdhsa_exception_fp_ieee_inexact 0
		.amdhsa_exception_int_div_zero 0
	.end_amdhsa_kernel
	.section	.text._ZN9rocsparseL19gebsrmvn_4xn_kernelILj128ELj1ELj4EfEEvi20rocsparse_direction_NS_24const_host_device_scalarIT2_EEPKiS6_PKS3_S8_S4_PS3_21rocsparse_index_base_b,"axG",@progbits,_ZN9rocsparseL19gebsrmvn_4xn_kernelILj128ELj1ELj4EfEEvi20rocsparse_direction_NS_24const_host_device_scalarIT2_EEPKiS6_PKS3_S8_S4_PS3_21rocsparse_index_base_b,comdat
.Lfunc_end0:
	.size	_ZN9rocsparseL19gebsrmvn_4xn_kernelILj128ELj1ELj4EfEEvi20rocsparse_direction_NS_24const_host_device_scalarIT2_EEPKiS6_PKS3_S8_S4_PS3_21rocsparse_index_base_b, .Lfunc_end0-_ZN9rocsparseL19gebsrmvn_4xn_kernelILj128ELj1ELj4EfEEvi20rocsparse_direction_NS_24const_host_device_scalarIT2_EEPKiS6_PKS3_S8_S4_PS3_21rocsparse_index_base_b
                                        ; -- End function
	.set _ZN9rocsparseL19gebsrmvn_4xn_kernelILj128ELj1ELj4EfEEvi20rocsparse_direction_NS_24const_host_device_scalarIT2_EEPKiS6_PKS3_S8_S4_PS3_21rocsparse_index_base_b.num_vgpr, 21
	.set _ZN9rocsparseL19gebsrmvn_4xn_kernelILj128ELj1ELj4EfEEvi20rocsparse_direction_NS_24const_host_device_scalarIT2_EEPKiS6_PKS3_S8_S4_PS3_21rocsparse_index_base_b.num_agpr, 0
	.set _ZN9rocsparseL19gebsrmvn_4xn_kernelILj128ELj1ELj4EfEEvi20rocsparse_direction_NS_24const_host_device_scalarIT2_EEPKiS6_PKS3_S8_S4_PS3_21rocsparse_index_base_b.numbered_sgpr, 20
	.set _ZN9rocsparseL19gebsrmvn_4xn_kernelILj128ELj1ELj4EfEEvi20rocsparse_direction_NS_24const_host_device_scalarIT2_EEPKiS6_PKS3_S8_S4_PS3_21rocsparse_index_base_b.num_named_barrier, 0
	.set _ZN9rocsparseL19gebsrmvn_4xn_kernelILj128ELj1ELj4EfEEvi20rocsparse_direction_NS_24const_host_device_scalarIT2_EEPKiS6_PKS3_S8_S4_PS3_21rocsparse_index_base_b.private_seg_size, 0
	.set _ZN9rocsparseL19gebsrmvn_4xn_kernelILj128ELj1ELj4EfEEvi20rocsparse_direction_NS_24const_host_device_scalarIT2_EEPKiS6_PKS3_S8_S4_PS3_21rocsparse_index_base_b.uses_vcc, 1
	.set _ZN9rocsparseL19gebsrmvn_4xn_kernelILj128ELj1ELj4EfEEvi20rocsparse_direction_NS_24const_host_device_scalarIT2_EEPKiS6_PKS3_S8_S4_PS3_21rocsparse_index_base_b.uses_flat_scratch, 0
	.set _ZN9rocsparseL19gebsrmvn_4xn_kernelILj128ELj1ELj4EfEEvi20rocsparse_direction_NS_24const_host_device_scalarIT2_EEPKiS6_PKS3_S8_S4_PS3_21rocsparse_index_base_b.has_dyn_sized_stack, 0
	.set _ZN9rocsparseL19gebsrmvn_4xn_kernelILj128ELj1ELj4EfEEvi20rocsparse_direction_NS_24const_host_device_scalarIT2_EEPKiS6_PKS3_S8_S4_PS3_21rocsparse_index_base_b.has_recursion, 0
	.set _ZN9rocsparseL19gebsrmvn_4xn_kernelILj128ELj1ELj4EfEEvi20rocsparse_direction_NS_24const_host_device_scalarIT2_EEPKiS6_PKS3_S8_S4_PS3_21rocsparse_index_base_b.has_indirect_call, 0
	.section	.AMDGPU.csdata,"",@progbits
; Kernel info:
; codeLenInByte = 904
; TotalNumSgprs: 24
; NumVgprs: 21
; ScratchSize: 0
; MemoryBound: 0
; FloatMode: 240
; IeeeMode: 1
; LDSByteSize: 0 bytes/workgroup (compile time only)
; SGPRBlocks: 2
; VGPRBlocks: 5
; NumSGPRsForWavesPerEU: 24
; NumVGPRsForWavesPerEU: 21
; Occupancy: 10
; WaveLimiterHint : 1
; COMPUTE_PGM_RSRC2:SCRATCH_EN: 0
; COMPUTE_PGM_RSRC2:USER_SGPR: 6
; COMPUTE_PGM_RSRC2:TRAP_HANDLER: 0
; COMPUTE_PGM_RSRC2:TGID_X_EN: 1
; COMPUTE_PGM_RSRC2:TGID_Y_EN: 0
; COMPUTE_PGM_RSRC2:TGID_Z_EN: 0
; COMPUTE_PGM_RSRC2:TIDIG_COMP_CNT: 0
	.section	.text._ZN9rocsparseL19gebsrmvn_4xn_kernelILj128ELj1ELj8EfEEvi20rocsparse_direction_NS_24const_host_device_scalarIT2_EEPKiS6_PKS3_S8_S4_PS3_21rocsparse_index_base_b,"axG",@progbits,_ZN9rocsparseL19gebsrmvn_4xn_kernelILj128ELj1ELj8EfEEvi20rocsparse_direction_NS_24const_host_device_scalarIT2_EEPKiS6_PKS3_S8_S4_PS3_21rocsparse_index_base_b,comdat
	.globl	_ZN9rocsparseL19gebsrmvn_4xn_kernelILj128ELj1ELj8EfEEvi20rocsparse_direction_NS_24const_host_device_scalarIT2_EEPKiS6_PKS3_S8_S4_PS3_21rocsparse_index_base_b ; -- Begin function _ZN9rocsparseL19gebsrmvn_4xn_kernelILj128ELj1ELj8EfEEvi20rocsparse_direction_NS_24const_host_device_scalarIT2_EEPKiS6_PKS3_S8_S4_PS3_21rocsparse_index_base_b
	.p2align	8
	.type	_ZN9rocsparseL19gebsrmvn_4xn_kernelILj128ELj1ELj8EfEEvi20rocsparse_direction_NS_24const_host_device_scalarIT2_EEPKiS6_PKS3_S8_S4_PS3_21rocsparse_index_base_b,@function
_ZN9rocsparseL19gebsrmvn_4xn_kernelILj128ELj1ELj8EfEEvi20rocsparse_direction_NS_24const_host_device_scalarIT2_EEPKiS6_PKS3_S8_S4_PS3_21rocsparse_index_base_b: ; @_ZN9rocsparseL19gebsrmvn_4xn_kernelILj128ELj1ELj8EfEEvi20rocsparse_direction_NS_24const_host_device_scalarIT2_EEPKiS6_PKS3_S8_S4_PS3_21rocsparse_index_base_b
; %bb.0:
	s_load_dwordx2 s[18:19], s[4:5], 0x40
	s_load_dwordx2 s[16:17], s[4:5], 0x8
	;; [unrolled: 1-line block ×3, first 2 shown]
	s_waitcnt lgkmcnt(0)
	s_bitcmp1_b32 s19, 0
	s_cselect_b64 s[8:9], -1, 0
	s_xor_b64 s[0:1], s[8:9], -1
	s_and_b64 vcc, exec, s[8:9]
	s_cbranch_vccnz .LBB1_2
; %bb.1:
	s_load_dword s16, s[16:17], 0x0
.LBB1_2:
	s_andn2_b64 vcc, exec, s[0:1]
	s_cbranch_vccnz .LBB1_4
; %bb.3:
	s_load_dword s2, s[2:3], 0x0
.LBB1_4:
	s_waitcnt lgkmcnt(0)
	v_cmp_eq_f32_e64 s[0:1], s16, 0
	v_cmp_eq_f32_e64 s[8:9], s2, 1.0
	s_and_b64 s[0:1], s[0:1], s[8:9]
	s_and_b64 vcc, exec, s[0:1]
	s_cbranch_vccnz .LBB1_22
; %bb.5:
	s_load_dwordx2 s[0:1], s[4:5], 0x0
	v_lshrrev_b32_e32 v1, 3, v0
	v_lshl_or_b32 v4, s6, 4, v1
	s_waitcnt lgkmcnt(0)
	v_cmp_gt_i32_e32 vcc, s0, v4
	s_and_saveexec_b64 s[6:7], vcc
	s_cbranch_execz .LBB1_22
; %bb.6:
	s_load_dwordx8 s[8:15], s[4:5], 0x10
	v_ashrrev_i32_e32 v5, 31, v4
	v_lshlrev_b64 v[1:2], 2, v[4:5]
	v_and_b32_e32 v7, 7, v0
	s_cmp_lg_u32 s1, 0
	s_waitcnt lgkmcnt(0)
	v_mov_b32_e32 v3, s9
	v_add_co_u32_e32 v1, vcc, s8, v1
	v_addc_co_u32_e32 v2, vcc, v3, v2, vcc
	global_load_dwordx2 v[1:2], v[1:2], off
	s_waitcnt vmcnt(0)
	v_subrev_u32_e32 v0, s18, v1
	v_subrev_u32_e32 v9, s18, v2
	v_add_u32_e32 v0, v0, v7
	v_cmp_lt_i32_e64 s[0:1], v0, v9
	s_cbranch_scc0 .LBB1_12
; %bb.7:
	v_mov_b32_e32 v10, 0
	v_mov_b32_e32 v8, 0
	;; [unrolled: 1-line block ×4, first 2 shown]
	s_and_saveexec_b64 s[6:7], s[0:1]
	s_cbranch_execz .LBB1_11
; %bb.8:
	v_mov_b32_e32 v2, 0
	v_lshlrev_b32_e32 v1, 2, v0
	s_mov_b64 s[8:9], 0
	v_mov_b32_e32 v3, s11
	v_mov_b32_e32 v13, s13
	;; [unrolled: 1-line block ×8, first 2 shown]
.LBB1_9:                                ; =>This Inner Loop Header: Depth=1
	v_ashrrev_i32_e32 v6, 31, v5
	v_lshlrev_b64 v[15:16], 2, v[5:6]
	v_mov_b32_e32 v20, v2
	v_add_co_u32_e32 v15, vcc, s10, v15
	v_addc_co_u32_e32 v16, vcc, v3, v16, vcc
	global_load_dword v6, v[15:16], off
	v_lshlrev_b64 v[15:16], 2, v[1:2]
	v_add_u32_e32 v5, 8, v5
	v_add_co_u32_e32 v15, vcc, s12, v15
	v_addc_co_u32_e32 v16, vcc, v13, v16, vcc
	global_load_dwordx4 v[15:18], v[15:16], off
	v_add_u32_e32 v1, 32, v1
	s_waitcnt vmcnt(1)
	v_subrev_u32_e32 v19, s18, v6
	v_lshlrev_b64 v[19:20], 2, v[19:20]
	v_add_co_u32_e32 v19, vcc, s14, v19
	v_addc_co_u32_e32 v20, vcc, v14, v20, vcc
	global_load_dword v6, v[19:20], off
	v_cmp_ge_i32_e32 vcc, v5, v9
	s_or_b64 s[8:9], vcc, s[8:9]
	s_waitcnt vmcnt(0)
	v_fmac_f32_e32 v10, v15, v6
	v_fmac_f32_e32 v12, v16, v6
	v_fmac_f32_e32 v11, v17, v6
	v_fmac_f32_e32 v8, v18, v6
	s_andn2_b64 exec, exec, s[8:9]
	s_cbranch_execnz .LBB1_9
; %bb.10:
	s_or_b64 exec, exec, s[8:9]
.LBB1_11:
	s_or_b64 exec, exec, s[6:7]
	s_cbranch_execz .LBB1_13
	s_branch .LBB1_18
.LBB1_12:
                                        ; implicit-def: $vgpr10
                                        ; implicit-def: $vgpr8
                                        ; implicit-def: $vgpr11
                                        ; implicit-def: $vgpr12
.LBB1_13:
	v_mov_b32_e32 v10, 0
	v_mov_b32_e32 v8, 0
	;; [unrolled: 1-line block ×4, first 2 shown]
	s_and_saveexec_b64 s[6:7], s[0:1]
	s_cbranch_execz .LBB1_17
; %bb.14:
	v_mov_b32_e32 v3, 0
	v_lshlrev_b32_e32 v2, 2, v0
	s_mov_b64 s[0:1], 0
	v_mov_b32_e32 v5, s11
	v_mov_b32_e32 v6, s13
	;; [unrolled: 1-line block ×7, first 2 shown]
.LBB1_15:                               ; =>This Inner Loop Header: Depth=1
	v_ashrrev_i32_e32 v1, 31, v0
	v_lshlrev_b64 v[14:15], 2, v[0:1]
	v_mov_b32_e32 v19, v3
	v_add_co_u32_e32 v14, vcc, s10, v14
	v_addc_co_u32_e32 v15, vcc, v5, v15, vcc
	global_load_dword v1, v[14:15], off
	v_lshlrev_b64 v[14:15], 2, v[2:3]
	v_add_u32_e32 v0, 8, v0
	v_add_co_u32_e32 v14, vcc, s12, v14
	v_addc_co_u32_e32 v15, vcc, v6, v15, vcc
	global_load_dwordx4 v[14:17], v[14:15], off
	v_add_u32_e32 v2, 32, v2
	s_waitcnt vmcnt(1)
	v_subrev_u32_e32 v18, s18, v1
	v_lshlrev_b64 v[18:19], 2, v[18:19]
	v_add_co_u32_e32 v18, vcc, s14, v18
	v_addc_co_u32_e32 v19, vcc, v13, v19, vcc
	global_load_dword v1, v[18:19], off
	v_cmp_ge_i32_e32 vcc, v0, v9
	s_or_b64 s[0:1], vcc, s[0:1]
	s_waitcnt vmcnt(0)
	v_fmac_f32_e32 v10, v14, v1
	v_fmac_f32_e32 v12, v15, v1
	v_fmac_f32_e32 v11, v16, v1
	v_fmac_f32_e32 v8, v17, v1
	s_andn2_b64 exec, exec, s[0:1]
	s_cbranch_execnz .LBB1_15
; %bb.16:
	s_or_b64 exec, exec, s[0:1]
.LBB1_17:
	s_or_b64 exec, exec, s[6:7]
.LBB1_18:
	v_mov_b32_dpp v0, v10 row_shr:1 row_mask:0xf bank_mask:0xf
	v_mov_b32_dpp v2, v12 row_shr:1 row_mask:0xf bank_mask:0xf
	;; [unrolled: 1-line block ×4, first 2 shown]
	v_add_f32_e32 v0, v10, v0
	v_add_f32_e32 v2, v12, v2
	;; [unrolled: 1-line block ×4, first 2 shown]
	v_mov_b32_dpp v1, v0 row_shr:2 row_mask:0xf bank_mask:0xf
	v_mov_b32_dpp v3, v2 row_shr:2 row_mask:0xf bank_mask:0xf
	;; [unrolled: 1-line block ×4, first 2 shown]
	v_add_f32_e32 v0, v0, v1
	v_add_f32_e32 v2, v2, v3
	;; [unrolled: 1-line block ×4, first 2 shown]
	v_mov_b32_dpp v1, v0 row_shr:4 row_mask:0xf bank_mask:0xe
	v_mov_b32_dpp v3, v2 row_shr:4 row_mask:0xf bank_mask:0xe
	;; [unrolled: 1-line block ×4, first 2 shown]
	v_cmp_eq_u32_e32 vcc, 7, v7
	s_and_b64 exec, exec, vcc
	s_cbranch_execz .LBB1_22
; %bb.19:
	s_load_dwordx2 s[0:1], s[4:5], 0x38
	v_add_f32_e32 v0, v0, v1
	v_add_f32_e32 v1, v2, v3
	;; [unrolled: 1-line block ×4, first 2 shown]
	v_cmp_eq_f32_e64 s[4:5], s2, 0
	s_and_b64 vcc, exec, s[4:5]
	v_mul_f32_e32 v0, s16, v0
	v_mul_f32_e32 v1, s16, v1
	;; [unrolled: 1-line block ×4, first 2 shown]
	v_lshlrev_b32_e32 v4, 2, v4
	s_cbranch_vccz .LBB1_23
; %bb.20:
	v_ashrrev_i32_e32 v5, 31, v4
	v_lshlrev_b64 v[5:6], 2, v[4:5]
	s_waitcnt lgkmcnt(0)
	v_mov_b32_e32 v7, s1
	v_add_co_u32_e32 v5, vcc, s0, v5
	v_addc_co_u32_e32 v6, vcc, v7, v6, vcc
	global_store_dwordx4 v[5:6], v[0:3], off
	s_cbranch_execnz .LBB1_22
.LBB1_21:
	v_ashrrev_i32_e32 v5, 31, v4
	v_lshlrev_b64 v[4:5], 2, v[4:5]
	s_waitcnt lgkmcnt(0)
	v_mov_b32_e32 v6, s1
	v_add_co_u32_e32 v8, vcc, s0, v4
	v_addc_co_u32_e32 v9, vcc, v6, v5, vcc
	global_load_dwordx4 v[4:7], v[8:9], off
	s_waitcnt vmcnt(0)
	v_fmac_f32_e32 v0, s2, v4
	v_fmac_f32_e32 v1, s2, v5
	;; [unrolled: 1-line block ×4, first 2 shown]
	global_store_dwordx4 v[8:9], v[0:3], off
.LBB1_22:
	s_endpgm
.LBB1_23:
	s_branch .LBB1_21
	.section	.rodata,"a",@progbits
	.p2align	6, 0x0
	.amdhsa_kernel _ZN9rocsparseL19gebsrmvn_4xn_kernelILj128ELj1ELj8EfEEvi20rocsparse_direction_NS_24const_host_device_scalarIT2_EEPKiS6_PKS3_S8_S4_PS3_21rocsparse_index_base_b
		.amdhsa_group_segment_fixed_size 0
		.amdhsa_private_segment_fixed_size 0
		.amdhsa_kernarg_size 72
		.amdhsa_user_sgpr_count 6
		.amdhsa_user_sgpr_private_segment_buffer 1
		.amdhsa_user_sgpr_dispatch_ptr 0
		.amdhsa_user_sgpr_queue_ptr 0
		.amdhsa_user_sgpr_kernarg_segment_ptr 1
		.amdhsa_user_sgpr_dispatch_id 0
		.amdhsa_user_sgpr_flat_scratch_init 0
		.amdhsa_user_sgpr_private_segment_size 0
		.amdhsa_uses_dynamic_stack 0
		.amdhsa_system_sgpr_private_segment_wavefront_offset 0
		.amdhsa_system_sgpr_workgroup_id_x 1
		.amdhsa_system_sgpr_workgroup_id_y 0
		.amdhsa_system_sgpr_workgroup_id_z 0
		.amdhsa_system_sgpr_workgroup_info 0
		.amdhsa_system_vgpr_workitem_id 0
		.amdhsa_next_free_vgpr 21
		.amdhsa_next_free_sgpr 20
		.amdhsa_reserve_vcc 1
		.amdhsa_reserve_flat_scratch 0
		.amdhsa_float_round_mode_32 0
		.amdhsa_float_round_mode_16_64 0
		.amdhsa_float_denorm_mode_32 3
		.amdhsa_float_denorm_mode_16_64 3
		.amdhsa_dx10_clamp 1
		.amdhsa_ieee_mode 1
		.amdhsa_fp16_overflow 0
		.amdhsa_exception_fp_ieee_invalid_op 0
		.amdhsa_exception_fp_denorm_src 0
		.amdhsa_exception_fp_ieee_div_zero 0
		.amdhsa_exception_fp_ieee_overflow 0
		.amdhsa_exception_fp_ieee_underflow 0
		.amdhsa_exception_fp_ieee_inexact 0
		.amdhsa_exception_int_div_zero 0
	.end_amdhsa_kernel
	.section	.text._ZN9rocsparseL19gebsrmvn_4xn_kernelILj128ELj1ELj8EfEEvi20rocsparse_direction_NS_24const_host_device_scalarIT2_EEPKiS6_PKS3_S8_S4_PS3_21rocsparse_index_base_b,"axG",@progbits,_ZN9rocsparseL19gebsrmvn_4xn_kernelILj128ELj1ELj8EfEEvi20rocsparse_direction_NS_24const_host_device_scalarIT2_EEPKiS6_PKS3_S8_S4_PS3_21rocsparse_index_base_b,comdat
.Lfunc_end1:
	.size	_ZN9rocsparseL19gebsrmvn_4xn_kernelILj128ELj1ELj8EfEEvi20rocsparse_direction_NS_24const_host_device_scalarIT2_EEPKiS6_PKS3_S8_S4_PS3_21rocsparse_index_base_b, .Lfunc_end1-_ZN9rocsparseL19gebsrmvn_4xn_kernelILj128ELj1ELj8EfEEvi20rocsparse_direction_NS_24const_host_device_scalarIT2_EEPKiS6_PKS3_S8_S4_PS3_21rocsparse_index_base_b
                                        ; -- End function
	.set _ZN9rocsparseL19gebsrmvn_4xn_kernelILj128ELj1ELj8EfEEvi20rocsparse_direction_NS_24const_host_device_scalarIT2_EEPKiS6_PKS3_S8_S4_PS3_21rocsparse_index_base_b.num_vgpr, 21
	.set _ZN9rocsparseL19gebsrmvn_4xn_kernelILj128ELj1ELj8EfEEvi20rocsparse_direction_NS_24const_host_device_scalarIT2_EEPKiS6_PKS3_S8_S4_PS3_21rocsparse_index_base_b.num_agpr, 0
	.set _ZN9rocsparseL19gebsrmvn_4xn_kernelILj128ELj1ELj8EfEEvi20rocsparse_direction_NS_24const_host_device_scalarIT2_EEPKiS6_PKS3_S8_S4_PS3_21rocsparse_index_base_b.numbered_sgpr, 20
	.set _ZN9rocsparseL19gebsrmvn_4xn_kernelILj128ELj1ELj8EfEEvi20rocsparse_direction_NS_24const_host_device_scalarIT2_EEPKiS6_PKS3_S8_S4_PS3_21rocsparse_index_base_b.num_named_barrier, 0
	.set _ZN9rocsparseL19gebsrmvn_4xn_kernelILj128ELj1ELj8EfEEvi20rocsparse_direction_NS_24const_host_device_scalarIT2_EEPKiS6_PKS3_S8_S4_PS3_21rocsparse_index_base_b.private_seg_size, 0
	.set _ZN9rocsparseL19gebsrmvn_4xn_kernelILj128ELj1ELj8EfEEvi20rocsparse_direction_NS_24const_host_device_scalarIT2_EEPKiS6_PKS3_S8_S4_PS3_21rocsparse_index_base_b.uses_vcc, 1
	.set _ZN9rocsparseL19gebsrmvn_4xn_kernelILj128ELj1ELj8EfEEvi20rocsparse_direction_NS_24const_host_device_scalarIT2_EEPKiS6_PKS3_S8_S4_PS3_21rocsparse_index_base_b.uses_flat_scratch, 0
	.set _ZN9rocsparseL19gebsrmvn_4xn_kernelILj128ELj1ELj8EfEEvi20rocsparse_direction_NS_24const_host_device_scalarIT2_EEPKiS6_PKS3_S8_S4_PS3_21rocsparse_index_base_b.has_dyn_sized_stack, 0
	.set _ZN9rocsparseL19gebsrmvn_4xn_kernelILj128ELj1ELj8EfEEvi20rocsparse_direction_NS_24const_host_device_scalarIT2_EEPKiS6_PKS3_S8_S4_PS3_21rocsparse_index_base_b.has_recursion, 0
	.set _ZN9rocsparseL19gebsrmvn_4xn_kernelILj128ELj1ELj8EfEEvi20rocsparse_direction_NS_24const_host_device_scalarIT2_EEPKiS6_PKS3_S8_S4_PS3_21rocsparse_index_base_b.has_indirect_call, 0
	.section	.AMDGPU.csdata,"",@progbits
; Kernel info:
; codeLenInByte = 952
; TotalNumSgprs: 24
; NumVgprs: 21
; ScratchSize: 0
; MemoryBound: 0
; FloatMode: 240
; IeeeMode: 1
; LDSByteSize: 0 bytes/workgroup (compile time only)
; SGPRBlocks: 2
; VGPRBlocks: 5
; NumSGPRsForWavesPerEU: 24
; NumVGPRsForWavesPerEU: 21
; Occupancy: 10
; WaveLimiterHint : 1
; COMPUTE_PGM_RSRC2:SCRATCH_EN: 0
; COMPUTE_PGM_RSRC2:USER_SGPR: 6
; COMPUTE_PGM_RSRC2:TRAP_HANDLER: 0
; COMPUTE_PGM_RSRC2:TGID_X_EN: 1
; COMPUTE_PGM_RSRC2:TGID_Y_EN: 0
; COMPUTE_PGM_RSRC2:TGID_Z_EN: 0
; COMPUTE_PGM_RSRC2:TIDIG_COMP_CNT: 0
	.section	.text._ZN9rocsparseL19gebsrmvn_4xn_kernelILj128ELj1ELj16EfEEvi20rocsparse_direction_NS_24const_host_device_scalarIT2_EEPKiS6_PKS3_S8_S4_PS3_21rocsparse_index_base_b,"axG",@progbits,_ZN9rocsparseL19gebsrmvn_4xn_kernelILj128ELj1ELj16EfEEvi20rocsparse_direction_NS_24const_host_device_scalarIT2_EEPKiS6_PKS3_S8_S4_PS3_21rocsparse_index_base_b,comdat
	.globl	_ZN9rocsparseL19gebsrmvn_4xn_kernelILj128ELj1ELj16EfEEvi20rocsparse_direction_NS_24const_host_device_scalarIT2_EEPKiS6_PKS3_S8_S4_PS3_21rocsparse_index_base_b ; -- Begin function _ZN9rocsparseL19gebsrmvn_4xn_kernelILj128ELj1ELj16EfEEvi20rocsparse_direction_NS_24const_host_device_scalarIT2_EEPKiS6_PKS3_S8_S4_PS3_21rocsparse_index_base_b
	.p2align	8
	.type	_ZN9rocsparseL19gebsrmvn_4xn_kernelILj128ELj1ELj16EfEEvi20rocsparse_direction_NS_24const_host_device_scalarIT2_EEPKiS6_PKS3_S8_S4_PS3_21rocsparse_index_base_b,@function
_ZN9rocsparseL19gebsrmvn_4xn_kernelILj128ELj1ELj16EfEEvi20rocsparse_direction_NS_24const_host_device_scalarIT2_EEPKiS6_PKS3_S8_S4_PS3_21rocsparse_index_base_b: ; @_ZN9rocsparseL19gebsrmvn_4xn_kernelILj128ELj1ELj16EfEEvi20rocsparse_direction_NS_24const_host_device_scalarIT2_EEPKiS6_PKS3_S8_S4_PS3_21rocsparse_index_base_b
; %bb.0:
	s_load_dwordx2 s[18:19], s[4:5], 0x40
	s_load_dwordx2 s[16:17], s[4:5], 0x8
	;; [unrolled: 1-line block ×3, first 2 shown]
	s_waitcnt lgkmcnt(0)
	s_bitcmp1_b32 s19, 0
	s_cselect_b64 s[8:9], -1, 0
	s_xor_b64 s[0:1], s[8:9], -1
	s_and_b64 vcc, exec, s[8:9]
	s_cbranch_vccnz .LBB2_2
; %bb.1:
	s_load_dword s16, s[16:17], 0x0
.LBB2_2:
	s_andn2_b64 vcc, exec, s[0:1]
	s_cbranch_vccnz .LBB2_4
; %bb.3:
	s_load_dword s2, s[2:3], 0x0
.LBB2_4:
	s_waitcnt lgkmcnt(0)
	v_cmp_eq_f32_e64 s[0:1], s16, 0
	v_cmp_eq_f32_e64 s[8:9], s2, 1.0
	s_and_b64 s[0:1], s[0:1], s[8:9]
	s_and_b64 vcc, exec, s[0:1]
	s_cbranch_vccnz .LBB2_22
; %bb.5:
	s_load_dwordx2 s[0:1], s[4:5], 0x0
	v_lshrrev_b32_e32 v1, 4, v0
	v_lshl_or_b32 v4, s6, 3, v1
	s_waitcnt lgkmcnt(0)
	v_cmp_gt_i32_e32 vcc, s0, v4
	s_and_saveexec_b64 s[6:7], vcc
	s_cbranch_execz .LBB2_22
; %bb.6:
	s_load_dwordx8 s[8:15], s[4:5], 0x10
	v_ashrrev_i32_e32 v5, 31, v4
	v_lshlrev_b64 v[1:2], 2, v[4:5]
	v_and_b32_e32 v7, 15, v0
	s_cmp_lg_u32 s1, 0
	s_waitcnt lgkmcnt(0)
	v_mov_b32_e32 v3, s9
	v_add_co_u32_e32 v1, vcc, s8, v1
	v_addc_co_u32_e32 v2, vcc, v3, v2, vcc
	global_load_dwordx2 v[1:2], v[1:2], off
	s_waitcnt vmcnt(0)
	v_subrev_u32_e32 v0, s18, v1
	v_subrev_u32_e32 v9, s18, v2
	v_add_u32_e32 v0, v0, v7
	v_cmp_lt_i32_e64 s[0:1], v0, v9
	s_cbranch_scc0 .LBB2_12
; %bb.7:
	v_mov_b32_e32 v11, 0
	v_mov_b32_e32 v8, 0
	;; [unrolled: 1-line block ×4, first 2 shown]
	s_and_saveexec_b64 s[6:7], s[0:1]
	s_cbranch_execz .LBB2_11
; %bb.8:
	v_mov_b32_e32 v2, 0
	v_lshlrev_b32_e32 v1, 2, v0
	s_mov_b64 s[8:9], 0
	v_mov_b32_e32 v3, s11
	v_mov_b32_e32 v13, s13
	;; [unrolled: 1-line block ×8, first 2 shown]
.LBB2_9:                                ; =>This Inner Loop Header: Depth=1
	v_ashrrev_i32_e32 v6, 31, v5
	v_lshlrev_b64 v[15:16], 2, v[5:6]
	v_mov_b32_e32 v20, v2
	v_add_co_u32_e32 v15, vcc, s10, v15
	v_addc_co_u32_e32 v16, vcc, v3, v16, vcc
	global_load_dword v6, v[15:16], off
	v_lshlrev_b64 v[15:16], 2, v[1:2]
	v_add_u32_e32 v5, 16, v5
	v_add_co_u32_e32 v15, vcc, s12, v15
	v_addc_co_u32_e32 v16, vcc, v13, v16, vcc
	global_load_dwordx4 v[15:18], v[15:16], off
	v_add_u32_e32 v1, 64, v1
	s_waitcnt vmcnt(1)
	v_subrev_u32_e32 v19, s18, v6
	v_lshlrev_b64 v[19:20], 2, v[19:20]
	v_add_co_u32_e32 v19, vcc, s14, v19
	v_addc_co_u32_e32 v20, vcc, v14, v20, vcc
	global_load_dword v6, v[19:20], off
	v_cmp_ge_i32_e32 vcc, v5, v9
	s_or_b64 s[8:9], vcc, s[8:9]
	s_waitcnt vmcnt(0)
	v_fmac_f32_e32 v11, v15, v6
	v_fmac_f32_e32 v12, v16, v6
	;; [unrolled: 1-line block ×4, first 2 shown]
	s_andn2_b64 exec, exec, s[8:9]
	s_cbranch_execnz .LBB2_9
; %bb.10:
	s_or_b64 exec, exec, s[8:9]
.LBB2_11:
	s_or_b64 exec, exec, s[6:7]
	s_cbranch_execz .LBB2_13
	s_branch .LBB2_18
.LBB2_12:
                                        ; implicit-def: $vgpr11
                                        ; implicit-def: $vgpr8
                                        ; implicit-def: $vgpr10
                                        ; implicit-def: $vgpr12
.LBB2_13:
	v_mov_b32_e32 v11, 0
	v_mov_b32_e32 v8, 0
	;; [unrolled: 1-line block ×4, first 2 shown]
	s_and_saveexec_b64 s[6:7], s[0:1]
	s_cbranch_execz .LBB2_17
; %bb.14:
	v_mov_b32_e32 v3, 0
	v_lshlrev_b32_e32 v2, 2, v0
	s_mov_b64 s[0:1], 0
	v_mov_b32_e32 v5, s11
	v_mov_b32_e32 v6, s13
	;; [unrolled: 1-line block ×7, first 2 shown]
.LBB2_15:                               ; =>This Inner Loop Header: Depth=1
	v_ashrrev_i32_e32 v1, 31, v0
	v_lshlrev_b64 v[14:15], 2, v[0:1]
	v_mov_b32_e32 v19, v3
	v_add_co_u32_e32 v14, vcc, s10, v14
	v_addc_co_u32_e32 v15, vcc, v5, v15, vcc
	global_load_dword v1, v[14:15], off
	v_lshlrev_b64 v[14:15], 2, v[2:3]
	v_add_u32_e32 v0, 16, v0
	v_add_co_u32_e32 v14, vcc, s12, v14
	v_addc_co_u32_e32 v15, vcc, v6, v15, vcc
	global_load_dwordx4 v[14:17], v[14:15], off
	v_add_u32_e32 v2, 64, v2
	s_waitcnt vmcnt(1)
	v_subrev_u32_e32 v18, s18, v1
	v_lshlrev_b64 v[18:19], 2, v[18:19]
	v_add_co_u32_e32 v18, vcc, s14, v18
	v_addc_co_u32_e32 v19, vcc, v13, v19, vcc
	global_load_dword v1, v[18:19], off
	v_cmp_ge_i32_e32 vcc, v0, v9
	s_or_b64 s[0:1], vcc, s[0:1]
	s_waitcnt vmcnt(0)
	v_fmac_f32_e32 v11, v14, v1
	v_fmac_f32_e32 v12, v15, v1
	;; [unrolled: 1-line block ×4, first 2 shown]
	s_andn2_b64 exec, exec, s[0:1]
	s_cbranch_execnz .LBB2_15
; %bb.16:
	s_or_b64 exec, exec, s[0:1]
.LBB2_17:
	s_or_b64 exec, exec, s[6:7]
.LBB2_18:
	v_mov_b32_dpp v0, v11 row_shr:1 row_mask:0xf bank_mask:0xf
	v_mov_b32_dpp v2, v12 row_shr:1 row_mask:0xf bank_mask:0xf
	v_mov_b32_dpp v5, v10 row_shr:1 row_mask:0xf bank_mask:0xf
	v_mov_b32_dpp v9, v8 row_shr:1 row_mask:0xf bank_mask:0xf
	v_add_f32_e32 v0, v11, v0
	v_add_f32_e32 v2, v12, v2
	v_add_f32_e32 v5, v10, v5
	v_add_f32_e32 v8, v8, v9
	v_mov_b32_dpp v1, v0 row_shr:2 row_mask:0xf bank_mask:0xf
	v_mov_b32_dpp v3, v2 row_shr:2 row_mask:0xf bank_mask:0xf
	v_mov_b32_dpp v6, v5 row_shr:2 row_mask:0xf bank_mask:0xf
	v_mov_b32_dpp v9, v8 row_shr:2 row_mask:0xf bank_mask:0xf
	v_add_f32_e32 v0, v0, v1
	v_add_f32_e32 v2, v2, v3
	v_add_f32_e32 v5, v5, v6
	v_add_f32_e32 v8, v8, v9
	;; [unrolled: 8-line block ×3, first 2 shown]
	v_mov_b32_dpp v1, v0 row_shr:8 row_mask:0xf bank_mask:0xc
	v_mov_b32_dpp v3, v2 row_shr:8 row_mask:0xf bank_mask:0xc
	;; [unrolled: 1-line block ×4, first 2 shown]
	v_cmp_eq_u32_e32 vcc, 15, v7
	s_and_b64 exec, exec, vcc
	s_cbranch_execz .LBB2_22
; %bb.19:
	s_load_dwordx2 s[0:1], s[4:5], 0x38
	v_add_f32_e32 v0, v0, v1
	v_add_f32_e32 v1, v2, v3
	;; [unrolled: 1-line block ×4, first 2 shown]
	v_cmp_eq_f32_e64 s[4:5], s2, 0
	s_and_b64 vcc, exec, s[4:5]
	v_mul_f32_e32 v0, s16, v0
	v_mul_f32_e32 v1, s16, v1
	;; [unrolled: 1-line block ×4, first 2 shown]
	v_lshlrev_b32_e32 v4, 2, v4
	s_cbranch_vccz .LBB2_23
; %bb.20:
	v_ashrrev_i32_e32 v5, 31, v4
	v_lshlrev_b64 v[5:6], 2, v[4:5]
	s_waitcnt lgkmcnt(0)
	v_mov_b32_e32 v7, s1
	v_add_co_u32_e32 v5, vcc, s0, v5
	v_addc_co_u32_e32 v6, vcc, v7, v6, vcc
	global_store_dwordx4 v[5:6], v[0:3], off
	s_cbranch_execnz .LBB2_22
.LBB2_21:
	v_ashrrev_i32_e32 v5, 31, v4
	v_lshlrev_b64 v[4:5], 2, v[4:5]
	s_waitcnt lgkmcnt(0)
	v_mov_b32_e32 v6, s1
	v_add_co_u32_e32 v8, vcc, s0, v4
	v_addc_co_u32_e32 v9, vcc, v6, v5, vcc
	global_load_dwordx4 v[4:7], v[8:9], off
	s_waitcnt vmcnt(0)
	v_fmac_f32_e32 v0, s2, v4
	v_fmac_f32_e32 v1, s2, v5
	v_fmac_f32_e32 v2, s2, v6
	v_fmac_f32_e32 v3, s2, v7
	global_store_dwordx4 v[8:9], v[0:3], off
.LBB2_22:
	s_endpgm
.LBB2_23:
	s_branch .LBB2_21
	.section	.rodata,"a",@progbits
	.p2align	6, 0x0
	.amdhsa_kernel _ZN9rocsparseL19gebsrmvn_4xn_kernelILj128ELj1ELj16EfEEvi20rocsparse_direction_NS_24const_host_device_scalarIT2_EEPKiS6_PKS3_S8_S4_PS3_21rocsparse_index_base_b
		.amdhsa_group_segment_fixed_size 0
		.amdhsa_private_segment_fixed_size 0
		.amdhsa_kernarg_size 72
		.amdhsa_user_sgpr_count 6
		.amdhsa_user_sgpr_private_segment_buffer 1
		.amdhsa_user_sgpr_dispatch_ptr 0
		.amdhsa_user_sgpr_queue_ptr 0
		.amdhsa_user_sgpr_kernarg_segment_ptr 1
		.amdhsa_user_sgpr_dispatch_id 0
		.amdhsa_user_sgpr_flat_scratch_init 0
		.amdhsa_user_sgpr_private_segment_size 0
		.amdhsa_uses_dynamic_stack 0
		.amdhsa_system_sgpr_private_segment_wavefront_offset 0
		.amdhsa_system_sgpr_workgroup_id_x 1
		.amdhsa_system_sgpr_workgroup_id_y 0
		.amdhsa_system_sgpr_workgroup_id_z 0
		.amdhsa_system_sgpr_workgroup_info 0
		.amdhsa_system_vgpr_workitem_id 0
		.amdhsa_next_free_vgpr 21
		.amdhsa_next_free_sgpr 20
		.amdhsa_reserve_vcc 1
		.amdhsa_reserve_flat_scratch 0
		.amdhsa_float_round_mode_32 0
		.amdhsa_float_round_mode_16_64 0
		.amdhsa_float_denorm_mode_32 3
		.amdhsa_float_denorm_mode_16_64 3
		.amdhsa_dx10_clamp 1
		.amdhsa_ieee_mode 1
		.amdhsa_fp16_overflow 0
		.amdhsa_exception_fp_ieee_invalid_op 0
		.amdhsa_exception_fp_denorm_src 0
		.amdhsa_exception_fp_ieee_div_zero 0
		.amdhsa_exception_fp_ieee_overflow 0
		.amdhsa_exception_fp_ieee_underflow 0
		.amdhsa_exception_fp_ieee_inexact 0
		.amdhsa_exception_int_div_zero 0
	.end_amdhsa_kernel
	.section	.text._ZN9rocsparseL19gebsrmvn_4xn_kernelILj128ELj1ELj16EfEEvi20rocsparse_direction_NS_24const_host_device_scalarIT2_EEPKiS6_PKS3_S8_S4_PS3_21rocsparse_index_base_b,"axG",@progbits,_ZN9rocsparseL19gebsrmvn_4xn_kernelILj128ELj1ELj16EfEEvi20rocsparse_direction_NS_24const_host_device_scalarIT2_EEPKiS6_PKS3_S8_S4_PS3_21rocsparse_index_base_b,comdat
.Lfunc_end2:
	.size	_ZN9rocsparseL19gebsrmvn_4xn_kernelILj128ELj1ELj16EfEEvi20rocsparse_direction_NS_24const_host_device_scalarIT2_EEPKiS6_PKS3_S8_S4_PS3_21rocsparse_index_base_b, .Lfunc_end2-_ZN9rocsparseL19gebsrmvn_4xn_kernelILj128ELj1ELj16EfEEvi20rocsparse_direction_NS_24const_host_device_scalarIT2_EEPKiS6_PKS3_S8_S4_PS3_21rocsparse_index_base_b
                                        ; -- End function
	.set _ZN9rocsparseL19gebsrmvn_4xn_kernelILj128ELj1ELj16EfEEvi20rocsparse_direction_NS_24const_host_device_scalarIT2_EEPKiS6_PKS3_S8_S4_PS3_21rocsparse_index_base_b.num_vgpr, 21
	.set _ZN9rocsparseL19gebsrmvn_4xn_kernelILj128ELj1ELj16EfEEvi20rocsparse_direction_NS_24const_host_device_scalarIT2_EEPKiS6_PKS3_S8_S4_PS3_21rocsparse_index_base_b.num_agpr, 0
	.set _ZN9rocsparseL19gebsrmvn_4xn_kernelILj128ELj1ELj16EfEEvi20rocsparse_direction_NS_24const_host_device_scalarIT2_EEPKiS6_PKS3_S8_S4_PS3_21rocsparse_index_base_b.numbered_sgpr, 20
	.set _ZN9rocsparseL19gebsrmvn_4xn_kernelILj128ELj1ELj16EfEEvi20rocsparse_direction_NS_24const_host_device_scalarIT2_EEPKiS6_PKS3_S8_S4_PS3_21rocsparse_index_base_b.num_named_barrier, 0
	.set _ZN9rocsparseL19gebsrmvn_4xn_kernelILj128ELj1ELj16EfEEvi20rocsparse_direction_NS_24const_host_device_scalarIT2_EEPKiS6_PKS3_S8_S4_PS3_21rocsparse_index_base_b.private_seg_size, 0
	.set _ZN9rocsparseL19gebsrmvn_4xn_kernelILj128ELj1ELj16EfEEvi20rocsparse_direction_NS_24const_host_device_scalarIT2_EEPKiS6_PKS3_S8_S4_PS3_21rocsparse_index_base_b.uses_vcc, 1
	.set _ZN9rocsparseL19gebsrmvn_4xn_kernelILj128ELj1ELj16EfEEvi20rocsparse_direction_NS_24const_host_device_scalarIT2_EEPKiS6_PKS3_S8_S4_PS3_21rocsparse_index_base_b.uses_flat_scratch, 0
	.set _ZN9rocsparseL19gebsrmvn_4xn_kernelILj128ELj1ELj16EfEEvi20rocsparse_direction_NS_24const_host_device_scalarIT2_EEPKiS6_PKS3_S8_S4_PS3_21rocsparse_index_base_b.has_dyn_sized_stack, 0
	.set _ZN9rocsparseL19gebsrmvn_4xn_kernelILj128ELj1ELj16EfEEvi20rocsparse_direction_NS_24const_host_device_scalarIT2_EEPKiS6_PKS3_S8_S4_PS3_21rocsparse_index_base_b.has_recursion, 0
	.set _ZN9rocsparseL19gebsrmvn_4xn_kernelILj128ELj1ELj16EfEEvi20rocsparse_direction_NS_24const_host_device_scalarIT2_EEPKiS6_PKS3_S8_S4_PS3_21rocsparse_index_base_b.has_indirect_call, 0
	.section	.AMDGPU.csdata,"",@progbits
; Kernel info:
; codeLenInByte = 1000
; TotalNumSgprs: 24
; NumVgprs: 21
; ScratchSize: 0
; MemoryBound: 0
; FloatMode: 240
; IeeeMode: 1
; LDSByteSize: 0 bytes/workgroup (compile time only)
; SGPRBlocks: 2
; VGPRBlocks: 5
; NumSGPRsForWavesPerEU: 24
; NumVGPRsForWavesPerEU: 21
; Occupancy: 10
; WaveLimiterHint : 1
; COMPUTE_PGM_RSRC2:SCRATCH_EN: 0
; COMPUTE_PGM_RSRC2:USER_SGPR: 6
; COMPUTE_PGM_RSRC2:TRAP_HANDLER: 0
; COMPUTE_PGM_RSRC2:TGID_X_EN: 1
; COMPUTE_PGM_RSRC2:TGID_Y_EN: 0
; COMPUTE_PGM_RSRC2:TGID_Z_EN: 0
; COMPUTE_PGM_RSRC2:TIDIG_COMP_CNT: 0
	.section	.text._ZN9rocsparseL19gebsrmvn_4xn_kernelILj128ELj1ELj32EfEEvi20rocsparse_direction_NS_24const_host_device_scalarIT2_EEPKiS6_PKS3_S8_S4_PS3_21rocsparse_index_base_b,"axG",@progbits,_ZN9rocsparseL19gebsrmvn_4xn_kernelILj128ELj1ELj32EfEEvi20rocsparse_direction_NS_24const_host_device_scalarIT2_EEPKiS6_PKS3_S8_S4_PS3_21rocsparse_index_base_b,comdat
	.globl	_ZN9rocsparseL19gebsrmvn_4xn_kernelILj128ELj1ELj32EfEEvi20rocsparse_direction_NS_24const_host_device_scalarIT2_EEPKiS6_PKS3_S8_S4_PS3_21rocsparse_index_base_b ; -- Begin function _ZN9rocsparseL19gebsrmvn_4xn_kernelILj128ELj1ELj32EfEEvi20rocsparse_direction_NS_24const_host_device_scalarIT2_EEPKiS6_PKS3_S8_S4_PS3_21rocsparse_index_base_b
	.p2align	8
	.type	_ZN9rocsparseL19gebsrmvn_4xn_kernelILj128ELj1ELj32EfEEvi20rocsparse_direction_NS_24const_host_device_scalarIT2_EEPKiS6_PKS3_S8_S4_PS3_21rocsparse_index_base_b,@function
_ZN9rocsparseL19gebsrmvn_4xn_kernelILj128ELj1ELj32EfEEvi20rocsparse_direction_NS_24const_host_device_scalarIT2_EEPKiS6_PKS3_S8_S4_PS3_21rocsparse_index_base_b: ; @_ZN9rocsparseL19gebsrmvn_4xn_kernelILj128ELj1ELj32EfEEvi20rocsparse_direction_NS_24const_host_device_scalarIT2_EEPKiS6_PKS3_S8_S4_PS3_21rocsparse_index_base_b
; %bb.0:
	s_load_dwordx2 s[18:19], s[4:5], 0x40
	s_load_dwordx2 s[16:17], s[4:5], 0x8
	;; [unrolled: 1-line block ×3, first 2 shown]
	s_waitcnt lgkmcnt(0)
	s_bitcmp1_b32 s19, 0
	s_cselect_b64 s[8:9], -1, 0
	s_xor_b64 s[0:1], s[8:9], -1
	s_and_b64 vcc, exec, s[8:9]
	s_cbranch_vccnz .LBB3_2
; %bb.1:
	s_load_dword s16, s[16:17], 0x0
.LBB3_2:
	s_andn2_b64 vcc, exec, s[0:1]
	s_cbranch_vccnz .LBB3_4
; %bb.3:
	s_load_dword s2, s[2:3], 0x0
.LBB3_4:
	s_waitcnt lgkmcnt(0)
	v_cmp_eq_f32_e64 s[0:1], s16, 0
	v_cmp_eq_f32_e64 s[8:9], s2, 1.0
	s_and_b64 s[0:1], s[0:1], s[8:9]
	s_and_b64 vcc, exec, s[0:1]
	s_cbranch_vccnz .LBB3_22
; %bb.5:
	s_load_dwordx2 s[0:1], s[4:5], 0x0
	v_lshrrev_b32_e32 v1, 5, v0
	v_lshl_or_b32 v4, s6, 2, v1
	s_waitcnt lgkmcnt(0)
	v_cmp_gt_i32_e32 vcc, s0, v4
	s_and_saveexec_b64 s[6:7], vcc
	s_cbranch_execz .LBB3_22
; %bb.6:
	s_load_dwordx8 s[8:15], s[4:5], 0x10
	v_ashrrev_i32_e32 v5, 31, v4
	v_lshlrev_b64 v[1:2], 2, v[4:5]
	v_and_b32_e32 v7, 31, v0
	s_cmp_lg_u32 s1, 0
	s_waitcnt lgkmcnt(0)
	v_mov_b32_e32 v3, s9
	v_add_co_u32_e32 v1, vcc, s8, v1
	v_addc_co_u32_e32 v2, vcc, v3, v2, vcc
	global_load_dwordx2 v[1:2], v[1:2], off
	s_waitcnt vmcnt(0)
	v_subrev_u32_e32 v0, s18, v1
	v_subrev_u32_e32 v10, s18, v2
	v_add_u32_e32 v0, v0, v7
	v_cmp_lt_i32_e64 s[0:1], v0, v10
	s_cbranch_scc0 .LBB3_12
; %bb.7:
	v_mov_b32_e32 v11, 0
	v_mov_b32_e32 v8, 0
	v_mov_b32_e32 v9, 0
	v_mov_b32_e32 v12, 0
	s_and_saveexec_b64 s[6:7], s[0:1]
	s_cbranch_execz .LBB3_11
; %bb.8:
	v_mov_b32_e32 v2, 0
	v_lshlrev_b32_e32 v1, 2, v0
	s_mov_b64 s[8:9], 0
	v_mov_b32_e32 v3, s11
	v_mov_b32_e32 v13, s13
	;; [unrolled: 1-line block ×8, first 2 shown]
.LBB3_9:                                ; =>This Inner Loop Header: Depth=1
	v_ashrrev_i32_e32 v6, 31, v5
	v_lshlrev_b64 v[15:16], 2, v[5:6]
	v_mov_b32_e32 v20, v2
	v_add_co_u32_e32 v15, vcc, s10, v15
	v_addc_co_u32_e32 v16, vcc, v3, v16, vcc
	global_load_dword v6, v[15:16], off
	v_lshlrev_b64 v[15:16], 2, v[1:2]
	v_add_u32_e32 v5, 32, v5
	v_add_co_u32_e32 v15, vcc, s12, v15
	v_addc_co_u32_e32 v16, vcc, v13, v16, vcc
	global_load_dwordx4 v[15:18], v[15:16], off
	v_add_u32_e32 v1, 0x80, v1
	s_waitcnt vmcnt(1)
	v_subrev_u32_e32 v19, s18, v6
	v_lshlrev_b64 v[19:20], 2, v[19:20]
	v_add_co_u32_e32 v19, vcc, s14, v19
	v_addc_co_u32_e32 v20, vcc, v14, v20, vcc
	global_load_dword v6, v[19:20], off
	v_cmp_ge_i32_e32 vcc, v5, v10
	s_or_b64 s[8:9], vcc, s[8:9]
	s_waitcnt vmcnt(0)
	v_fmac_f32_e32 v11, v15, v6
	v_fmac_f32_e32 v12, v16, v6
	;; [unrolled: 1-line block ×4, first 2 shown]
	s_andn2_b64 exec, exec, s[8:9]
	s_cbranch_execnz .LBB3_9
; %bb.10:
	s_or_b64 exec, exec, s[8:9]
.LBB3_11:
	s_or_b64 exec, exec, s[6:7]
	s_cbranch_execz .LBB3_13
	s_branch .LBB3_18
.LBB3_12:
                                        ; implicit-def: $vgpr11
                                        ; implicit-def: $vgpr8
                                        ; implicit-def: $vgpr9
                                        ; implicit-def: $vgpr12
.LBB3_13:
	v_mov_b32_e32 v11, 0
	v_mov_b32_e32 v8, 0
	;; [unrolled: 1-line block ×4, first 2 shown]
	s_and_saveexec_b64 s[6:7], s[0:1]
	s_cbranch_execz .LBB3_17
; %bb.14:
	v_mov_b32_e32 v3, 0
	v_lshlrev_b32_e32 v2, 2, v0
	s_mov_b64 s[0:1], 0
	v_mov_b32_e32 v5, s11
	v_mov_b32_e32 v6, s13
	v_mov_b32_e32 v13, s15
	v_mov_b32_e32 v11, v3
	v_mov_b32_e32 v8, v3
	v_mov_b32_e32 v9, v3
	v_mov_b32_e32 v12, v3
.LBB3_15:                               ; =>This Inner Loop Header: Depth=1
	v_ashrrev_i32_e32 v1, 31, v0
	v_lshlrev_b64 v[14:15], 2, v[0:1]
	v_mov_b32_e32 v19, v3
	v_add_co_u32_e32 v14, vcc, s10, v14
	v_addc_co_u32_e32 v15, vcc, v5, v15, vcc
	global_load_dword v1, v[14:15], off
	v_lshlrev_b64 v[14:15], 2, v[2:3]
	v_add_u32_e32 v0, 32, v0
	v_add_co_u32_e32 v14, vcc, s12, v14
	v_addc_co_u32_e32 v15, vcc, v6, v15, vcc
	global_load_dwordx4 v[14:17], v[14:15], off
	v_add_u32_e32 v2, 0x80, v2
	s_waitcnt vmcnt(1)
	v_subrev_u32_e32 v18, s18, v1
	v_lshlrev_b64 v[18:19], 2, v[18:19]
	v_add_co_u32_e32 v18, vcc, s14, v18
	v_addc_co_u32_e32 v19, vcc, v13, v19, vcc
	global_load_dword v1, v[18:19], off
	v_cmp_ge_i32_e32 vcc, v0, v10
	s_or_b64 s[0:1], vcc, s[0:1]
	s_waitcnt vmcnt(0)
	v_fmac_f32_e32 v11, v14, v1
	v_fmac_f32_e32 v12, v15, v1
	;; [unrolled: 1-line block ×4, first 2 shown]
	s_andn2_b64 exec, exec, s[0:1]
	s_cbranch_execnz .LBB3_15
; %bb.16:
	s_or_b64 exec, exec, s[0:1]
.LBB3_17:
	s_or_b64 exec, exec, s[6:7]
.LBB3_18:
	v_mov_b32_dpp v5, v9 row_shr:1 row_mask:0xf bank_mask:0xf
	v_mov_b32_dpp v0, v11 row_shr:1 row_mask:0xf bank_mask:0xf
	;; [unrolled: 1-line block ×3, first 2 shown]
	v_add_f32_e32 v5, v9, v5
	v_mov_b32_dpp v9, v8 row_shr:1 row_mask:0xf bank_mask:0xf
	v_add_f32_e32 v0, v11, v0
	v_add_f32_e32 v2, v12, v2
	v_add_f32_e32 v8, v8, v9
	v_mov_b32_dpp v1, v0 row_shr:2 row_mask:0xf bank_mask:0xf
	v_mov_b32_dpp v3, v2 row_shr:2 row_mask:0xf bank_mask:0xf
	v_mov_b32_dpp v6, v5 row_shr:2 row_mask:0xf bank_mask:0xf
	v_mov_b32_dpp v9, v8 row_shr:2 row_mask:0xf bank_mask:0xf
	v_add_f32_e32 v0, v0, v1
	v_add_f32_e32 v2, v2, v3
	v_add_f32_e32 v5, v5, v6
	v_add_f32_e32 v8, v8, v9
	v_mov_b32_dpp v1, v0 row_shr:4 row_mask:0xf bank_mask:0xe
	v_mov_b32_dpp v3, v2 row_shr:4 row_mask:0xf bank_mask:0xe
	v_mov_b32_dpp v6, v5 row_shr:4 row_mask:0xf bank_mask:0xe
	v_mov_b32_dpp v9, v8 row_shr:4 row_mask:0xf bank_mask:0xe
	v_add_f32_e32 v0, v0, v1
	;; [unrolled: 8-line block ×3, first 2 shown]
	v_add_f32_e32 v2, v2, v3
	v_add_f32_e32 v5, v5, v6
	;; [unrolled: 1-line block ×3, first 2 shown]
	v_mov_b32_dpp v1, v0 row_bcast:15 row_mask:0xa bank_mask:0xf
	v_mov_b32_dpp v3, v2 row_bcast:15 row_mask:0xa bank_mask:0xf
	;; [unrolled: 1-line block ×4, first 2 shown]
	v_cmp_eq_u32_e32 vcc, 31, v7
	s_and_b64 exec, exec, vcc
	s_cbranch_execz .LBB3_22
; %bb.19:
	s_load_dwordx2 s[0:1], s[4:5], 0x38
	v_add_f32_e32 v0, v0, v1
	v_add_f32_e32 v1, v2, v3
	;; [unrolled: 1-line block ×4, first 2 shown]
	v_cmp_eq_f32_e64 s[4:5], s2, 0
	s_and_b64 vcc, exec, s[4:5]
	v_mul_f32_e32 v0, s16, v0
	v_mul_f32_e32 v1, s16, v1
	;; [unrolled: 1-line block ×4, first 2 shown]
	v_lshlrev_b32_e32 v4, 2, v4
	s_cbranch_vccz .LBB3_23
; %bb.20:
	v_ashrrev_i32_e32 v5, 31, v4
	v_lshlrev_b64 v[5:6], 2, v[4:5]
	s_waitcnt lgkmcnt(0)
	v_mov_b32_e32 v7, s1
	v_add_co_u32_e32 v5, vcc, s0, v5
	v_addc_co_u32_e32 v6, vcc, v7, v6, vcc
	global_store_dwordx4 v[5:6], v[0:3], off
	s_cbranch_execnz .LBB3_22
.LBB3_21:
	v_ashrrev_i32_e32 v5, 31, v4
	v_lshlrev_b64 v[4:5], 2, v[4:5]
	s_waitcnt lgkmcnt(0)
	v_mov_b32_e32 v6, s1
	v_add_co_u32_e32 v8, vcc, s0, v4
	v_addc_co_u32_e32 v9, vcc, v6, v5, vcc
	global_load_dwordx4 v[4:7], v[8:9], off
	s_waitcnt vmcnt(0)
	v_fmac_f32_e32 v0, s2, v4
	v_fmac_f32_e32 v1, s2, v5
	;; [unrolled: 1-line block ×4, first 2 shown]
	global_store_dwordx4 v[8:9], v[0:3], off
.LBB3_22:
	s_endpgm
.LBB3_23:
	s_branch .LBB3_21
	.section	.rodata,"a",@progbits
	.p2align	6, 0x0
	.amdhsa_kernel _ZN9rocsparseL19gebsrmvn_4xn_kernelILj128ELj1ELj32EfEEvi20rocsparse_direction_NS_24const_host_device_scalarIT2_EEPKiS6_PKS3_S8_S4_PS3_21rocsparse_index_base_b
		.amdhsa_group_segment_fixed_size 0
		.amdhsa_private_segment_fixed_size 0
		.amdhsa_kernarg_size 72
		.amdhsa_user_sgpr_count 6
		.amdhsa_user_sgpr_private_segment_buffer 1
		.amdhsa_user_sgpr_dispatch_ptr 0
		.amdhsa_user_sgpr_queue_ptr 0
		.amdhsa_user_sgpr_kernarg_segment_ptr 1
		.amdhsa_user_sgpr_dispatch_id 0
		.amdhsa_user_sgpr_flat_scratch_init 0
		.amdhsa_user_sgpr_private_segment_size 0
		.amdhsa_uses_dynamic_stack 0
		.amdhsa_system_sgpr_private_segment_wavefront_offset 0
		.amdhsa_system_sgpr_workgroup_id_x 1
		.amdhsa_system_sgpr_workgroup_id_y 0
		.amdhsa_system_sgpr_workgroup_id_z 0
		.amdhsa_system_sgpr_workgroup_info 0
		.amdhsa_system_vgpr_workitem_id 0
		.amdhsa_next_free_vgpr 21
		.amdhsa_next_free_sgpr 20
		.amdhsa_reserve_vcc 1
		.amdhsa_reserve_flat_scratch 0
		.amdhsa_float_round_mode_32 0
		.amdhsa_float_round_mode_16_64 0
		.amdhsa_float_denorm_mode_32 3
		.amdhsa_float_denorm_mode_16_64 3
		.amdhsa_dx10_clamp 1
		.amdhsa_ieee_mode 1
		.amdhsa_fp16_overflow 0
		.amdhsa_exception_fp_ieee_invalid_op 0
		.amdhsa_exception_fp_denorm_src 0
		.amdhsa_exception_fp_ieee_div_zero 0
		.amdhsa_exception_fp_ieee_overflow 0
		.amdhsa_exception_fp_ieee_underflow 0
		.amdhsa_exception_fp_ieee_inexact 0
		.amdhsa_exception_int_div_zero 0
	.end_amdhsa_kernel
	.section	.text._ZN9rocsparseL19gebsrmvn_4xn_kernelILj128ELj1ELj32EfEEvi20rocsparse_direction_NS_24const_host_device_scalarIT2_EEPKiS6_PKS3_S8_S4_PS3_21rocsparse_index_base_b,"axG",@progbits,_ZN9rocsparseL19gebsrmvn_4xn_kernelILj128ELj1ELj32EfEEvi20rocsparse_direction_NS_24const_host_device_scalarIT2_EEPKiS6_PKS3_S8_S4_PS3_21rocsparse_index_base_b,comdat
.Lfunc_end3:
	.size	_ZN9rocsparseL19gebsrmvn_4xn_kernelILj128ELj1ELj32EfEEvi20rocsparse_direction_NS_24const_host_device_scalarIT2_EEPKiS6_PKS3_S8_S4_PS3_21rocsparse_index_base_b, .Lfunc_end3-_ZN9rocsparseL19gebsrmvn_4xn_kernelILj128ELj1ELj32EfEEvi20rocsparse_direction_NS_24const_host_device_scalarIT2_EEPKiS6_PKS3_S8_S4_PS3_21rocsparse_index_base_b
                                        ; -- End function
	.set _ZN9rocsparseL19gebsrmvn_4xn_kernelILj128ELj1ELj32EfEEvi20rocsparse_direction_NS_24const_host_device_scalarIT2_EEPKiS6_PKS3_S8_S4_PS3_21rocsparse_index_base_b.num_vgpr, 21
	.set _ZN9rocsparseL19gebsrmvn_4xn_kernelILj128ELj1ELj32EfEEvi20rocsparse_direction_NS_24const_host_device_scalarIT2_EEPKiS6_PKS3_S8_S4_PS3_21rocsparse_index_base_b.num_agpr, 0
	.set _ZN9rocsparseL19gebsrmvn_4xn_kernelILj128ELj1ELj32EfEEvi20rocsparse_direction_NS_24const_host_device_scalarIT2_EEPKiS6_PKS3_S8_S4_PS3_21rocsparse_index_base_b.numbered_sgpr, 20
	.set _ZN9rocsparseL19gebsrmvn_4xn_kernelILj128ELj1ELj32EfEEvi20rocsparse_direction_NS_24const_host_device_scalarIT2_EEPKiS6_PKS3_S8_S4_PS3_21rocsparse_index_base_b.num_named_barrier, 0
	.set _ZN9rocsparseL19gebsrmvn_4xn_kernelILj128ELj1ELj32EfEEvi20rocsparse_direction_NS_24const_host_device_scalarIT2_EEPKiS6_PKS3_S8_S4_PS3_21rocsparse_index_base_b.private_seg_size, 0
	.set _ZN9rocsparseL19gebsrmvn_4xn_kernelILj128ELj1ELj32EfEEvi20rocsparse_direction_NS_24const_host_device_scalarIT2_EEPKiS6_PKS3_S8_S4_PS3_21rocsparse_index_base_b.uses_vcc, 1
	.set _ZN9rocsparseL19gebsrmvn_4xn_kernelILj128ELj1ELj32EfEEvi20rocsparse_direction_NS_24const_host_device_scalarIT2_EEPKiS6_PKS3_S8_S4_PS3_21rocsparse_index_base_b.uses_flat_scratch, 0
	.set _ZN9rocsparseL19gebsrmvn_4xn_kernelILj128ELj1ELj32EfEEvi20rocsparse_direction_NS_24const_host_device_scalarIT2_EEPKiS6_PKS3_S8_S4_PS3_21rocsparse_index_base_b.has_dyn_sized_stack, 0
	.set _ZN9rocsparseL19gebsrmvn_4xn_kernelILj128ELj1ELj32EfEEvi20rocsparse_direction_NS_24const_host_device_scalarIT2_EEPKiS6_PKS3_S8_S4_PS3_21rocsparse_index_base_b.has_recursion, 0
	.set _ZN9rocsparseL19gebsrmvn_4xn_kernelILj128ELj1ELj32EfEEvi20rocsparse_direction_NS_24const_host_device_scalarIT2_EEPKiS6_PKS3_S8_S4_PS3_21rocsparse_index_base_b.has_indirect_call, 0
	.section	.AMDGPU.csdata,"",@progbits
; Kernel info:
; codeLenInByte = 1056
; TotalNumSgprs: 24
; NumVgprs: 21
; ScratchSize: 0
; MemoryBound: 0
; FloatMode: 240
; IeeeMode: 1
; LDSByteSize: 0 bytes/workgroup (compile time only)
; SGPRBlocks: 2
; VGPRBlocks: 5
; NumSGPRsForWavesPerEU: 24
; NumVGPRsForWavesPerEU: 21
; Occupancy: 10
; WaveLimiterHint : 1
; COMPUTE_PGM_RSRC2:SCRATCH_EN: 0
; COMPUTE_PGM_RSRC2:USER_SGPR: 6
; COMPUTE_PGM_RSRC2:TRAP_HANDLER: 0
; COMPUTE_PGM_RSRC2:TGID_X_EN: 1
; COMPUTE_PGM_RSRC2:TGID_Y_EN: 0
; COMPUTE_PGM_RSRC2:TGID_Z_EN: 0
; COMPUTE_PGM_RSRC2:TIDIG_COMP_CNT: 0
	.section	.text._ZN9rocsparseL19gebsrmvn_4xn_kernelILj128ELj1ELj64EfEEvi20rocsparse_direction_NS_24const_host_device_scalarIT2_EEPKiS6_PKS3_S8_S4_PS3_21rocsparse_index_base_b,"axG",@progbits,_ZN9rocsparseL19gebsrmvn_4xn_kernelILj128ELj1ELj64EfEEvi20rocsparse_direction_NS_24const_host_device_scalarIT2_EEPKiS6_PKS3_S8_S4_PS3_21rocsparse_index_base_b,comdat
	.globl	_ZN9rocsparseL19gebsrmvn_4xn_kernelILj128ELj1ELj64EfEEvi20rocsparse_direction_NS_24const_host_device_scalarIT2_EEPKiS6_PKS3_S8_S4_PS3_21rocsparse_index_base_b ; -- Begin function _ZN9rocsparseL19gebsrmvn_4xn_kernelILj128ELj1ELj64EfEEvi20rocsparse_direction_NS_24const_host_device_scalarIT2_EEPKiS6_PKS3_S8_S4_PS3_21rocsparse_index_base_b
	.p2align	8
	.type	_ZN9rocsparseL19gebsrmvn_4xn_kernelILj128ELj1ELj64EfEEvi20rocsparse_direction_NS_24const_host_device_scalarIT2_EEPKiS6_PKS3_S8_S4_PS3_21rocsparse_index_base_b,@function
_ZN9rocsparseL19gebsrmvn_4xn_kernelILj128ELj1ELj64EfEEvi20rocsparse_direction_NS_24const_host_device_scalarIT2_EEPKiS6_PKS3_S8_S4_PS3_21rocsparse_index_base_b: ; @_ZN9rocsparseL19gebsrmvn_4xn_kernelILj128ELj1ELj64EfEEvi20rocsparse_direction_NS_24const_host_device_scalarIT2_EEPKiS6_PKS3_S8_S4_PS3_21rocsparse_index_base_b
; %bb.0:
	s_load_dwordx2 s[18:19], s[4:5], 0x40
	s_load_dwordx2 s[16:17], s[4:5], 0x8
	;; [unrolled: 1-line block ×3, first 2 shown]
	s_waitcnt lgkmcnt(0)
	s_bitcmp1_b32 s19, 0
	s_cselect_b64 s[8:9], -1, 0
	s_xor_b64 s[0:1], s[8:9], -1
	s_and_b64 vcc, exec, s[8:9]
	s_cbranch_vccnz .LBB4_2
; %bb.1:
	s_load_dword s16, s[16:17], 0x0
.LBB4_2:
	s_andn2_b64 vcc, exec, s[0:1]
	s_cbranch_vccnz .LBB4_4
; %bb.3:
	s_load_dword s2, s[2:3], 0x0
.LBB4_4:
	s_waitcnt lgkmcnt(0)
	v_cmp_eq_f32_e64 s[0:1], s16, 0
	v_cmp_eq_f32_e64 s[8:9], s2, 1.0
	s_and_b64 s[0:1], s[0:1], s[8:9]
	s_and_b64 vcc, exec, s[0:1]
	s_cbranch_vccnz .LBB4_22
; %bb.5:
	s_load_dwordx2 s[0:1], s[4:5], 0x0
	v_lshrrev_b32_e32 v1, 6, v0
	v_lshl_or_b32 v4, s6, 1, v1
	s_waitcnt lgkmcnt(0)
	v_cmp_gt_i32_e32 vcc, s0, v4
	s_and_saveexec_b64 s[6:7], vcc
	s_cbranch_execz .LBB4_22
; %bb.6:
	s_load_dwordx8 s[8:15], s[4:5], 0x10
	v_ashrrev_i32_e32 v5, 31, v4
	v_lshlrev_b64 v[1:2], 2, v[4:5]
	v_and_b32_e32 v7, 63, v0
	s_cmp_lg_u32 s1, 0
	s_waitcnt lgkmcnt(0)
	v_mov_b32_e32 v3, s9
	v_add_co_u32_e32 v1, vcc, s8, v1
	v_addc_co_u32_e32 v2, vcc, v3, v2, vcc
	global_load_dwordx2 v[1:2], v[1:2], off
	s_waitcnt vmcnt(0)
	v_subrev_u32_e32 v0, s18, v1
	v_subrev_u32_e32 v10, s18, v2
	v_add_u32_e32 v0, v0, v7
	v_cmp_lt_i32_e64 s[0:1], v0, v10
	s_cbranch_scc0 .LBB4_12
; %bb.7:
	v_mov_b32_e32 v11, 0
	v_mov_b32_e32 v8, 0
	;; [unrolled: 1-line block ×4, first 2 shown]
	s_and_saveexec_b64 s[6:7], s[0:1]
	s_cbranch_execz .LBB4_11
; %bb.8:
	v_mov_b32_e32 v2, 0
	v_lshlrev_b32_e32 v1, 2, v0
	s_mov_b64 s[8:9], 0
	v_mov_b32_e32 v3, s11
	v_mov_b32_e32 v13, s13
	;; [unrolled: 1-line block ×8, first 2 shown]
.LBB4_9:                                ; =>This Inner Loop Header: Depth=1
	v_ashrrev_i32_e32 v6, 31, v5
	v_lshlrev_b64 v[15:16], 2, v[5:6]
	v_mov_b32_e32 v20, v2
	v_add_co_u32_e32 v15, vcc, s10, v15
	v_addc_co_u32_e32 v16, vcc, v3, v16, vcc
	global_load_dword v6, v[15:16], off
	v_lshlrev_b64 v[15:16], 2, v[1:2]
	v_add_u32_e32 v5, 64, v5
	v_add_co_u32_e32 v15, vcc, s12, v15
	v_addc_co_u32_e32 v16, vcc, v13, v16, vcc
	global_load_dwordx4 v[15:18], v[15:16], off
	v_add_u32_e32 v1, 0x100, v1
	s_waitcnt vmcnt(1)
	v_subrev_u32_e32 v19, s18, v6
	v_lshlrev_b64 v[19:20], 2, v[19:20]
	v_add_co_u32_e32 v19, vcc, s14, v19
	v_addc_co_u32_e32 v20, vcc, v14, v20, vcc
	global_load_dword v6, v[19:20], off
	v_cmp_ge_i32_e32 vcc, v5, v10
	s_or_b64 s[8:9], vcc, s[8:9]
	s_waitcnt vmcnt(0)
	v_fmac_f32_e32 v11, v15, v6
	v_fmac_f32_e32 v12, v16, v6
	v_fmac_f32_e32 v9, v17, v6
	v_fmac_f32_e32 v8, v18, v6
	s_andn2_b64 exec, exec, s[8:9]
	s_cbranch_execnz .LBB4_9
; %bb.10:
	s_or_b64 exec, exec, s[8:9]
.LBB4_11:
	s_or_b64 exec, exec, s[6:7]
	s_cbranch_execz .LBB4_13
	s_branch .LBB4_18
.LBB4_12:
                                        ; implicit-def: $vgpr11
                                        ; implicit-def: $vgpr8
                                        ; implicit-def: $vgpr9
                                        ; implicit-def: $vgpr12
.LBB4_13:
	v_mov_b32_e32 v11, 0
	v_mov_b32_e32 v8, 0
	;; [unrolled: 1-line block ×4, first 2 shown]
	s_and_saveexec_b64 s[6:7], s[0:1]
	s_cbranch_execz .LBB4_17
; %bb.14:
	v_mov_b32_e32 v3, 0
	v_lshlrev_b32_e32 v2, 2, v0
	s_mov_b64 s[0:1], 0
	v_mov_b32_e32 v5, s11
	v_mov_b32_e32 v6, s13
	;; [unrolled: 1-line block ×7, first 2 shown]
.LBB4_15:                               ; =>This Inner Loop Header: Depth=1
	v_ashrrev_i32_e32 v1, 31, v0
	v_lshlrev_b64 v[14:15], 2, v[0:1]
	v_mov_b32_e32 v19, v3
	v_add_co_u32_e32 v14, vcc, s10, v14
	v_addc_co_u32_e32 v15, vcc, v5, v15, vcc
	global_load_dword v1, v[14:15], off
	v_lshlrev_b64 v[14:15], 2, v[2:3]
	v_add_u32_e32 v0, 64, v0
	v_add_co_u32_e32 v14, vcc, s12, v14
	v_addc_co_u32_e32 v15, vcc, v6, v15, vcc
	global_load_dwordx4 v[14:17], v[14:15], off
	v_add_u32_e32 v2, 0x100, v2
	s_waitcnt vmcnt(1)
	v_subrev_u32_e32 v18, s18, v1
	v_lshlrev_b64 v[18:19], 2, v[18:19]
	v_add_co_u32_e32 v18, vcc, s14, v18
	v_addc_co_u32_e32 v19, vcc, v13, v19, vcc
	global_load_dword v1, v[18:19], off
	v_cmp_ge_i32_e32 vcc, v0, v10
	s_or_b64 s[0:1], vcc, s[0:1]
	s_waitcnt vmcnt(0)
	v_fmac_f32_e32 v11, v14, v1
	v_fmac_f32_e32 v12, v15, v1
	;; [unrolled: 1-line block ×4, first 2 shown]
	s_andn2_b64 exec, exec, s[0:1]
	s_cbranch_execnz .LBB4_15
; %bb.16:
	s_or_b64 exec, exec, s[0:1]
.LBB4_17:
	s_or_b64 exec, exec, s[6:7]
.LBB4_18:
	v_mov_b32_dpp v5, v9 row_shr:1 row_mask:0xf bank_mask:0xf
	v_mov_b32_dpp v0, v11 row_shr:1 row_mask:0xf bank_mask:0xf
	;; [unrolled: 1-line block ×3, first 2 shown]
	v_add_f32_e32 v5, v9, v5
	v_mov_b32_dpp v9, v8 row_shr:1 row_mask:0xf bank_mask:0xf
	v_add_f32_e32 v0, v11, v0
	v_add_f32_e32 v2, v12, v2
	v_add_f32_e32 v8, v8, v9
	v_mov_b32_dpp v1, v0 row_shr:2 row_mask:0xf bank_mask:0xf
	v_mov_b32_dpp v3, v2 row_shr:2 row_mask:0xf bank_mask:0xf
	v_mov_b32_dpp v6, v5 row_shr:2 row_mask:0xf bank_mask:0xf
	v_mov_b32_dpp v9, v8 row_shr:2 row_mask:0xf bank_mask:0xf
	v_add_f32_e32 v0, v0, v1
	v_add_f32_e32 v2, v2, v3
	v_add_f32_e32 v5, v5, v6
	v_add_f32_e32 v8, v8, v9
	v_mov_b32_dpp v1, v0 row_shr:4 row_mask:0xf bank_mask:0xe
	v_mov_b32_dpp v3, v2 row_shr:4 row_mask:0xf bank_mask:0xe
	v_mov_b32_dpp v6, v5 row_shr:4 row_mask:0xf bank_mask:0xe
	v_mov_b32_dpp v9, v8 row_shr:4 row_mask:0xf bank_mask:0xe
	v_add_f32_e32 v0, v0, v1
	;; [unrolled: 8-line block ×3, first 2 shown]
	v_add_f32_e32 v2, v2, v3
	v_add_f32_e32 v5, v5, v6
	;; [unrolled: 1-line block ×3, first 2 shown]
	v_mov_b32_dpp v1, v0 row_bcast:15 row_mask:0xa bank_mask:0xf
	v_mov_b32_dpp v3, v2 row_bcast:15 row_mask:0xa bank_mask:0xf
	;; [unrolled: 1-line block ×4, first 2 shown]
	v_add_f32_e32 v0, v0, v1
	v_add_f32_e32 v2, v2, v3
	;; [unrolled: 1-line block ×4, first 2 shown]
	v_mov_b32_dpp v1, v0 row_bcast:31 row_mask:0xc bank_mask:0xf
	v_mov_b32_dpp v3, v2 row_bcast:31 row_mask:0xc bank_mask:0xf
	;; [unrolled: 1-line block ×4, first 2 shown]
	v_cmp_eq_u32_e32 vcc, 63, v7
	s_and_b64 exec, exec, vcc
	s_cbranch_execz .LBB4_22
; %bb.19:
	s_load_dwordx2 s[0:1], s[4:5], 0x38
	v_add_f32_e32 v0, v0, v1
	v_add_f32_e32 v1, v2, v3
	v_add_f32_e32 v2, v5, v6
	v_add_f32_e32 v3, v8, v9
	v_cmp_eq_f32_e64 s[4:5], s2, 0
	s_and_b64 vcc, exec, s[4:5]
	v_mul_f32_e32 v0, s16, v0
	v_mul_f32_e32 v1, s16, v1
	;; [unrolled: 1-line block ×4, first 2 shown]
	v_lshlrev_b32_e32 v4, 2, v4
	s_cbranch_vccz .LBB4_23
; %bb.20:
	v_ashrrev_i32_e32 v5, 31, v4
	v_lshlrev_b64 v[5:6], 2, v[4:5]
	s_waitcnt lgkmcnt(0)
	v_mov_b32_e32 v7, s1
	v_add_co_u32_e32 v5, vcc, s0, v5
	v_addc_co_u32_e32 v6, vcc, v7, v6, vcc
	global_store_dwordx4 v[5:6], v[0:3], off
	s_cbranch_execnz .LBB4_22
.LBB4_21:
	v_ashrrev_i32_e32 v5, 31, v4
	v_lshlrev_b64 v[4:5], 2, v[4:5]
	s_waitcnt lgkmcnt(0)
	v_mov_b32_e32 v6, s1
	v_add_co_u32_e32 v8, vcc, s0, v4
	v_addc_co_u32_e32 v9, vcc, v6, v5, vcc
	global_load_dwordx4 v[4:7], v[8:9], off
	s_waitcnt vmcnt(0)
	v_fmac_f32_e32 v0, s2, v4
	v_fmac_f32_e32 v1, s2, v5
	;; [unrolled: 1-line block ×4, first 2 shown]
	global_store_dwordx4 v[8:9], v[0:3], off
.LBB4_22:
	s_endpgm
.LBB4_23:
	s_branch .LBB4_21
	.section	.rodata,"a",@progbits
	.p2align	6, 0x0
	.amdhsa_kernel _ZN9rocsparseL19gebsrmvn_4xn_kernelILj128ELj1ELj64EfEEvi20rocsparse_direction_NS_24const_host_device_scalarIT2_EEPKiS6_PKS3_S8_S4_PS3_21rocsparse_index_base_b
		.amdhsa_group_segment_fixed_size 0
		.amdhsa_private_segment_fixed_size 0
		.amdhsa_kernarg_size 72
		.amdhsa_user_sgpr_count 6
		.amdhsa_user_sgpr_private_segment_buffer 1
		.amdhsa_user_sgpr_dispatch_ptr 0
		.amdhsa_user_sgpr_queue_ptr 0
		.amdhsa_user_sgpr_kernarg_segment_ptr 1
		.amdhsa_user_sgpr_dispatch_id 0
		.amdhsa_user_sgpr_flat_scratch_init 0
		.amdhsa_user_sgpr_private_segment_size 0
		.amdhsa_uses_dynamic_stack 0
		.amdhsa_system_sgpr_private_segment_wavefront_offset 0
		.amdhsa_system_sgpr_workgroup_id_x 1
		.amdhsa_system_sgpr_workgroup_id_y 0
		.amdhsa_system_sgpr_workgroup_id_z 0
		.amdhsa_system_sgpr_workgroup_info 0
		.amdhsa_system_vgpr_workitem_id 0
		.amdhsa_next_free_vgpr 21
		.amdhsa_next_free_sgpr 20
		.amdhsa_reserve_vcc 1
		.amdhsa_reserve_flat_scratch 0
		.amdhsa_float_round_mode_32 0
		.amdhsa_float_round_mode_16_64 0
		.amdhsa_float_denorm_mode_32 3
		.amdhsa_float_denorm_mode_16_64 3
		.amdhsa_dx10_clamp 1
		.amdhsa_ieee_mode 1
		.amdhsa_fp16_overflow 0
		.amdhsa_exception_fp_ieee_invalid_op 0
		.amdhsa_exception_fp_denorm_src 0
		.amdhsa_exception_fp_ieee_div_zero 0
		.amdhsa_exception_fp_ieee_overflow 0
		.amdhsa_exception_fp_ieee_underflow 0
		.amdhsa_exception_fp_ieee_inexact 0
		.amdhsa_exception_int_div_zero 0
	.end_amdhsa_kernel
	.section	.text._ZN9rocsparseL19gebsrmvn_4xn_kernelILj128ELj1ELj64EfEEvi20rocsparse_direction_NS_24const_host_device_scalarIT2_EEPKiS6_PKS3_S8_S4_PS3_21rocsparse_index_base_b,"axG",@progbits,_ZN9rocsparseL19gebsrmvn_4xn_kernelILj128ELj1ELj64EfEEvi20rocsparse_direction_NS_24const_host_device_scalarIT2_EEPKiS6_PKS3_S8_S4_PS3_21rocsparse_index_base_b,comdat
.Lfunc_end4:
	.size	_ZN9rocsparseL19gebsrmvn_4xn_kernelILj128ELj1ELj64EfEEvi20rocsparse_direction_NS_24const_host_device_scalarIT2_EEPKiS6_PKS3_S8_S4_PS3_21rocsparse_index_base_b, .Lfunc_end4-_ZN9rocsparseL19gebsrmvn_4xn_kernelILj128ELj1ELj64EfEEvi20rocsparse_direction_NS_24const_host_device_scalarIT2_EEPKiS6_PKS3_S8_S4_PS3_21rocsparse_index_base_b
                                        ; -- End function
	.set _ZN9rocsparseL19gebsrmvn_4xn_kernelILj128ELj1ELj64EfEEvi20rocsparse_direction_NS_24const_host_device_scalarIT2_EEPKiS6_PKS3_S8_S4_PS3_21rocsparse_index_base_b.num_vgpr, 21
	.set _ZN9rocsparseL19gebsrmvn_4xn_kernelILj128ELj1ELj64EfEEvi20rocsparse_direction_NS_24const_host_device_scalarIT2_EEPKiS6_PKS3_S8_S4_PS3_21rocsparse_index_base_b.num_agpr, 0
	.set _ZN9rocsparseL19gebsrmvn_4xn_kernelILj128ELj1ELj64EfEEvi20rocsparse_direction_NS_24const_host_device_scalarIT2_EEPKiS6_PKS3_S8_S4_PS3_21rocsparse_index_base_b.numbered_sgpr, 20
	.set _ZN9rocsparseL19gebsrmvn_4xn_kernelILj128ELj1ELj64EfEEvi20rocsparse_direction_NS_24const_host_device_scalarIT2_EEPKiS6_PKS3_S8_S4_PS3_21rocsparse_index_base_b.num_named_barrier, 0
	.set _ZN9rocsparseL19gebsrmvn_4xn_kernelILj128ELj1ELj64EfEEvi20rocsparse_direction_NS_24const_host_device_scalarIT2_EEPKiS6_PKS3_S8_S4_PS3_21rocsparse_index_base_b.private_seg_size, 0
	.set _ZN9rocsparseL19gebsrmvn_4xn_kernelILj128ELj1ELj64EfEEvi20rocsparse_direction_NS_24const_host_device_scalarIT2_EEPKiS6_PKS3_S8_S4_PS3_21rocsparse_index_base_b.uses_vcc, 1
	.set _ZN9rocsparseL19gebsrmvn_4xn_kernelILj128ELj1ELj64EfEEvi20rocsparse_direction_NS_24const_host_device_scalarIT2_EEPKiS6_PKS3_S8_S4_PS3_21rocsparse_index_base_b.uses_flat_scratch, 0
	.set _ZN9rocsparseL19gebsrmvn_4xn_kernelILj128ELj1ELj64EfEEvi20rocsparse_direction_NS_24const_host_device_scalarIT2_EEPKiS6_PKS3_S8_S4_PS3_21rocsparse_index_base_b.has_dyn_sized_stack, 0
	.set _ZN9rocsparseL19gebsrmvn_4xn_kernelILj128ELj1ELj64EfEEvi20rocsparse_direction_NS_24const_host_device_scalarIT2_EEPKiS6_PKS3_S8_S4_PS3_21rocsparse_index_base_b.has_recursion, 0
	.set _ZN9rocsparseL19gebsrmvn_4xn_kernelILj128ELj1ELj64EfEEvi20rocsparse_direction_NS_24const_host_device_scalarIT2_EEPKiS6_PKS3_S8_S4_PS3_21rocsparse_index_base_b.has_indirect_call, 0
	.section	.AMDGPU.csdata,"",@progbits
; Kernel info:
; codeLenInByte = 1104
; TotalNumSgprs: 24
; NumVgprs: 21
; ScratchSize: 0
; MemoryBound: 0
; FloatMode: 240
; IeeeMode: 1
; LDSByteSize: 0 bytes/workgroup (compile time only)
; SGPRBlocks: 2
; VGPRBlocks: 5
; NumSGPRsForWavesPerEU: 24
; NumVGPRsForWavesPerEU: 21
; Occupancy: 10
; WaveLimiterHint : 1
; COMPUTE_PGM_RSRC2:SCRATCH_EN: 0
; COMPUTE_PGM_RSRC2:USER_SGPR: 6
; COMPUTE_PGM_RSRC2:TRAP_HANDLER: 0
; COMPUTE_PGM_RSRC2:TGID_X_EN: 1
; COMPUTE_PGM_RSRC2:TGID_Y_EN: 0
; COMPUTE_PGM_RSRC2:TGID_Z_EN: 0
; COMPUTE_PGM_RSRC2:TIDIG_COMP_CNT: 0
	.section	.text._ZN9rocsparseL19gebsrmvn_4xn_kernelILj128ELj2ELj4EfEEvi20rocsparse_direction_NS_24const_host_device_scalarIT2_EEPKiS6_PKS3_S8_S4_PS3_21rocsparse_index_base_b,"axG",@progbits,_ZN9rocsparseL19gebsrmvn_4xn_kernelILj128ELj2ELj4EfEEvi20rocsparse_direction_NS_24const_host_device_scalarIT2_EEPKiS6_PKS3_S8_S4_PS3_21rocsparse_index_base_b,comdat
	.globl	_ZN9rocsparseL19gebsrmvn_4xn_kernelILj128ELj2ELj4EfEEvi20rocsparse_direction_NS_24const_host_device_scalarIT2_EEPKiS6_PKS3_S8_S4_PS3_21rocsparse_index_base_b ; -- Begin function _ZN9rocsparseL19gebsrmvn_4xn_kernelILj128ELj2ELj4EfEEvi20rocsparse_direction_NS_24const_host_device_scalarIT2_EEPKiS6_PKS3_S8_S4_PS3_21rocsparse_index_base_b
	.p2align	8
	.type	_ZN9rocsparseL19gebsrmvn_4xn_kernelILj128ELj2ELj4EfEEvi20rocsparse_direction_NS_24const_host_device_scalarIT2_EEPKiS6_PKS3_S8_S4_PS3_21rocsparse_index_base_b,@function
_ZN9rocsparseL19gebsrmvn_4xn_kernelILj128ELj2ELj4EfEEvi20rocsparse_direction_NS_24const_host_device_scalarIT2_EEPKiS6_PKS3_S8_S4_PS3_21rocsparse_index_base_b: ; @_ZN9rocsparseL19gebsrmvn_4xn_kernelILj128ELj2ELj4EfEEvi20rocsparse_direction_NS_24const_host_device_scalarIT2_EEPKiS6_PKS3_S8_S4_PS3_21rocsparse_index_base_b
; %bb.0:
	s_load_dwordx2 s[18:19], s[4:5], 0x40
	s_load_dwordx2 s[16:17], s[4:5], 0x8
	s_load_dwordx2 s[2:3], s[4:5], 0x30
	s_waitcnt lgkmcnt(0)
	s_bitcmp1_b32 s19, 0
	s_cselect_b64 s[8:9], -1, 0
	s_xor_b64 s[0:1], s[8:9], -1
	s_and_b64 vcc, exec, s[8:9]
	s_cbranch_vccnz .LBB5_2
; %bb.1:
	s_load_dword s16, s[16:17], 0x0
.LBB5_2:
	s_andn2_b64 vcc, exec, s[0:1]
	s_cbranch_vccnz .LBB5_4
; %bb.3:
	s_load_dword s2, s[2:3], 0x0
.LBB5_4:
	s_waitcnt lgkmcnt(0)
	v_cmp_eq_f32_e64 s[0:1], s16, 0
	v_cmp_eq_f32_e64 s[8:9], s2, 1.0
	s_and_b64 s[0:1], s[0:1], s[8:9]
	s_and_b64 vcc, exec, s[0:1]
	s_cbranch_vccnz .LBB5_22
; %bb.5:
	s_load_dwordx2 s[0:1], s[4:5], 0x0
	v_lshrrev_b32_e32 v1, 2, v0
	v_lshl_or_b32 v4, s6, 5, v1
	s_waitcnt lgkmcnt(0)
	v_cmp_gt_i32_e32 vcc, s0, v4
	s_and_saveexec_b64 s[6:7], vcc
	s_cbranch_execz .LBB5_22
; %bb.6:
	s_load_dwordx8 s[8:15], s[4:5], 0x10
	v_ashrrev_i32_e32 v5, 31, v4
	v_lshlrev_b64 v[1:2], 2, v[4:5]
	v_and_b32_e32 v7, 3, v0
	s_cmp_lg_u32 s1, 0
	s_waitcnt lgkmcnt(0)
	v_mov_b32_e32 v3, s9
	v_add_co_u32_e32 v1, vcc, s8, v1
	v_addc_co_u32_e32 v2, vcc, v3, v2, vcc
	global_load_dwordx2 v[1:2], v[1:2], off
	s_waitcnt vmcnt(0)
	v_subrev_u32_e32 v0, s18, v1
	v_subrev_u32_e32 v8, s18, v2
	v_add_u32_e32 v0, v0, v7
	v_cmp_lt_i32_e64 s[0:1], v0, v8
	s_cbranch_scc0 .LBB5_12
; %bb.7:
	v_mov_b32_e32 v10, 0
	v_mov_b32_e32 v9, 0
	;; [unrolled: 1-line block ×4, first 2 shown]
	s_and_saveexec_b64 s[6:7], s[0:1]
	s_cbranch_execz .LBB5_11
; %bb.8:
	v_mov_b32_e32 v2, 0
	v_lshlrev_b32_e32 v1, 3, v0
	s_mov_b64 s[8:9], 0
	v_mov_b32_e32 v3, s11
	v_mov_b32_e32 v13, s13
	;; [unrolled: 1-line block ×8, first 2 shown]
.LBB5_9:                                ; =>This Inner Loop Header: Depth=1
	v_lshlrev_b64 v[15:16], 2, v[1:2]
	v_ashrrev_i32_e32 v6, 31, v5
	v_lshlrev_b64 v[18:19], 2, v[5:6]
	v_add_co_u32_e32 v20, vcc, s12, v15
	v_addc_co_u32_e32 v21, vcc, v13, v16, vcc
	v_add_co_u32_e32 v15, vcc, s10, v18
	v_addc_co_u32_e32 v16, vcc, v3, v19, vcc
	global_load_dword v6, v[15:16], off
	v_mov_b32_e32 v17, v2
	v_add_u32_e32 v5, 4, v5
	v_add_u32_e32 v1, 32, v1
	s_waitcnt vmcnt(0)
	v_subrev_u32_e32 v6, s18, v6
	v_lshlrev_b32_e32 v16, 1, v6
	v_lshlrev_b64 v[15:16], 2, v[16:17]
	v_add_co_u32_e32 v22, vcc, s14, v15
	v_addc_co_u32_e32 v23, vcc, v14, v16, vcc
	global_load_dwordx4 v[15:18], v[20:21], off
	global_load_dwordx2 v[24:25], v[22:23], off
	v_cmp_ge_i32_e32 vcc, v5, v8
	s_or_b64 s[8:9], vcc, s[8:9]
	s_waitcnt vmcnt(0)
	v_fmac_f32_e32 v10, v15, v24
	v_fmac_f32_e32 v12, v16, v24
	;; [unrolled: 1-line block ×4, first 2 shown]
	global_load_dwordx4 v[15:18], v[20:21], off offset:16
	s_waitcnt vmcnt(0)
	v_fmac_f32_e32 v10, v15, v25
	v_fmac_f32_e32 v12, v16, v25
	;; [unrolled: 1-line block ×4, first 2 shown]
	s_andn2_b64 exec, exec, s[8:9]
	s_cbranch_execnz .LBB5_9
; %bb.10:
	s_or_b64 exec, exec, s[8:9]
.LBB5_11:
	s_or_b64 exec, exec, s[6:7]
	s_cbranch_execz .LBB5_13
	s_branch .LBB5_18
.LBB5_12:
                                        ; implicit-def: $vgpr10
                                        ; implicit-def: $vgpr9
                                        ; implicit-def: $vgpr11
                                        ; implicit-def: $vgpr12
.LBB5_13:
	v_mov_b32_e32 v10, 0
	v_mov_b32_e32 v9, 0
	;; [unrolled: 1-line block ×4, first 2 shown]
	s_and_saveexec_b64 s[6:7], s[0:1]
	s_cbranch_execz .LBB5_17
; %bb.14:
	v_mov_b32_e32 v3, 0
	v_lshlrev_b32_e32 v2, 3, v0
	s_mov_b64 s[0:1], 0
	v_mov_b32_e32 v5, s11
	v_mov_b32_e32 v6, s13
	;; [unrolled: 1-line block ×7, first 2 shown]
.LBB5_15:                               ; =>This Inner Loop Header: Depth=1
	v_lshlrev_b64 v[14:15], 2, v[2:3]
	v_ashrrev_i32_e32 v1, 31, v0
	v_lshlrev_b64 v[17:18], 2, v[0:1]
	v_add_co_u32_e32 v19, vcc, s12, v14
	v_addc_co_u32_e32 v20, vcc, v6, v15, vcc
	v_add_co_u32_e32 v14, vcc, s10, v17
	v_addc_co_u32_e32 v15, vcc, v5, v18, vcc
	global_load_dword v1, v[14:15], off
	v_mov_b32_e32 v16, v3
	v_add_u32_e32 v0, 4, v0
	v_add_u32_e32 v2, 32, v2
	s_waitcnt vmcnt(0)
	v_subrev_u32_e32 v1, s18, v1
	v_lshlrev_b32_e32 v15, 1, v1
	v_lshlrev_b64 v[14:15], 2, v[15:16]
	v_add_co_u32_e32 v21, vcc, s14, v14
	v_addc_co_u32_e32 v22, vcc, v13, v15, vcc
	global_load_dwordx4 v[14:17], v[19:20], off
	global_load_dwordx2 v[23:24], v[21:22], off
	v_cmp_ge_i32_e32 vcc, v0, v8
	s_or_b64 s[0:1], vcc, s[0:1]
	s_waitcnt vmcnt(0)
	v_fmac_f32_e32 v10, v14, v23
	v_fmac_f32_e32 v12, v16, v23
	;; [unrolled: 1-line block ×4, first 2 shown]
	global_load_dwordx4 v[14:17], v[19:20], off offset:16
	s_waitcnt vmcnt(0)
	v_fmac_f32_e32 v11, v14, v23
	v_fmac_f32_e32 v9, v16, v23
	;; [unrolled: 1-line block ×4, first 2 shown]
	s_andn2_b64 exec, exec, s[0:1]
	s_cbranch_execnz .LBB5_15
; %bb.16:
	s_or_b64 exec, exec, s[0:1]
.LBB5_17:
	s_or_b64 exec, exec, s[6:7]
.LBB5_18:
	v_mov_b32_dpp v0, v10 row_shr:1 row_mask:0xf bank_mask:0xf
	v_mov_b32_dpp v2, v12 row_shr:1 row_mask:0xf bank_mask:0xf
	;; [unrolled: 1-line block ×4, first 2 shown]
	v_add_f32_e32 v0, v10, v0
	v_add_f32_e32 v2, v12, v2
	;; [unrolled: 1-line block ×4, first 2 shown]
	v_mov_b32_dpp v1, v0 row_shr:2 row_mask:0xf bank_mask:0xf
	v_mov_b32_dpp v3, v2 row_shr:2 row_mask:0xf bank_mask:0xf
	;; [unrolled: 1-line block ×4, first 2 shown]
	v_cmp_eq_u32_e32 vcc, 3, v7
	s_and_b64 exec, exec, vcc
	s_cbranch_execz .LBB5_22
; %bb.19:
	s_load_dwordx2 s[0:1], s[4:5], 0x38
	v_add_f32_e32 v0, v0, v1
	v_add_f32_e32 v1, v2, v3
	;; [unrolled: 1-line block ×4, first 2 shown]
	v_cmp_eq_f32_e64 s[4:5], s2, 0
	s_and_b64 vcc, exec, s[4:5]
	v_mul_f32_e32 v0, s16, v0
	v_mul_f32_e32 v1, s16, v1
	;; [unrolled: 1-line block ×4, first 2 shown]
	v_lshlrev_b32_e32 v4, 2, v4
	s_cbranch_vccz .LBB5_23
; %bb.20:
	v_ashrrev_i32_e32 v5, 31, v4
	v_lshlrev_b64 v[5:6], 2, v[4:5]
	s_waitcnt lgkmcnt(0)
	v_mov_b32_e32 v7, s1
	v_add_co_u32_e32 v5, vcc, s0, v5
	v_addc_co_u32_e32 v6, vcc, v7, v6, vcc
	global_store_dwordx4 v[5:6], v[0:3], off
	s_cbranch_execnz .LBB5_22
.LBB5_21:
	v_ashrrev_i32_e32 v5, 31, v4
	v_lshlrev_b64 v[4:5], 2, v[4:5]
	s_waitcnt lgkmcnt(0)
	v_mov_b32_e32 v6, s1
	v_add_co_u32_e32 v8, vcc, s0, v4
	v_addc_co_u32_e32 v9, vcc, v6, v5, vcc
	global_load_dwordx4 v[4:7], v[8:9], off
	s_waitcnt vmcnt(0)
	v_fmac_f32_e32 v0, s2, v4
	v_fmac_f32_e32 v1, s2, v5
	;; [unrolled: 1-line block ×4, first 2 shown]
	global_store_dwordx4 v[8:9], v[0:3], off
.LBB5_22:
	s_endpgm
.LBB5_23:
	s_branch .LBB5_21
	.section	.rodata,"a",@progbits
	.p2align	6, 0x0
	.amdhsa_kernel _ZN9rocsparseL19gebsrmvn_4xn_kernelILj128ELj2ELj4EfEEvi20rocsparse_direction_NS_24const_host_device_scalarIT2_EEPKiS6_PKS3_S8_S4_PS3_21rocsparse_index_base_b
		.amdhsa_group_segment_fixed_size 0
		.amdhsa_private_segment_fixed_size 0
		.amdhsa_kernarg_size 72
		.amdhsa_user_sgpr_count 6
		.amdhsa_user_sgpr_private_segment_buffer 1
		.amdhsa_user_sgpr_dispatch_ptr 0
		.amdhsa_user_sgpr_queue_ptr 0
		.amdhsa_user_sgpr_kernarg_segment_ptr 1
		.amdhsa_user_sgpr_dispatch_id 0
		.amdhsa_user_sgpr_flat_scratch_init 0
		.amdhsa_user_sgpr_private_segment_size 0
		.amdhsa_uses_dynamic_stack 0
		.amdhsa_system_sgpr_private_segment_wavefront_offset 0
		.amdhsa_system_sgpr_workgroup_id_x 1
		.amdhsa_system_sgpr_workgroup_id_y 0
		.amdhsa_system_sgpr_workgroup_id_z 0
		.amdhsa_system_sgpr_workgroup_info 0
		.amdhsa_system_vgpr_workitem_id 0
		.amdhsa_next_free_vgpr 26
		.amdhsa_next_free_sgpr 20
		.amdhsa_reserve_vcc 1
		.amdhsa_reserve_flat_scratch 0
		.amdhsa_float_round_mode_32 0
		.amdhsa_float_round_mode_16_64 0
		.amdhsa_float_denorm_mode_32 3
		.amdhsa_float_denorm_mode_16_64 3
		.amdhsa_dx10_clamp 1
		.amdhsa_ieee_mode 1
		.amdhsa_fp16_overflow 0
		.amdhsa_exception_fp_ieee_invalid_op 0
		.amdhsa_exception_fp_denorm_src 0
		.amdhsa_exception_fp_ieee_div_zero 0
		.amdhsa_exception_fp_ieee_overflow 0
		.amdhsa_exception_fp_ieee_underflow 0
		.amdhsa_exception_fp_ieee_inexact 0
		.amdhsa_exception_int_div_zero 0
	.end_amdhsa_kernel
	.section	.text._ZN9rocsparseL19gebsrmvn_4xn_kernelILj128ELj2ELj4EfEEvi20rocsparse_direction_NS_24const_host_device_scalarIT2_EEPKiS6_PKS3_S8_S4_PS3_21rocsparse_index_base_b,"axG",@progbits,_ZN9rocsparseL19gebsrmvn_4xn_kernelILj128ELj2ELj4EfEEvi20rocsparse_direction_NS_24const_host_device_scalarIT2_EEPKiS6_PKS3_S8_S4_PS3_21rocsparse_index_base_b,comdat
.Lfunc_end5:
	.size	_ZN9rocsparseL19gebsrmvn_4xn_kernelILj128ELj2ELj4EfEEvi20rocsparse_direction_NS_24const_host_device_scalarIT2_EEPKiS6_PKS3_S8_S4_PS3_21rocsparse_index_base_b, .Lfunc_end5-_ZN9rocsparseL19gebsrmvn_4xn_kernelILj128ELj2ELj4EfEEvi20rocsparse_direction_NS_24const_host_device_scalarIT2_EEPKiS6_PKS3_S8_S4_PS3_21rocsparse_index_base_b
                                        ; -- End function
	.set _ZN9rocsparseL19gebsrmvn_4xn_kernelILj128ELj2ELj4EfEEvi20rocsparse_direction_NS_24const_host_device_scalarIT2_EEPKiS6_PKS3_S8_S4_PS3_21rocsparse_index_base_b.num_vgpr, 26
	.set _ZN9rocsparseL19gebsrmvn_4xn_kernelILj128ELj2ELj4EfEEvi20rocsparse_direction_NS_24const_host_device_scalarIT2_EEPKiS6_PKS3_S8_S4_PS3_21rocsparse_index_base_b.num_agpr, 0
	.set _ZN9rocsparseL19gebsrmvn_4xn_kernelILj128ELj2ELj4EfEEvi20rocsparse_direction_NS_24const_host_device_scalarIT2_EEPKiS6_PKS3_S8_S4_PS3_21rocsparse_index_base_b.numbered_sgpr, 20
	.set _ZN9rocsparseL19gebsrmvn_4xn_kernelILj128ELj2ELj4EfEEvi20rocsparse_direction_NS_24const_host_device_scalarIT2_EEPKiS6_PKS3_S8_S4_PS3_21rocsparse_index_base_b.num_named_barrier, 0
	.set _ZN9rocsparseL19gebsrmvn_4xn_kernelILj128ELj2ELj4EfEEvi20rocsparse_direction_NS_24const_host_device_scalarIT2_EEPKiS6_PKS3_S8_S4_PS3_21rocsparse_index_base_b.private_seg_size, 0
	.set _ZN9rocsparseL19gebsrmvn_4xn_kernelILj128ELj2ELj4EfEEvi20rocsparse_direction_NS_24const_host_device_scalarIT2_EEPKiS6_PKS3_S8_S4_PS3_21rocsparse_index_base_b.uses_vcc, 1
	.set _ZN9rocsparseL19gebsrmvn_4xn_kernelILj128ELj2ELj4EfEEvi20rocsparse_direction_NS_24const_host_device_scalarIT2_EEPKiS6_PKS3_S8_S4_PS3_21rocsparse_index_base_b.uses_flat_scratch, 0
	.set _ZN9rocsparseL19gebsrmvn_4xn_kernelILj128ELj2ELj4EfEEvi20rocsparse_direction_NS_24const_host_device_scalarIT2_EEPKiS6_PKS3_S8_S4_PS3_21rocsparse_index_base_b.has_dyn_sized_stack, 0
	.set _ZN9rocsparseL19gebsrmvn_4xn_kernelILj128ELj2ELj4EfEEvi20rocsparse_direction_NS_24const_host_device_scalarIT2_EEPKiS6_PKS3_S8_S4_PS3_21rocsparse_index_base_b.has_recursion, 0
	.set _ZN9rocsparseL19gebsrmvn_4xn_kernelILj128ELj2ELj4EfEEvi20rocsparse_direction_NS_24const_host_device_scalarIT2_EEPKiS6_PKS3_S8_S4_PS3_21rocsparse_index_base_b.has_indirect_call, 0
	.section	.AMDGPU.csdata,"",@progbits
; Kernel info:
; codeLenInByte = 968
; TotalNumSgprs: 24
; NumVgprs: 26
; ScratchSize: 0
; MemoryBound: 0
; FloatMode: 240
; IeeeMode: 1
; LDSByteSize: 0 bytes/workgroup (compile time only)
; SGPRBlocks: 2
; VGPRBlocks: 6
; NumSGPRsForWavesPerEU: 24
; NumVGPRsForWavesPerEU: 26
; Occupancy: 9
; WaveLimiterHint : 1
; COMPUTE_PGM_RSRC2:SCRATCH_EN: 0
; COMPUTE_PGM_RSRC2:USER_SGPR: 6
; COMPUTE_PGM_RSRC2:TRAP_HANDLER: 0
; COMPUTE_PGM_RSRC2:TGID_X_EN: 1
; COMPUTE_PGM_RSRC2:TGID_Y_EN: 0
; COMPUTE_PGM_RSRC2:TGID_Z_EN: 0
; COMPUTE_PGM_RSRC2:TIDIG_COMP_CNT: 0
	.section	.text._ZN9rocsparseL19gebsrmvn_4xn_kernelILj128ELj2ELj8EfEEvi20rocsparse_direction_NS_24const_host_device_scalarIT2_EEPKiS6_PKS3_S8_S4_PS3_21rocsparse_index_base_b,"axG",@progbits,_ZN9rocsparseL19gebsrmvn_4xn_kernelILj128ELj2ELj8EfEEvi20rocsparse_direction_NS_24const_host_device_scalarIT2_EEPKiS6_PKS3_S8_S4_PS3_21rocsparse_index_base_b,comdat
	.globl	_ZN9rocsparseL19gebsrmvn_4xn_kernelILj128ELj2ELj8EfEEvi20rocsparse_direction_NS_24const_host_device_scalarIT2_EEPKiS6_PKS3_S8_S4_PS3_21rocsparse_index_base_b ; -- Begin function _ZN9rocsparseL19gebsrmvn_4xn_kernelILj128ELj2ELj8EfEEvi20rocsparse_direction_NS_24const_host_device_scalarIT2_EEPKiS6_PKS3_S8_S4_PS3_21rocsparse_index_base_b
	.p2align	8
	.type	_ZN9rocsparseL19gebsrmvn_4xn_kernelILj128ELj2ELj8EfEEvi20rocsparse_direction_NS_24const_host_device_scalarIT2_EEPKiS6_PKS3_S8_S4_PS3_21rocsparse_index_base_b,@function
_ZN9rocsparseL19gebsrmvn_4xn_kernelILj128ELj2ELj8EfEEvi20rocsparse_direction_NS_24const_host_device_scalarIT2_EEPKiS6_PKS3_S8_S4_PS3_21rocsparse_index_base_b: ; @_ZN9rocsparseL19gebsrmvn_4xn_kernelILj128ELj2ELj8EfEEvi20rocsparse_direction_NS_24const_host_device_scalarIT2_EEPKiS6_PKS3_S8_S4_PS3_21rocsparse_index_base_b
; %bb.0:
	s_load_dwordx2 s[18:19], s[4:5], 0x40
	s_load_dwordx2 s[16:17], s[4:5], 0x8
	;; [unrolled: 1-line block ×3, first 2 shown]
	s_waitcnt lgkmcnt(0)
	s_bitcmp1_b32 s19, 0
	s_cselect_b64 s[8:9], -1, 0
	s_xor_b64 s[0:1], s[8:9], -1
	s_and_b64 vcc, exec, s[8:9]
	s_cbranch_vccnz .LBB6_2
; %bb.1:
	s_load_dword s16, s[16:17], 0x0
.LBB6_2:
	s_andn2_b64 vcc, exec, s[0:1]
	s_cbranch_vccnz .LBB6_4
; %bb.3:
	s_load_dword s2, s[2:3], 0x0
.LBB6_4:
	s_waitcnt lgkmcnt(0)
	v_cmp_eq_f32_e64 s[0:1], s16, 0
	v_cmp_eq_f32_e64 s[8:9], s2, 1.0
	s_and_b64 s[0:1], s[0:1], s[8:9]
	s_and_b64 vcc, exec, s[0:1]
	s_cbranch_vccnz .LBB6_22
; %bb.5:
	s_load_dwordx2 s[0:1], s[4:5], 0x0
	v_lshrrev_b32_e32 v1, 3, v0
	v_lshl_or_b32 v4, s6, 4, v1
	s_waitcnt lgkmcnt(0)
	v_cmp_gt_i32_e32 vcc, s0, v4
	s_and_saveexec_b64 s[6:7], vcc
	s_cbranch_execz .LBB6_22
; %bb.6:
	s_load_dwordx8 s[8:15], s[4:5], 0x10
	v_ashrrev_i32_e32 v5, 31, v4
	v_lshlrev_b64 v[1:2], 2, v[4:5]
	v_and_b32_e32 v7, 7, v0
	s_cmp_lg_u32 s1, 0
	s_waitcnt lgkmcnt(0)
	v_mov_b32_e32 v3, s9
	v_add_co_u32_e32 v1, vcc, s8, v1
	v_addc_co_u32_e32 v2, vcc, v3, v2, vcc
	global_load_dwordx2 v[1:2], v[1:2], off
	s_waitcnt vmcnt(0)
	v_subrev_u32_e32 v0, s18, v1
	v_subrev_u32_e32 v9, s18, v2
	v_add_u32_e32 v0, v0, v7
	v_cmp_lt_i32_e64 s[0:1], v0, v9
	s_cbranch_scc0 .LBB6_12
; %bb.7:
	v_mov_b32_e32 v10, 0
	v_mov_b32_e32 v8, 0
	;; [unrolled: 1-line block ×4, first 2 shown]
	s_and_saveexec_b64 s[6:7], s[0:1]
	s_cbranch_execz .LBB6_11
; %bb.8:
	v_mov_b32_e32 v2, 0
	v_lshlrev_b32_e32 v1, 3, v0
	s_mov_b64 s[8:9], 0
	v_mov_b32_e32 v3, s11
	v_mov_b32_e32 v13, s13
	;; [unrolled: 1-line block ×8, first 2 shown]
.LBB6_9:                                ; =>This Inner Loop Header: Depth=1
	v_lshlrev_b64 v[15:16], 2, v[1:2]
	v_ashrrev_i32_e32 v6, 31, v5
	v_lshlrev_b64 v[18:19], 2, v[5:6]
	v_add_co_u32_e32 v20, vcc, s12, v15
	v_addc_co_u32_e32 v21, vcc, v13, v16, vcc
	v_add_co_u32_e32 v15, vcc, s10, v18
	v_addc_co_u32_e32 v16, vcc, v3, v19, vcc
	global_load_dword v6, v[15:16], off
	v_mov_b32_e32 v17, v2
	v_add_u32_e32 v5, 8, v5
	v_add_u32_e32 v1, 64, v1
	s_waitcnt vmcnt(0)
	v_subrev_u32_e32 v6, s18, v6
	v_lshlrev_b32_e32 v16, 1, v6
	v_lshlrev_b64 v[15:16], 2, v[16:17]
	v_add_co_u32_e32 v22, vcc, s14, v15
	v_addc_co_u32_e32 v23, vcc, v14, v16, vcc
	global_load_dwordx4 v[15:18], v[20:21], off
	global_load_dwordx2 v[24:25], v[22:23], off
	v_cmp_ge_i32_e32 vcc, v5, v9
	s_or_b64 s[8:9], vcc, s[8:9]
	s_waitcnt vmcnt(0)
	v_fmac_f32_e32 v10, v15, v24
	v_fmac_f32_e32 v12, v16, v24
	;; [unrolled: 1-line block ×4, first 2 shown]
	global_load_dwordx4 v[15:18], v[20:21], off offset:16
	s_waitcnt vmcnt(0)
	v_fmac_f32_e32 v10, v15, v25
	v_fmac_f32_e32 v12, v16, v25
	;; [unrolled: 1-line block ×4, first 2 shown]
	s_andn2_b64 exec, exec, s[8:9]
	s_cbranch_execnz .LBB6_9
; %bb.10:
	s_or_b64 exec, exec, s[8:9]
.LBB6_11:
	s_or_b64 exec, exec, s[6:7]
	s_cbranch_execz .LBB6_13
	s_branch .LBB6_18
.LBB6_12:
                                        ; implicit-def: $vgpr10
                                        ; implicit-def: $vgpr8
                                        ; implicit-def: $vgpr11
                                        ; implicit-def: $vgpr12
.LBB6_13:
	v_mov_b32_e32 v10, 0
	v_mov_b32_e32 v8, 0
	;; [unrolled: 1-line block ×4, first 2 shown]
	s_and_saveexec_b64 s[6:7], s[0:1]
	s_cbranch_execz .LBB6_17
; %bb.14:
	v_mov_b32_e32 v3, 0
	v_lshlrev_b32_e32 v2, 3, v0
	s_mov_b64 s[0:1], 0
	v_mov_b32_e32 v5, s11
	v_mov_b32_e32 v6, s13
	;; [unrolled: 1-line block ×7, first 2 shown]
.LBB6_15:                               ; =>This Inner Loop Header: Depth=1
	v_lshlrev_b64 v[14:15], 2, v[2:3]
	v_ashrrev_i32_e32 v1, 31, v0
	v_lshlrev_b64 v[17:18], 2, v[0:1]
	v_add_co_u32_e32 v19, vcc, s12, v14
	v_addc_co_u32_e32 v20, vcc, v6, v15, vcc
	v_add_co_u32_e32 v14, vcc, s10, v17
	v_addc_co_u32_e32 v15, vcc, v5, v18, vcc
	global_load_dword v1, v[14:15], off
	v_mov_b32_e32 v16, v3
	v_add_u32_e32 v0, 8, v0
	v_add_u32_e32 v2, 64, v2
	s_waitcnt vmcnt(0)
	v_subrev_u32_e32 v1, s18, v1
	v_lshlrev_b32_e32 v15, 1, v1
	v_lshlrev_b64 v[14:15], 2, v[15:16]
	v_add_co_u32_e32 v21, vcc, s14, v14
	v_addc_co_u32_e32 v22, vcc, v13, v15, vcc
	global_load_dwordx4 v[14:17], v[19:20], off
	global_load_dwordx2 v[23:24], v[21:22], off
	v_cmp_ge_i32_e32 vcc, v0, v9
	s_or_b64 s[0:1], vcc, s[0:1]
	s_waitcnt vmcnt(0)
	v_fmac_f32_e32 v10, v14, v23
	v_fmac_f32_e32 v12, v16, v23
	;; [unrolled: 1-line block ×4, first 2 shown]
	global_load_dwordx4 v[14:17], v[19:20], off offset:16
	s_waitcnt vmcnt(0)
	v_fmac_f32_e32 v11, v14, v23
	v_fmac_f32_e32 v8, v16, v23
	;; [unrolled: 1-line block ×4, first 2 shown]
	s_andn2_b64 exec, exec, s[0:1]
	s_cbranch_execnz .LBB6_15
; %bb.16:
	s_or_b64 exec, exec, s[0:1]
.LBB6_17:
	s_or_b64 exec, exec, s[6:7]
.LBB6_18:
	v_mov_b32_dpp v0, v10 row_shr:1 row_mask:0xf bank_mask:0xf
	v_mov_b32_dpp v2, v12 row_shr:1 row_mask:0xf bank_mask:0xf
	;; [unrolled: 1-line block ×4, first 2 shown]
	v_add_f32_e32 v0, v10, v0
	v_add_f32_e32 v2, v12, v2
	;; [unrolled: 1-line block ×4, first 2 shown]
	v_mov_b32_dpp v1, v0 row_shr:2 row_mask:0xf bank_mask:0xf
	v_mov_b32_dpp v3, v2 row_shr:2 row_mask:0xf bank_mask:0xf
	;; [unrolled: 1-line block ×4, first 2 shown]
	v_add_f32_e32 v0, v0, v1
	v_add_f32_e32 v2, v2, v3
	;; [unrolled: 1-line block ×4, first 2 shown]
	v_mov_b32_dpp v1, v0 row_shr:4 row_mask:0xf bank_mask:0xe
	v_mov_b32_dpp v3, v2 row_shr:4 row_mask:0xf bank_mask:0xe
	;; [unrolled: 1-line block ×4, first 2 shown]
	v_cmp_eq_u32_e32 vcc, 7, v7
	s_and_b64 exec, exec, vcc
	s_cbranch_execz .LBB6_22
; %bb.19:
	s_load_dwordx2 s[0:1], s[4:5], 0x38
	v_add_f32_e32 v0, v0, v1
	v_add_f32_e32 v1, v2, v3
	;; [unrolled: 1-line block ×4, first 2 shown]
	v_cmp_eq_f32_e64 s[4:5], s2, 0
	s_and_b64 vcc, exec, s[4:5]
	v_mul_f32_e32 v0, s16, v0
	v_mul_f32_e32 v1, s16, v1
	;; [unrolled: 1-line block ×4, first 2 shown]
	v_lshlrev_b32_e32 v4, 2, v4
	s_cbranch_vccz .LBB6_23
; %bb.20:
	v_ashrrev_i32_e32 v5, 31, v4
	v_lshlrev_b64 v[5:6], 2, v[4:5]
	s_waitcnt lgkmcnt(0)
	v_mov_b32_e32 v7, s1
	v_add_co_u32_e32 v5, vcc, s0, v5
	v_addc_co_u32_e32 v6, vcc, v7, v6, vcc
	global_store_dwordx4 v[5:6], v[0:3], off
	s_cbranch_execnz .LBB6_22
.LBB6_21:
	v_ashrrev_i32_e32 v5, 31, v4
	v_lshlrev_b64 v[4:5], 2, v[4:5]
	s_waitcnt lgkmcnt(0)
	v_mov_b32_e32 v6, s1
	v_add_co_u32_e32 v8, vcc, s0, v4
	v_addc_co_u32_e32 v9, vcc, v6, v5, vcc
	global_load_dwordx4 v[4:7], v[8:9], off
	s_waitcnt vmcnt(0)
	v_fmac_f32_e32 v0, s2, v4
	v_fmac_f32_e32 v1, s2, v5
	;; [unrolled: 1-line block ×4, first 2 shown]
	global_store_dwordx4 v[8:9], v[0:3], off
.LBB6_22:
	s_endpgm
.LBB6_23:
	s_branch .LBB6_21
	.section	.rodata,"a",@progbits
	.p2align	6, 0x0
	.amdhsa_kernel _ZN9rocsparseL19gebsrmvn_4xn_kernelILj128ELj2ELj8EfEEvi20rocsparse_direction_NS_24const_host_device_scalarIT2_EEPKiS6_PKS3_S8_S4_PS3_21rocsparse_index_base_b
		.amdhsa_group_segment_fixed_size 0
		.amdhsa_private_segment_fixed_size 0
		.amdhsa_kernarg_size 72
		.amdhsa_user_sgpr_count 6
		.amdhsa_user_sgpr_private_segment_buffer 1
		.amdhsa_user_sgpr_dispatch_ptr 0
		.amdhsa_user_sgpr_queue_ptr 0
		.amdhsa_user_sgpr_kernarg_segment_ptr 1
		.amdhsa_user_sgpr_dispatch_id 0
		.amdhsa_user_sgpr_flat_scratch_init 0
		.amdhsa_user_sgpr_private_segment_size 0
		.amdhsa_uses_dynamic_stack 0
		.amdhsa_system_sgpr_private_segment_wavefront_offset 0
		.amdhsa_system_sgpr_workgroup_id_x 1
		.amdhsa_system_sgpr_workgroup_id_y 0
		.amdhsa_system_sgpr_workgroup_id_z 0
		.amdhsa_system_sgpr_workgroup_info 0
		.amdhsa_system_vgpr_workitem_id 0
		.amdhsa_next_free_vgpr 26
		.amdhsa_next_free_sgpr 20
		.amdhsa_reserve_vcc 1
		.amdhsa_reserve_flat_scratch 0
		.amdhsa_float_round_mode_32 0
		.amdhsa_float_round_mode_16_64 0
		.amdhsa_float_denorm_mode_32 3
		.amdhsa_float_denorm_mode_16_64 3
		.amdhsa_dx10_clamp 1
		.amdhsa_ieee_mode 1
		.amdhsa_fp16_overflow 0
		.amdhsa_exception_fp_ieee_invalid_op 0
		.amdhsa_exception_fp_denorm_src 0
		.amdhsa_exception_fp_ieee_div_zero 0
		.amdhsa_exception_fp_ieee_overflow 0
		.amdhsa_exception_fp_ieee_underflow 0
		.amdhsa_exception_fp_ieee_inexact 0
		.amdhsa_exception_int_div_zero 0
	.end_amdhsa_kernel
	.section	.text._ZN9rocsparseL19gebsrmvn_4xn_kernelILj128ELj2ELj8EfEEvi20rocsparse_direction_NS_24const_host_device_scalarIT2_EEPKiS6_PKS3_S8_S4_PS3_21rocsparse_index_base_b,"axG",@progbits,_ZN9rocsparseL19gebsrmvn_4xn_kernelILj128ELj2ELj8EfEEvi20rocsparse_direction_NS_24const_host_device_scalarIT2_EEPKiS6_PKS3_S8_S4_PS3_21rocsparse_index_base_b,comdat
.Lfunc_end6:
	.size	_ZN9rocsparseL19gebsrmvn_4xn_kernelILj128ELj2ELj8EfEEvi20rocsparse_direction_NS_24const_host_device_scalarIT2_EEPKiS6_PKS3_S8_S4_PS3_21rocsparse_index_base_b, .Lfunc_end6-_ZN9rocsparseL19gebsrmvn_4xn_kernelILj128ELj2ELj8EfEEvi20rocsparse_direction_NS_24const_host_device_scalarIT2_EEPKiS6_PKS3_S8_S4_PS3_21rocsparse_index_base_b
                                        ; -- End function
	.set _ZN9rocsparseL19gebsrmvn_4xn_kernelILj128ELj2ELj8EfEEvi20rocsparse_direction_NS_24const_host_device_scalarIT2_EEPKiS6_PKS3_S8_S4_PS3_21rocsparse_index_base_b.num_vgpr, 26
	.set _ZN9rocsparseL19gebsrmvn_4xn_kernelILj128ELj2ELj8EfEEvi20rocsparse_direction_NS_24const_host_device_scalarIT2_EEPKiS6_PKS3_S8_S4_PS3_21rocsparse_index_base_b.num_agpr, 0
	.set _ZN9rocsparseL19gebsrmvn_4xn_kernelILj128ELj2ELj8EfEEvi20rocsparse_direction_NS_24const_host_device_scalarIT2_EEPKiS6_PKS3_S8_S4_PS3_21rocsparse_index_base_b.numbered_sgpr, 20
	.set _ZN9rocsparseL19gebsrmvn_4xn_kernelILj128ELj2ELj8EfEEvi20rocsparse_direction_NS_24const_host_device_scalarIT2_EEPKiS6_PKS3_S8_S4_PS3_21rocsparse_index_base_b.num_named_barrier, 0
	.set _ZN9rocsparseL19gebsrmvn_4xn_kernelILj128ELj2ELj8EfEEvi20rocsparse_direction_NS_24const_host_device_scalarIT2_EEPKiS6_PKS3_S8_S4_PS3_21rocsparse_index_base_b.private_seg_size, 0
	.set _ZN9rocsparseL19gebsrmvn_4xn_kernelILj128ELj2ELj8EfEEvi20rocsparse_direction_NS_24const_host_device_scalarIT2_EEPKiS6_PKS3_S8_S4_PS3_21rocsparse_index_base_b.uses_vcc, 1
	.set _ZN9rocsparseL19gebsrmvn_4xn_kernelILj128ELj2ELj8EfEEvi20rocsparse_direction_NS_24const_host_device_scalarIT2_EEPKiS6_PKS3_S8_S4_PS3_21rocsparse_index_base_b.uses_flat_scratch, 0
	.set _ZN9rocsparseL19gebsrmvn_4xn_kernelILj128ELj2ELj8EfEEvi20rocsparse_direction_NS_24const_host_device_scalarIT2_EEPKiS6_PKS3_S8_S4_PS3_21rocsparse_index_base_b.has_dyn_sized_stack, 0
	.set _ZN9rocsparseL19gebsrmvn_4xn_kernelILj128ELj2ELj8EfEEvi20rocsparse_direction_NS_24const_host_device_scalarIT2_EEPKiS6_PKS3_S8_S4_PS3_21rocsparse_index_base_b.has_recursion, 0
	.set _ZN9rocsparseL19gebsrmvn_4xn_kernelILj128ELj2ELj8EfEEvi20rocsparse_direction_NS_24const_host_device_scalarIT2_EEPKiS6_PKS3_S8_S4_PS3_21rocsparse_index_base_b.has_indirect_call, 0
	.section	.AMDGPU.csdata,"",@progbits
; Kernel info:
; codeLenInByte = 1016
; TotalNumSgprs: 24
; NumVgprs: 26
; ScratchSize: 0
; MemoryBound: 0
; FloatMode: 240
; IeeeMode: 1
; LDSByteSize: 0 bytes/workgroup (compile time only)
; SGPRBlocks: 2
; VGPRBlocks: 6
; NumSGPRsForWavesPerEU: 24
; NumVGPRsForWavesPerEU: 26
; Occupancy: 9
; WaveLimiterHint : 1
; COMPUTE_PGM_RSRC2:SCRATCH_EN: 0
; COMPUTE_PGM_RSRC2:USER_SGPR: 6
; COMPUTE_PGM_RSRC2:TRAP_HANDLER: 0
; COMPUTE_PGM_RSRC2:TGID_X_EN: 1
; COMPUTE_PGM_RSRC2:TGID_Y_EN: 0
; COMPUTE_PGM_RSRC2:TGID_Z_EN: 0
; COMPUTE_PGM_RSRC2:TIDIG_COMP_CNT: 0
	.section	.text._ZN9rocsparseL19gebsrmvn_4xn_kernelILj128ELj2ELj16EfEEvi20rocsparse_direction_NS_24const_host_device_scalarIT2_EEPKiS6_PKS3_S8_S4_PS3_21rocsparse_index_base_b,"axG",@progbits,_ZN9rocsparseL19gebsrmvn_4xn_kernelILj128ELj2ELj16EfEEvi20rocsparse_direction_NS_24const_host_device_scalarIT2_EEPKiS6_PKS3_S8_S4_PS3_21rocsparse_index_base_b,comdat
	.globl	_ZN9rocsparseL19gebsrmvn_4xn_kernelILj128ELj2ELj16EfEEvi20rocsparse_direction_NS_24const_host_device_scalarIT2_EEPKiS6_PKS3_S8_S4_PS3_21rocsparse_index_base_b ; -- Begin function _ZN9rocsparseL19gebsrmvn_4xn_kernelILj128ELj2ELj16EfEEvi20rocsparse_direction_NS_24const_host_device_scalarIT2_EEPKiS6_PKS3_S8_S4_PS3_21rocsparse_index_base_b
	.p2align	8
	.type	_ZN9rocsparseL19gebsrmvn_4xn_kernelILj128ELj2ELj16EfEEvi20rocsparse_direction_NS_24const_host_device_scalarIT2_EEPKiS6_PKS3_S8_S4_PS3_21rocsparse_index_base_b,@function
_ZN9rocsparseL19gebsrmvn_4xn_kernelILj128ELj2ELj16EfEEvi20rocsparse_direction_NS_24const_host_device_scalarIT2_EEPKiS6_PKS3_S8_S4_PS3_21rocsparse_index_base_b: ; @_ZN9rocsparseL19gebsrmvn_4xn_kernelILj128ELj2ELj16EfEEvi20rocsparse_direction_NS_24const_host_device_scalarIT2_EEPKiS6_PKS3_S8_S4_PS3_21rocsparse_index_base_b
; %bb.0:
	s_load_dwordx2 s[18:19], s[4:5], 0x40
	s_load_dwordx2 s[16:17], s[4:5], 0x8
	;; [unrolled: 1-line block ×3, first 2 shown]
	s_waitcnt lgkmcnt(0)
	s_bitcmp1_b32 s19, 0
	s_cselect_b64 s[8:9], -1, 0
	s_xor_b64 s[0:1], s[8:9], -1
	s_and_b64 vcc, exec, s[8:9]
	s_cbranch_vccnz .LBB7_2
; %bb.1:
	s_load_dword s16, s[16:17], 0x0
.LBB7_2:
	s_andn2_b64 vcc, exec, s[0:1]
	s_cbranch_vccnz .LBB7_4
; %bb.3:
	s_load_dword s2, s[2:3], 0x0
.LBB7_4:
	s_waitcnt lgkmcnt(0)
	v_cmp_eq_f32_e64 s[0:1], s16, 0
	v_cmp_eq_f32_e64 s[8:9], s2, 1.0
	s_and_b64 s[0:1], s[0:1], s[8:9]
	s_and_b64 vcc, exec, s[0:1]
	s_cbranch_vccnz .LBB7_22
; %bb.5:
	s_load_dwordx2 s[0:1], s[4:5], 0x0
	v_lshrrev_b32_e32 v1, 4, v0
	v_lshl_or_b32 v4, s6, 3, v1
	s_waitcnt lgkmcnt(0)
	v_cmp_gt_i32_e32 vcc, s0, v4
	s_and_saveexec_b64 s[6:7], vcc
	s_cbranch_execz .LBB7_22
; %bb.6:
	s_load_dwordx8 s[8:15], s[4:5], 0x10
	v_ashrrev_i32_e32 v5, 31, v4
	v_lshlrev_b64 v[1:2], 2, v[4:5]
	v_and_b32_e32 v7, 15, v0
	s_cmp_lg_u32 s1, 0
	s_waitcnt lgkmcnt(0)
	v_mov_b32_e32 v3, s9
	v_add_co_u32_e32 v1, vcc, s8, v1
	v_addc_co_u32_e32 v2, vcc, v3, v2, vcc
	global_load_dwordx2 v[1:2], v[1:2], off
	s_waitcnt vmcnt(0)
	v_subrev_u32_e32 v0, s18, v1
	v_subrev_u32_e32 v9, s18, v2
	v_add_u32_e32 v0, v0, v7
	v_cmp_lt_i32_e64 s[0:1], v0, v9
	s_cbranch_scc0 .LBB7_12
; %bb.7:
	v_mov_b32_e32 v11, 0
	v_mov_b32_e32 v8, 0
	;; [unrolled: 1-line block ×4, first 2 shown]
	s_and_saveexec_b64 s[6:7], s[0:1]
	s_cbranch_execz .LBB7_11
; %bb.8:
	v_mov_b32_e32 v2, 0
	v_lshlrev_b32_e32 v1, 3, v0
	s_mov_b64 s[8:9], 0
	v_mov_b32_e32 v3, s11
	v_mov_b32_e32 v13, s13
	;; [unrolled: 1-line block ×8, first 2 shown]
.LBB7_9:                                ; =>This Inner Loop Header: Depth=1
	v_lshlrev_b64 v[15:16], 2, v[1:2]
	v_ashrrev_i32_e32 v6, 31, v5
	v_lshlrev_b64 v[18:19], 2, v[5:6]
	v_add_co_u32_e32 v20, vcc, s12, v15
	v_addc_co_u32_e32 v21, vcc, v13, v16, vcc
	v_add_co_u32_e32 v15, vcc, s10, v18
	v_addc_co_u32_e32 v16, vcc, v3, v19, vcc
	global_load_dword v6, v[15:16], off
	v_mov_b32_e32 v17, v2
	v_add_u32_e32 v5, 16, v5
	v_add_u32_e32 v1, 0x80, v1
	s_waitcnt vmcnt(0)
	v_subrev_u32_e32 v6, s18, v6
	v_lshlrev_b32_e32 v16, 1, v6
	v_lshlrev_b64 v[15:16], 2, v[16:17]
	v_add_co_u32_e32 v22, vcc, s14, v15
	v_addc_co_u32_e32 v23, vcc, v14, v16, vcc
	global_load_dwordx4 v[15:18], v[20:21], off
	global_load_dwordx2 v[24:25], v[22:23], off
	v_cmp_ge_i32_e32 vcc, v5, v9
	s_or_b64 s[8:9], vcc, s[8:9]
	s_waitcnt vmcnt(0)
	v_fmac_f32_e32 v11, v15, v24
	v_fmac_f32_e32 v12, v16, v24
	;; [unrolled: 1-line block ×4, first 2 shown]
	global_load_dwordx4 v[15:18], v[20:21], off offset:16
	s_waitcnt vmcnt(0)
	v_fmac_f32_e32 v11, v15, v25
	v_fmac_f32_e32 v12, v16, v25
	v_fmac_f32_e32 v10, v17, v25
	v_fmac_f32_e32 v8, v18, v25
	s_andn2_b64 exec, exec, s[8:9]
	s_cbranch_execnz .LBB7_9
; %bb.10:
	s_or_b64 exec, exec, s[8:9]
.LBB7_11:
	s_or_b64 exec, exec, s[6:7]
	s_cbranch_execz .LBB7_13
	s_branch .LBB7_18
.LBB7_12:
                                        ; implicit-def: $vgpr11
                                        ; implicit-def: $vgpr8
                                        ; implicit-def: $vgpr10
                                        ; implicit-def: $vgpr12
.LBB7_13:
	v_mov_b32_e32 v11, 0
	v_mov_b32_e32 v8, 0
	;; [unrolled: 1-line block ×4, first 2 shown]
	s_and_saveexec_b64 s[6:7], s[0:1]
	s_cbranch_execz .LBB7_17
; %bb.14:
	v_mov_b32_e32 v3, 0
	v_lshlrev_b32_e32 v2, 3, v0
	s_mov_b64 s[0:1], 0
	v_mov_b32_e32 v5, s11
	v_mov_b32_e32 v6, s13
	;; [unrolled: 1-line block ×7, first 2 shown]
.LBB7_15:                               ; =>This Inner Loop Header: Depth=1
	v_lshlrev_b64 v[14:15], 2, v[2:3]
	v_ashrrev_i32_e32 v1, 31, v0
	v_lshlrev_b64 v[17:18], 2, v[0:1]
	v_add_co_u32_e32 v19, vcc, s12, v14
	v_addc_co_u32_e32 v20, vcc, v6, v15, vcc
	v_add_co_u32_e32 v14, vcc, s10, v17
	v_addc_co_u32_e32 v15, vcc, v5, v18, vcc
	global_load_dword v1, v[14:15], off
	v_mov_b32_e32 v16, v3
	v_add_u32_e32 v0, 16, v0
	v_add_u32_e32 v2, 0x80, v2
	s_waitcnt vmcnt(0)
	v_subrev_u32_e32 v1, s18, v1
	v_lshlrev_b32_e32 v15, 1, v1
	v_lshlrev_b64 v[14:15], 2, v[15:16]
	v_add_co_u32_e32 v21, vcc, s14, v14
	v_addc_co_u32_e32 v22, vcc, v13, v15, vcc
	global_load_dwordx4 v[14:17], v[19:20], off
	global_load_dwordx2 v[23:24], v[21:22], off
	v_cmp_ge_i32_e32 vcc, v0, v9
	s_or_b64 s[0:1], vcc, s[0:1]
	s_waitcnt vmcnt(0)
	v_fmac_f32_e32 v11, v14, v23
	v_fmac_f32_e32 v12, v16, v23
	;; [unrolled: 1-line block ×4, first 2 shown]
	global_load_dwordx4 v[14:17], v[19:20], off offset:16
	s_waitcnt vmcnt(0)
	v_fmac_f32_e32 v10, v14, v23
	v_fmac_f32_e32 v8, v16, v23
	v_fmac_f32_e32 v10, v15, v24
	v_fmac_f32_e32 v8, v17, v24
	s_andn2_b64 exec, exec, s[0:1]
	s_cbranch_execnz .LBB7_15
; %bb.16:
	s_or_b64 exec, exec, s[0:1]
.LBB7_17:
	s_or_b64 exec, exec, s[6:7]
.LBB7_18:
	v_mov_b32_dpp v0, v11 row_shr:1 row_mask:0xf bank_mask:0xf
	v_mov_b32_dpp v2, v12 row_shr:1 row_mask:0xf bank_mask:0xf
	v_mov_b32_dpp v5, v10 row_shr:1 row_mask:0xf bank_mask:0xf
	v_mov_b32_dpp v9, v8 row_shr:1 row_mask:0xf bank_mask:0xf
	v_add_f32_e32 v0, v11, v0
	v_add_f32_e32 v2, v12, v2
	v_add_f32_e32 v5, v10, v5
	v_add_f32_e32 v8, v8, v9
	v_mov_b32_dpp v1, v0 row_shr:2 row_mask:0xf bank_mask:0xf
	v_mov_b32_dpp v3, v2 row_shr:2 row_mask:0xf bank_mask:0xf
	v_mov_b32_dpp v6, v5 row_shr:2 row_mask:0xf bank_mask:0xf
	v_mov_b32_dpp v9, v8 row_shr:2 row_mask:0xf bank_mask:0xf
	v_add_f32_e32 v0, v0, v1
	v_add_f32_e32 v2, v2, v3
	v_add_f32_e32 v5, v5, v6
	v_add_f32_e32 v8, v8, v9
	;; [unrolled: 8-line block ×3, first 2 shown]
	v_mov_b32_dpp v1, v0 row_shr:8 row_mask:0xf bank_mask:0xc
	v_mov_b32_dpp v3, v2 row_shr:8 row_mask:0xf bank_mask:0xc
	;; [unrolled: 1-line block ×4, first 2 shown]
	v_cmp_eq_u32_e32 vcc, 15, v7
	s_and_b64 exec, exec, vcc
	s_cbranch_execz .LBB7_22
; %bb.19:
	s_load_dwordx2 s[0:1], s[4:5], 0x38
	v_add_f32_e32 v0, v0, v1
	v_add_f32_e32 v1, v2, v3
	;; [unrolled: 1-line block ×4, first 2 shown]
	v_cmp_eq_f32_e64 s[4:5], s2, 0
	s_and_b64 vcc, exec, s[4:5]
	v_mul_f32_e32 v0, s16, v0
	v_mul_f32_e32 v1, s16, v1
	;; [unrolled: 1-line block ×4, first 2 shown]
	v_lshlrev_b32_e32 v4, 2, v4
	s_cbranch_vccz .LBB7_23
; %bb.20:
	v_ashrrev_i32_e32 v5, 31, v4
	v_lshlrev_b64 v[5:6], 2, v[4:5]
	s_waitcnt lgkmcnt(0)
	v_mov_b32_e32 v7, s1
	v_add_co_u32_e32 v5, vcc, s0, v5
	v_addc_co_u32_e32 v6, vcc, v7, v6, vcc
	global_store_dwordx4 v[5:6], v[0:3], off
	s_cbranch_execnz .LBB7_22
.LBB7_21:
	v_ashrrev_i32_e32 v5, 31, v4
	v_lshlrev_b64 v[4:5], 2, v[4:5]
	s_waitcnt lgkmcnt(0)
	v_mov_b32_e32 v6, s1
	v_add_co_u32_e32 v8, vcc, s0, v4
	v_addc_co_u32_e32 v9, vcc, v6, v5, vcc
	global_load_dwordx4 v[4:7], v[8:9], off
	s_waitcnt vmcnt(0)
	v_fmac_f32_e32 v0, s2, v4
	v_fmac_f32_e32 v1, s2, v5
	;; [unrolled: 1-line block ×4, first 2 shown]
	global_store_dwordx4 v[8:9], v[0:3], off
.LBB7_22:
	s_endpgm
.LBB7_23:
	s_branch .LBB7_21
	.section	.rodata,"a",@progbits
	.p2align	6, 0x0
	.amdhsa_kernel _ZN9rocsparseL19gebsrmvn_4xn_kernelILj128ELj2ELj16EfEEvi20rocsparse_direction_NS_24const_host_device_scalarIT2_EEPKiS6_PKS3_S8_S4_PS3_21rocsparse_index_base_b
		.amdhsa_group_segment_fixed_size 0
		.amdhsa_private_segment_fixed_size 0
		.amdhsa_kernarg_size 72
		.amdhsa_user_sgpr_count 6
		.amdhsa_user_sgpr_private_segment_buffer 1
		.amdhsa_user_sgpr_dispatch_ptr 0
		.amdhsa_user_sgpr_queue_ptr 0
		.amdhsa_user_sgpr_kernarg_segment_ptr 1
		.amdhsa_user_sgpr_dispatch_id 0
		.amdhsa_user_sgpr_flat_scratch_init 0
		.amdhsa_user_sgpr_private_segment_size 0
		.amdhsa_uses_dynamic_stack 0
		.amdhsa_system_sgpr_private_segment_wavefront_offset 0
		.amdhsa_system_sgpr_workgroup_id_x 1
		.amdhsa_system_sgpr_workgroup_id_y 0
		.amdhsa_system_sgpr_workgroup_id_z 0
		.amdhsa_system_sgpr_workgroup_info 0
		.amdhsa_system_vgpr_workitem_id 0
		.amdhsa_next_free_vgpr 26
		.amdhsa_next_free_sgpr 20
		.amdhsa_reserve_vcc 1
		.amdhsa_reserve_flat_scratch 0
		.amdhsa_float_round_mode_32 0
		.amdhsa_float_round_mode_16_64 0
		.amdhsa_float_denorm_mode_32 3
		.amdhsa_float_denorm_mode_16_64 3
		.amdhsa_dx10_clamp 1
		.amdhsa_ieee_mode 1
		.amdhsa_fp16_overflow 0
		.amdhsa_exception_fp_ieee_invalid_op 0
		.amdhsa_exception_fp_denorm_src 0
		.amdhsa_exception_fp_ieee_div_zero 0
		.amdhsa_exception_fp_ieee_overflow 0
		.amdhsa_exception_fp_ieee_underflow 0
		.amdhsa_exception_fp_ieee_inexact 0
		.amdhsa_exception_int_div_zero 0
	.end_amdhsa_kernel
	.section	.text._ZN9rocsparseL19gebsrmvn_4xn_kernelILj128ELj2ELj16EfEEvi20rocsparse_direction_NS_24const_host_device_scalarIT2_EEPKiS6_PKS3_S8_S4_PS3_21rocsparse_index_base_b,"axG",@progbits,_ZN9rocsparseL19gebsrmvn_4xn_kernelILj128ELj2ELj16EfEEvi20rocsparse_direction_NS_24const_host_device_scalarIT2_EEPKiS6_PKS3_S8_S4_PS3_21rocsparse_index_base_b,comdat
.Lfunc_end7:
	.size	_ZN9rocsparseL19gebsrmvn_4xn_kernelILj128ELj2ELj16EfEEvi20rocsparse_direction_NS_24const_host_device_scalarIT2_EEPKiS6_PKS3_S8_S4_PS3_21rocsparse_index_base_b, .Lfunc_end7-_ZN9rocsparseL19gebsrmvn_4xn_kernelILj128ELj2ELj16EfEEvi20rocsparse_direction_NS_24const_host_device_scalarIT2_EEPKiS6_PKS3_S8_S4_PS3_21rocsparse_index_base_b
                                        ; -- End function
	.set _ZN9rocsparseL19gebsrmvn_4xn_kernelILj128ELj2ELj16EfEEvi20rocsparse_direction_NS_24const_host_device_scalarIT2_EEPKiS6_PKS3_S8_S4_PS3_21rocsparse_index_base_b.num_vgpr, 26
	.set _ZN9rocsparseL19gebsrmvn_4xn_kernelILj128ELj2ELj16EfEEvi20rocsparse_direction_NS_24const_host_device_scalarIT2_EEPKiS6_PKS3_S8_S4_PS3_21rocsparse_index_base_b.num_agpr, 0
	.set _ZN9rocsparseL19gebsrmvn_4xn_kernelILj128ELj2ELj16EfEEvi20rocsparse_direction_NS_24const_host_device_scalarIT2_EEPKiS6_PKS3_S8_S4_PS3_21rocsparse_index_base_b.numbered_sgpr, 20
	.set _ZN9rocsparseL19gebsrmvn_4xn_kernelILj128ELj2ELj16EfEEvi20rocsparse_direction_NS_24const_host_device_scalarIT2_EEPKiS6_PKS3_S8_S4_PS3_21rocsparse_index_base_b.num_named_barrier, 0
	.set _ZN9rocsparseL19gebsrmvn_4xn_kernelILj128ELj2ELj16EfEEvi20rocsparse_direction_NS_24const_host_device_scalarIT2_EEPKiS6_PKS3_S8_S4_PS3_21rocsparse_index_base_b.private_seg_size, 0
	.set _ZN9rocsparseL19gebsrmvn_4xn_kernelILj128ELj2ELj16EfEEvi20rocsparse_direction_NS_24const_host_device_scalarIT2_EEPKiS6_PKS3_S8_S4_PS3_21rocsparse_index_base_b.uses_vcc, 1
	.set _ZN9rocsparseL19gebsrmvn_4xn_kernelILj128ELj2ELj16EfEEvi20rocsparse_direction_NS_24const_host_device_scalarIT2_EEPKiS6_PKS3_S8_S4_PS3_21rocsparse_index_base_b.uses_flat_scratch, 0
	.set _ZN9rocsparseL19gebsrmvn_4xn_kernelILj128ELj2ELj16EfEEvi20rocsparse_direction_NS_24const_host_device_scalarIT2_EEPKiS6_PKS3_S8_S4_PS3_21rocsparse_index_base_b.has_dyn_sized_stack, 0
	.set _ZN9rocsparseL19gebsrmvn_4xn_kernelILj128ELj2ELj16EfEEvi20rocsparse_direction_NS_24const_host_device_scalarIT2_EEPKiS6_PKS3_S8_S4_PS3_21rocsparse_index_base_b.has_recursion, 0
	.set _ZN9rocsparseL19gebsrmvn_4xn_kernelILj128ELj2ELj16EfEEvi20rocsparse_direction_NS_24const_host_device_scalarIT2_EEPKiS6_PKS3_S8_S4_PS3_21rocsparse_index_base_b.has_indirect_call, 0
	.section	.AMDGPU.csdata,"",@progbits
; Kernel info:
; codeLenInByte = 1072
; TotalNumSgprs: 24
; NumVgprs: 26
; ScratchSize: 0
; MemoryBound: 0
; FloatMode: 240
; IeeeMode: 1
; LDSByteSize: 0 bytes/workgroup (compile time only)
; SGPRBlocks: 2
; VGPRBlocks: 6
; NumSGPRsForWavesPerEU: 24
; NumVGPRsForWavesPerEU: 26
; Occupancy: 9
; WaveLimiterHint : 1
; COMPUTE_PGM_RSRC2:SCRATCH_EN: 0
; COMPUTE_PGM_RSRC2:USER_SGPR: 6
; COMPUTE_PGM_RSRC2:TRAP_HANDLER: 0
; COMPUTE_PGM_RSRC2:TGID_X_EN: 1
; COMPUTE_PGM_RSRC2:TGID_Y_EN: 0
; COMPUTE_PGM_RSRC2:TGID_Z_EN: 0
; COMPUTE_PGM_RSRC2:TIDIG_COMP_CNT: 0
	.section	.text._ZN9rocsparseL19gebsrmvn_4xn_kernelILj128ELj2ELj32EfEEvi20rocsparse_direction_NS_24const_host_device_scalarIT2_EEPKiS6_PKS3_S8_S4_PS3_21rocsparse_index_base_b,"axG",@progbits,_ZN9rocsparseL19gebsrmvn_4xn_kernelILj128ELj2ELj32EfEEvi20rocsparse_direction_NS_24const_host_device_scalarIT2_EEPKiS6_PKS3_S8_S4_PS3_21rocsparse_index_base_b,comdat
	.globl	_ZN9rocsparseL19gebsrmvn_4xn_kernelILj128ELj2ELj32EfEEvi20rocsparse_direction_NS_24const_host_device_scalarIT2_EEPKiS6_PKS3_S8_S4_PS3_21rocsparse_index_base_b ; -- Begin function _ZN9rocsparseL19gebsrmvn_4xn_kernelILj128ELj2ELj32EfEEvi20rocsparse_direction_NS_24const_host_device_scalarIT2_EEPKiS6_PKS3_S8_S4_PS3_21rocsparse_index_base_b
	.p2align	8
	.type	_ZN9rocsparseL19gebsrmvn_4xn_kernelILj128ELj2ELj32EfEEvi20rocsparse_direction_NS_24const_host_device_scalarIT2_EEPKiS6_PKS3_S8_S4_PS3_21rocsparse_index_base_b,@function
_ZN9rocsparseL19gebsrmvn_4xn_kernelILj128ELj2ELj32EfEEvi20rocsparse_direction_NS_24const_host_device_scalarIT2_EEPKiS6_PKS3_S8_S4_PS3_21rocsparse_index_base_b: ; @_ZN9rocsparseL19gebsrmvn_4xn_kernelILj128ELj2ELj32EfEEvi20rocsparse_direction_NS_24const_host_device_scalarIT2_EEPKiS6_PKS3_S8_S4_PS3_21rocsparse_index_base_b
; %bb.0:
	s_load_dwordx2 s[18:19], s[4:5], 0x40
	s_load_dwordx2 s[16:17], s[4:5], 0x8
	;; [unrolled: 1-line block ×3, first 2 shown]
	s_waitcnt lgkmcnt(0)
	s_bitcmp1_b32 s19, 0
	s_cselect_b64 s[8:9], -1, 0
	s_xor_b64 s[0:1], s[8:9], -1
	s_and_b64 vcc, exec, s[8:9]
	s_cbranch_vccnz .LBB8_2
; %bb.1:
	s_load_dword s16, s[16:17], 0x0
.LBB8_2:
	s_andn2_b64 vcc, exec, s[0:1]
	s_cbranch_vccnz .LBB8_4
; %bb.3:
	s_load_dword s2, s[2:3], 0x0
.LBB8_4:
	s_waitcnt lgkmcnt(0)
	v_cmp_eq_f32_e64 s[0:1], s16, 0
	v_cmp_eq_f32_e64 s[8:9], s2, 1.0
	s_and_b64 s[0:1], s[0:1], s[8:9]
	s_and_b64 vcc, exec, s[0:1]
	s_cbranch_vccnz .LBB8_22
; %bb.5:
	s_load_dwordx2 s[0:1], s[4:5], 0x0
	v_lshrrev_b32_e32 v1, 5, v0
	v_lshl_or_b32 v4, s6, 2, v1
	s_waitcnt lgkmcnt(0)
	v_cmp_gt_i32_e32 vcc, s0, v4
	s_and_saveexec_b64 s[6:7], vcc
	s_cbranch_execz .LBB8_22
; %bb.6:
	s_load_dwordx8 s[8:15], s[4:5], 0x10
	v_ashrrev_i32_e32 v5, 31, v4
	v_lshlrev_b64 v[1:2], 2, v[4:5]
	v_and_b32_e32 v7, 31, v0
	s_cmp_lg_u32 s1, 0
	s_waitcnt lgkmcnt(0)
	v_mov_b32_e32 v3, s9
	v_add_co_u32_e32 v1, vcc, s8, v1
	v_addc_co_u32_e32 v2, vcc, v3, v2, vcc
	global_load_dwordx2 v[1:2], v[1:2], off
	s_waitcnt vmcnt(0)
	v_subrev_u32_e32 v0, s18, v1
	v_subrev_u32_e32 v10, s18, v2
	v_add_u32_e32 v0, v0, v7
	v_cmp_lt_i32_e64 s[0:1], v0, v10
	s_cbranch_scc0 .LBB8_12
; %bb.7:
	v_mov_b32_e32 v11, 0
	v_mov_b32_e32 v8, 0
	v_mov_b32_e32 v9, 0
	v_mov_b32_e32 v12, 0
	s_and_saveexec_b64 s[6:7], s[0:1]
	s_cbranch_execz .LBB8_11
; %bb.8:
	v_mov_b32_e32 v2, 0
	v_lshlrev_b32_e32 v1, 3, v0
	s_mov_b64 s[8:9], 0
	v_mov_b32_e32 v3, s11
	v_mov_b32_e32 v13, s13
	;; [unrolled: 1-line block ×8, first 2 shown]
.LBB8_9:                                ; =>This Inner Loop Header: Depth=1
	v_lshlrev_b64 v[15:16], 2, v[1:2]
	v_ashrrev_i32_e32 v6, 31, v5
	v_lshlrev_b64 v[18:19], 2, v[5:6]
	v_add_co_u32_e32 v20, vcc, s12, v15
	v_addc_co_u32_e32 v21, vcc, v13, v16, vcc
	v_add_co_u32_e32 v15, vcc, s10, v18
	v_addc_co_u32_e32 v16, vcc, v3, v19, vcc
	global_load_dword v6, v[15:16], off
	v_mov_b32_e32 v17, v2
	v_add_u32_e32 v5, 32, v5
	v_add_u32_e32 v1, 0x100, v1
	s_waitcnt vmcnt(0)
	v_subrev_u32_e32 v6, s18, v6
	v_lshlrev_b32_e32 v16, 1, v6
	v_lshlrev_b64 v[15:16], 2, v[16:17]
	v_add_co_u32_e32 v22, vcc, s14, v15
	v_addc_co_u32_e32 v23, vcc, v14, v16, vcc
	global_load_dwordx4 v[15:18], v[20:21], off
	global_load_dwordx2 v[24:25], v[22:23], off
	v_cmp_ge_i32_e32 vcc, v5, v10
	s_or_b64 s[8:9], vcc, s[8:9]
	s_waitcnt vmcnt(0)
	v_fmac_f32_e32 v11, v15, v24
	v_fmac_f32_e32 v12, v16, v24
	;; [unrolled: 1-line block ×4, first 2 shown]
	global_load_dwordx4 v[15:18], v[20:21], off offset:16
	s_waitcnt vmcnt(0)
	v_fmac_f32_e32 v11, v15, v25
	v_fmac_f32_e32 v12, v16, v25
	;; [unrolled: 1-line block ×4, first 2 shown]
	s_andn2_b64 exec, exec, s[8:9]
	s_cbranch_execnz .LBB8_9
; %bb.10:
	s_or_b64 exec, exec, s[8:9]
.LBB8_11:
	s_or_b64 exec, exec, s[6:7]
	s_cbranch_execz .LBB8_13
	s_branch .LBB8_18
.LBB8_12:
                                        ; implicit-def: $vgpr11
                                        ; implicit-def: $vgpr8
                                        ; implicit-def: $vgpr9
                                        ; implicit-def: $vgpr12
.LBB8_13:
	v_mov_b32_e32 v11, 0
	v_mov_b32_e32 v8, 0
	v_mov_b32_e32 v9, 0
	v_mov_b32_e32 v12, 0
	s_and_saveexec_b64 s[6:7], s[0:1]
	s_cbranch_execz .LBB8_17
; %bb.14:
	v_mov_b32_e32 v3, 0
	v_lshlrev_b32_e32 v2, 3, v0
	s_mov_b64 s[0:1], 0
	v_mov_b32_e32 v5, s11
	v_mov_b32_e32 v6, s13
	;; [unrolled: 1-line block ×7, first 2 shown]
.LBB8_15:                               ; =>This Inner Loop Header: Depth=1
	v_lshlrev_b64 v[14:15], 2, v[2:3]
	v_ashrrev_i32_e32 v1, 31, v0
	v_lshlrev_b64 v[17:18], 2, v[0:1]
	v_add_co_u32_e32 v19, vcc, s12, v14
	v_addc_co_u32_e32 v20, vcc, v6, v15, vcc
	v_add_co_u32_e32 v14, vcc, s10, v17
	v_addc_co_u32_e32 v15, vcc, v5, v18, vcc
	global_load_dword v1, v[14:15], off
	v_mov_b32_e32 v16, v3
	v_add_u32_e32 v0, 32, v0
	v_add_u32_e32 v2, 0x100, v2
	s_waitcnt vmcnt(0)
	v_subrev_u32_e32 v1, s18, v1
	v_lshlrev_b32_e32 v15, 1, v1
	v_lshlrev_b64 v[14:15], 2, v[15:16]
	v_add_co_u32_e32 v21, vcc, s14, v14
	v_addc_co_u32_e32 v22, vcc, v13, v15, vcc
	global_load_dwordx4 v[14:17], v[19:20], off
	global_load_dwordx2 v[23:24], v[21:22], off
	v_cmp_ge_i32_e32 vcc, v0, v10
	s_or_b64 s[0:1], vcc, s[0:1]
	s_waitcnt vmcnt(0)
	v_fmac_f32_e32 v11, v14, v23
	v_fmac_f32_e32 v12, v16, v23
	;; [unrolled: 1-line block ×4, first 2 shown]
	global_load_dwordx4 v[14:17], v[19:20], off offset:16
	s_waitcnt vmcnt(0)
	v_fmac_f32_e32 v9, v14, v23
	v_fmac_f32_e32 v8, v16, v23
	;; [unrolled: 1-line block ×4, first 2 shown]
	s_andn2_b64 exec, exec, s[0:1]
	s_cbranch_execnz .LBB8_15
; %bb.16:
	s_or_b64 exec, exec, s[0:1]
.LBB8_17:
	s_or_b64 exec, exec, s[6:7]
.LBB8_18:
	v_mov_b32_dpp v5, v9 row_shr:1 row_mask:0xf bank_mask:0xf
	v_mov_b32_dpp v0, v11 row_shr:1 row_mask:0xf bank_mask:0xf
	;; [unrolled: 1-line block ×3, first 2 shown]
	v_add_f32_e32 v5, v9, v5
	v_mov_b32_dpp v9, v8 row_shr:1 row_mask:0xf bank_mask:0xf
	v_add_f32_e32 v0, v11, v0
	v_add_f32_e32 v2, v12, v2
	v_add_f32_e32 v8, v8, v9
	v_mov_b32_dpp v1, v0 row_shr:2 row_mask:0xf bank_mask:0xf
	v_mov_b32_dpp v3, v2 row_shr:2 row_mask:0xf bank_mask:0xf
	v_mov_b32_dpp v6, v5 row_shr:2 row_mask:0xf bank_mask:0xf
	v_mov_b32_dpp v9, v8 row_shr:2 row_mask:0xf bank_mask:0xf
	v_add_f32_e32 v0, v0, v1
	v_add_f32_e32 v2, v2, v3
	v_add_f32_e32 v5, v5, v6
	v_add_f32_e32 v8, v8, v9
	v_mov_b32_dpp v1, v0 row_shr:4 row_mask:0xf bank_mask:0xe
	v_mov_b32_dpp v3, v2 row_shr:4 row_mask:0xf bank_mask:0xe
	v_mov_b32_dpp v6, v5 row_shr:4 row_mask:0xf bank_mask:0xe
	v_mov_b32_dpp v9, v8 row_shr:4 row_mask:0xf bank_mask:0xe
	v_add_f32_e32 v0, v0, v1
	;; [unrolled: 8-line block ×3, first 2 shown]
	v_add_f32_e32 v2, v2, v3
	v_add_f32_e32 v5, v5, v6
	;; [unrolled: 1-line block ×3, first 2 shown]
	v_mov_b32_dpp v1, v0 row_bcast:15 row_mask:0xa bank_mask:0xf
	v_mov_b32_dpp v3, v2 row_bcast:15 row_mask:0xa bank_mask:0xf
	;; [unrolled: 1-line block ×4, first 2 shown]
	v_cmp_eq_u32_e32 vcc, 31, v7
	s_and_b64 exec, exec, vcc
	s_cbranch_execz .LBB8_22
; %bb.19:
	s_load_dwordx2 s[0:1], s[4:5], 0x38
	v_add_f32_e32 v0, v0, v1
	v_add_f32_e32 v1, v2, v3
	;; [unrolled: 1-line block ×4, first 2 shown]
	v_cmp_eq_f32_e64 s[4:5], s2, 0
	s_and_b64 vcc, exec, s[4:5]
	v_mul_f32_e32 v0, s16, v0
	v_mul_f32_e32 v1, s16, v1
	;; [unrolled: 1-line block ×4, first 2 shown]
	v_lshlrev_b32_e32 v4, 2, v4
	s_cbranch_vccz .LBB8_23
; %bb.20:
	v_ashrrev_i32_e32 v5, 31, v4
	v_lshlrev_b64 v[5:6], 2, v[4:5]
	s_waitcnt lgkmcnt(0)
	v_mov_b32_e32 v7, s1
	v_add_co_u32_e32 v5, vcc, s0, v5
	v_addc_co_u32_e32 v6, vcc, v7, v6, vcc
	global_store_dwordx4 v[5:6], v[0:3], off
	s_cbranch_execnz .LBB8_22
.LBB8_21:
	v_ashrrev_i32_e32 v5, 31, v4
	v_lshlrev_b64 v[4:5], 2, v[4:5]
	s_waitcnt lgkmcnt(0)
	v_mov_b32_e32 v6, s1
	v_add_co_u32_e32 v8, vcc, s0, v4
	v_addc_co_u32_e32 v9, vcc, v6, v5, vcc
	global_load_dwordx4 v[4:7], v[8:9], off
	s_waitcnt vmcnt(0)
	v_fmac_f32_e32 v0, s2, v4
	v_fmac_f32_e32 v1, s2, v5
	;; [unrolled: 1-line block ×4, first 2 shown]
	global_store_dwordx4 v[8:9], v[0:3], off
.LBB8_22:
	s_endpgm
.LBB8_23:
	s_branch .LBB8_21
	.section	.rodata,"a",@progbits
	.p2align	6, 0x0
	.amdhsa_kernel _ZN9rocsparseL19gebsrmvn_4xn_kernelILj128ELj2ELj32EfEEvi20rocsparse_direction_NS_24const_host_device_scalarIT2_EEPKiS6_PKS3_S8_S4_PS3_21rocsparse_index_base_b
		.amdhsa_group_segment_fixed_size 0
		.amdhsa_private_segment_fixed_size 0
		.amdhsa_kernarg_size 72
		.amdhsa_user_sgpr_count 6
		.amdhsa_user_sgpr_private_segment_buffer 1
		.amdhsa_user_sgpr_dispatch_ptr 0
		.amdhsa_user_sgpr_queue_ptr 0
		.amdhsa_user_sgpr_kernarg_segment_ptr 1
		.amdhsa_user_sgpr_dispatch_id 0
		.amdhsa_user_sgpr_flat_scratch_init 0
		.amdhsa_user_sgpr_private_segment_size 0
		.amdhsa_uses_dynamic_stack 0
		.amdhsa_system_sgpr_private_segment_wavefront_offset 0
		.amdhsa_system_sgpr_workgroup_id_x 1
		.amdhsa_system_sgpr_workgroup_id_y 0
		.amdhsa_system_sgpr_workgroup_id_z 0
		.amdhsa_system_sgpr_workgroup_info 0
		.amdhsa_system_vgpr_workitem_id 0
		.amdhsa_next_free_vgpr 26
		.amdhsa_next_free_sgpr 20
		.amdhsa_reserve_vcc 1
		.amdhsa_reserve_flat_scratch 0
		.amdhsa_float_round_mode_32 0
		.amdhsa_float_round_mode_16_64 0
		.amdhsa_float_denorm_mode_32 3
		.amdhsa_float_denorm_mode_16_64 3
		.amdhsa_dx10_clamp 1
		.amdhsa_ieee_mode 1
		.amdhsa_fp16_overflow 0
		.amdhsa_exception_fp_ieee_invalid_op 0
		.amdhsa_exception_fp_denorm_src 0
		.amdhsa_exception_fp_ieee_div_zero 0
		.amdhsa_exception_fp_ieee_overflow 0
		.amdhsa_exception_fp_ieee_underflow 0
		.amdhsa_exception_fp_ieee_inexact 0
		.amdhsa_exception_int_div_zero 0
	.end_amdhsa_kernel
	.section	.text._ZN9rocsparseL19gebsrmvn_4xn_kernelILj128ELj2ELj32EfEEvi20rocsparse_direction_NS_24const_host_device_scalarIT2_EEPKiS6_PKS3_S8_S4_PS3_21rocsparse_index_base_b,"axG",@progbits,_ZN9rocsparseL19gebsrmvn_4xn_kernelILj128ELj2ELj32EfEEvi20rocsparse_direction_NS_24const_host_device_scalarIT2_EEPKiS6_PKS3_S8_S4_PS3_21rocsparse_index_base_b,comdat
.Lfunc_end8:
	.size	_ZN9rocsparseL19gebsrmvn_4xn_kernelILj128ELj2ELj32EfEEvi20rocsparse_direction_NS_24const_host_device_scalarIT2_EEPKiS6_PKS3_S8_S4_PS3_21rocsparse_index_base_b, .Lfunc_end8-_ZN9rocsparseL19gebsrmvn_4xn_kernelILj128ELj2ELj32EfEEvi20rocsparse_direction_NS_24const_host_device_scalarIT2_EEPKiS6_PKS3_S8_S4_PS3_21rocsparse_index_base_b
                                        ; -- End function
	.set _ZN9rocsparseL19gebsrmvn_4xn_kernelILj128ELj2ELj32EfEEvi20rocsparse_direction_NS_24const_host_device_scalarIT2_EEPKiS6_PKS3_S8_S4_PS3_21rocsparse_index_base_b.num_vgpr, 26
	.set _ZN9rocsparseL19gebsrmvn_4xn_kernelILj128ELj2ELj32EfEEvi20rocsparse_direction_NS_24const_host_device_scalarIT2_EEPKiS6_PKS3_S8_S4_PS3_21rocsparse_index_base_b.num_agpr, 0
	.set _ZN9rocsparseL19gebsrmvn_4xn_kernelILj128ELj2ELj32EfEEvi20rocsparse_direction_NS_24const_host_device_scalarIT2_EEPKiS6_PKS3_S8_S4_PS3_21rocsparse_index_base_b.numbered_sgpr, 20
	.set _ZN9rocsparseL19gebsrmvn_4xn_kernelILj128ELj2ELj32EfEEvi20rocsparse_direction_NS_24const_host_device_scalarIT2_EEPKiS6_PKS3_S8_S4_PS3_21rocsparse_index_base_b.num_named_barrier, 0
	.set _ZN9rocsparseL19gebsrmvn_4xn_kernelILj128ELj2ELj32EfEEvi20rocsparse_direction_NS_24const_host_device_scalarIT2_EEPKiS6_PKS3_S8_S4_PS3_21rocsparse_index_base_b.private_seg_size, 0
	.set _ZN9rocsparseL19gebsrmvn_4xn_kernelILj128ELj2ELj32EfEEvi20rocsparse_direction_NS_24const_host_device_scalarIT2_EEPKiS6_PKS3_S8_S4_PS3_21rocsparse_index_base_b.uses_vcc, 1
	.set _ZN9rocsparseL19gebsrmvn_4xn_kernelILj128ELj2ELj32EfEEvi20rocsparse_direction_NS_24const_host_device_scalarIT2_EEPKiS6_PKS3_S8_S4_PS3_21rocsparse_index_base_b.uses_flat_scratch, 0
	.set _ZN9rocsparseL19gebsrmvn_4xn_kernelILj128ELj2ELj32EfEEvi20rocsparse_direction_NS_24const_host_device_scalarIT2_EEPKiS6_PKS3_S8_S4_PS3_21rocsparse_index_base_b.has_dyn_sized_stack, 0
	.set _ZN9rocsparseL19gebsrmvn_4xn_kernelILj128ELj2ELj32EfEEvi20rocsparse_direction_NS_24const_host_device_scalarIT2_EEPKiS6_PKS3_S8_S4_PS3_21rocsparse_index_base_b.has_recursion, 0
	.set _ZN9rocsparseL19gebsrmvn_4xn_kernelILj128ELj2ELj32EfEEvi20rocsparse_direction_NS_24const_host_device_scalarIT2_EEPKiS6_PKS3_S8_S4_PS3_21rocsparse_index_base_b.has_indirect_call, 0
	.section	.AMDGPU.csdata,"",@progbits
; Kernel info:
; codeLenInByte = 1120
; TotalNumSgprs: 24
; NumVgprs: 26
; ScratchSize: 0
; MemoryBound: 0
; FloatMode: 240
; IeeeMode: 1
; LDSByteSize: 0 bytes/workgroup (compile time only)
; SGPRBlocks: 2
; VGPRBlocks: 6
; NumSGPRsForWavesPerEU: 24
; NumVGPRsForWavesPerEU: 26
; Occupancy: 9
; WaveLimiterHint : 1
; COMPUTE_PGM_RSRC2:SCRATCH_EN: 0
; COMPUTE_PGM_RSRC2:USER_SGPR: 6
; COMPUTE_PGM_RSRC2:TRAP_HANDLER: 0
; COMPUTE_PGM_RSRC2:TGID_X_EN: 1
; COMPUTE_PGM_RSRC2:TGID_Y_EN: 0
; COMPUTE_PGM_RSRC2:TGID_Z_EN: 0
; COMPUTE_PGM_RSRC2:TIDIG_COMP_CNT: 0
	.section	.text._ZN9rocsparseL19gebsrmvn_4xn_kernelILj128ELj2ELj64EfEEvi20rocsparse_direction_NS_24const_host_device_scalarIT2_EEPKiS6_PKS3_S8_S4_PS3_21rocsparse_index_base_b,"axG",@progbits,_ZN9rocsparseL19gebsrmvn_4xn_kernelILj128ELj2ELj64EfEEvi20rocsparse_direction_NS_24const_host_device_scalarIT2_EEPKiS6_PKS3_S8_S4_PS3_21rocsparse_index_base_b,comdat
	.globl	_ZN9rocsparseL19gebsrmvn_4xn_kernelILj128ELj2ELj64EfEEvi20rocsparse_direction_NS_24const_host_device_scalarIT2_EEPKiS6_PKS3_S8_S4_PS3_21rocsparse_index_base_b ; -- Begin function _ZN9rocsparseL19gebsrmvn_4xn_kernelILj128ELj2ELj64EfEEvi20rocsparse_direction_NS_24const_host_device_scalarIT2_EEPKiS6_PKS3_S8_S4_PS3_21rocsparse_index_base_b
	.p2align	8
	.type	_ZN9rocsparseL19gebsrmvn_4xn_kernelILj128ELj2ELj64EfEEvi20rocsparse_direction_NS_24const_host_device_scalarIT2_EEPKiS6_PKS3_S8_S4_PS3_21rocsparse_index_base_b,@function
_ZN9rocsparseL19gebsrmvn_4xn_kernelILj128ELj2ELj64EfEEvi20rocsparse_direction_NS_24const_host_device_scalarIT2_EEPKiS6_PKS3_S8_S4_PS3_21rocsparse_index_base_b: ; @_ZN9rocsparseL19gebsrmvn_4xn_kernelILj128ELj2ELj64EfEEvi20rocsparse_direction_NS_24const_host_device_scalarIT2_EEPKiS6_PKS3_S8_S4_PS3_21rocsparse_index_base_b
; %bb.0:
	s_load_dwordx2 s[18:19], s[4:5], 0x40
	s_load_dwordx2 s[16:17], s[4:5], 0x8
	;; [unrolled: 1-line block ×3, first 2 shown]
	s_waitcnt lgkmcnt(0)
	s_bitcmp1_b32 s19, 0
	s_cselect_b64 s[8:9], -1, 0
	s_xor_b64 s[0:1], s[8:9], -1
	s_and_b64 vcc, exec, s[8:9]
	s_cbranch_vccnz .LBB9_2
; %bb.1:
	s_load_dword s16, s[16:17], 0x0
.LBB9_2:
	s_andn2_b64 vcc, exec, s[0:1]
	s_cbranch_vccnz .LBB9_4
; %bb.3:
	s_load_dword s2, s[2:3], 0x0
.LBB9_4:
	s_waitcnt lgkmcnt(0)
	v_cmp_eq_f32_e64 s[0:1], s16, 0
	v_cmp_eq_f32_e64 s[8:9], s2, 1.0
	s_and_b64 s[0:1], s[0:1], s[8:9]
	s_and_b64 vcc, exec, s[0:1]
	s_cbranch_vccnz .LBB9_22
; %bb.5:
	s_load_dwordx2 s[0:1], s[4:5], 0x0
	v_lshrrev_b32_e32 v1, 6, v0
	v_lshl_or_b32 v4, s6, 1, v1
	s_waitcnt lgkmcnt(0)
	v_cmp_gt_i32_e32 vcc, s0, v4
	s_and_saveexec_b64 s[6:7], vcc
	s_cbranch_execz .LBB9_22
; %bb.6:
	s_load_dwordx8 s[8:15], s[4:5], 0x10
	v_ashrrev_i32_e32 v5, 31, v4
	v_lshlrev_b64 v[1:2], 2, v[4:5]
	v_and_b32_e32 v7, 63, v0
	s_cmp_lg_u32 s1, 0
	s_waitcnt lgkmcnt(0)
	v_mov_b32_e32 v3, s9
	v_add_co_u32_e32 v1, vcc, s8, v1
	v_addc_co_u32_e32 v2, vcc, v3, v2, vcc
	global_load_dwordx2 v[1:2], v[1:2], off
	s_waitcnt vmcnt(0)
	v_subrev_u32_e32 v0, s18, v1
	v_subrev_u32_e32 v10, s18, v2
	v_add_u32_e32 v0, v0, v7
	v_cmp_lt_i32_e64 s[0:1], v0, v10
	s_cbranch_scc0 .LBB9_12
; %bb.7:
	v_mov_b32_e32 v11, 0
	v_mov_b32_e32 v8, 0
	;; [unrolled: 1-line block ×4, first 2 shown]
	s_and_saveexec_b64 s[6:7], s[0:1]
	s_cbranch_execz .LBB9_11
; %bb.8:
	v_mov_b32_e32 v2, 0
	v_lshlrev_b32_e32 v1, 3, v0
	s_mov_b64 s[8:9], 0
	v_mov_b32_e32 v3, s11
	v_mov_b32_e32 v13, s13
	;; [unrolled: 1-line block ×8, first 2 shown]
.LBB9_9:                                ; =>This Inner Loop Header: Depth=1
	v_lshlrev_b64 v[15:16], 2, v[1:2]
	v_ashrrev_i32_e32 v6, 31, v5
	v_lshlrev_b64 v[18:19], 2, v[5:6]
	v_add_co_u32_e32 v20, vcc, s12, v15
	v_addc_co_u32_e32 v21, vcc, v13, v16, vcc
	v_add_co_u32_e32 v15, vcc, s10, v18
	v_addc_co_u32_e32 v16, vcc, v3, v19, vcc
	global_load_dword v6, v[15:16], off
	v_mov_b32_e32 v17, v2
	v_add_u32_e32 v5, 64, v5
	v_add_u32_e32 v1, 0x200, v1
	s_waitcnt vmcnt(0)
	v_subrev_u32_e32 v6, s18, v6
	v_lshlrev_b32_e32 v16, 1, v6
	v_lshlrev_b64 v[15:16], 2, v[16:17]
	v_add_co_u32_e32 v22, vcc, s14, v15
	v_addc_co_u32_e32 v23, vcc, v14, v16, vcc
	global_load_dwordx4 v[15:18], v[20:21], off
	global_load_dwordx2 v[24:25], v[22:23], off
	v_cmp_ge_i32_e32 vcc, v5, v10
	s_or_b64 s[8:9], vcc, s[8:9]
	s_waitcnt vmcnt(0)
	v_fmac_f32_e32 v11, v15, v24
	v_fmac_f32_e32 v12, v16, v24
	;; [unrolled: 1-line block ×4, first 2 shown]
	global_load_dwordx4 v[15:18], v[20:21], off offset:16
	s_waitcnt vmcnt(0)
	v_fmac_f32_e32 v11, v15, v25
	v_fmac_f32_e32 v12, v16, v25
	;; [unrolled: 1-line block ×4, first 2 shown]
	s_andn2_b64 exec, exec, s[8:9]
	s_cbranch_execnz .LBB9_9
; %bb.10:
	s_or_b64 exec, exec, s[8:9]
.LBB9_11:
	s_or_b64 exec, exec, s[6:7]
	s_cbranch_execz .LBB9_13
	s_branch .LBB9_18
.LBB9_12:
                                        ; implicit-def: $vgpr11
                                        ; implicit-def: $vgpr8
                                        ; implicit-def: $vgpr9
                                        ; implicit-def: $vgpr12
.LBB9_13:
	v_mov_b32_e32 v11, 0
	v_mov_b32_e32 v8, 0
	v_mov_b32_e32 v9, 0
	v_mov_b32_e32 v12, 0
	s_and_saveexec_b64 s[6:7], s[0:1]
	s_cbranch_execz .LBB9_17
; %bb.14:
	v_mov_b32_e32 v3, 0
	v_lshlrev_b32_e32 v2, 3, v0
	s_mov_b64 s[0:1], 0
	v_mov_b32_e32 v5, s11
	v_mov_b32_e32 v6, s13
	;; [unrolled: 1-line block ×7, first 2 shown]
.LBB9_15:                               ; =>This Inner Loop Header: Depth=1
	v_lshlrev_b64 v[14:15], 2, v[2:3]
	v_ashrrev_i32_e32 v1, 31, v0
	v_lshlrev_b64 v[17:18], 2, v[0:1]
	v_add_co_u32_e32 v19, vcc, s12, v14
	v_addc_co_u32_e32 v20, vcc, v6, v15, vcc
	v_add_co_u32_e32 v14, vcc, s10, v17
	v_addc_co_u32_e32 v15, vcc, v5, v18, vcc
	global_load_dword v1, v[14:15], off
	v_mov_b32_e32 v16, v3
	v_add_u32_e32 v0, 64, v0
	v_add_u32_e32 v2, 0x200, v2
	s_waitcnt vmcnt(0)
	v_subrev_u32_e32 v1, s18, v1
	v_lshlrev_b32_e32 v15, 1, v1
	v_lshlrev_b64 v[14:15], 2, v[15:16]
	v_add_co_u32_e32 v21, vcc, s14, v14
	v_addc_co_u32_e32 v22, vcc, v13, v15, vcc
	global_load_dwordx4 v[14:17], v[19:20], off
	global_load_dwordx2 v[23:24], v[21:22], off
	v_cmp_ge_i32_e32 vcc, v0, v10
	s_or_b64 s[0:1], vcc, s[0:1]
	s_waitcnt vmcnt(0)
	v_fmac_f32_e32 v11, v14, v23
	v_fmac_f32_e32 v12, v16, v23
	;; [unrolled: 1-line block ×4, first 2 shown]
	global_load_dwordx4 v[14:17], v[19:20], off offset:16
	s_waitcnt vmcnt(0)
	v_fmac_f32_e32 v9, v14, v23
	v_fmac_f32_e32 v8, v16, v23
	;; [unrolled: 1-line block ×4, first 2 shown]
	s_andn2_b64 exec, exec, s[0:1]
	s_cbranch_execnz .LBB9_15
; %bb.16:
	s_or_b64 exec, exec, s[0:1]
.LBB9_17:
	s_or_b64 exec, exec, s[6:7]
.LBB9_18:
	v_mov_b32_dpp v5, v9 row_shr:1 row_mask:0xf bank_mask:0xf
	v_mov_b32_dpp v0, v11 row_shr:1 row_mask:0xf bank_mask:0xf
	;; [unrolled: 1-line block ×3, first 2 shown]
	v_add_f32_e32 v5, v9, v5
	v_mov_b32_dpp v9, v8 row_shr:1 row_mask:0xf bank_mask:0xf
	v_add_f32_e32 v0, v11, v0
	v_add_f32_e32 v2, v12, v2
	v_add_f32_e32 v8, v8, v9
	v_mov_b32_dpp v1, v0 row_shr:2 row_mask:0xf bank_mask:0xf
	v_mov_b32_dpp v3, v2 row_shr:2 row_mask:0xf bank_mask:0xf
	v_mov_b32_dpp v6, v5 row_shr:2 row_mask:0xf bank_mask:0xf
	v_mov_b32_dpp v9, v8 row_shr:2 row_mask:0xf bank_mask:0xf
	v_add_f32_e32 v0, v0, v1
	v_add_f32_e32 v2, v2, v3
	v_add_f32_e32 v5, v5, v6
	v_add_f32_e32 v8, v8, v9
	v_mov_b32_dpp v1, v0 row_shr:4 row_mask:0xf bank_mask:0xe
	v_mov_b32_dpp v3, v2 row_shr:4 row_mask:0xf bank_mask:0xe
	v_mov_b32_dpp v6, v5 row_shr:4 row_mask:0xf bank_mask:0xe
	v_mov_b32_dpp v9, v8 row_shr:4 row_mask:0xf bank_mask:0xe
	v_add_f32_e32 v0, v0, v1
	;; [unrolled: 8-line block ×3, first 2 shown]
	v_add_f32_e32 v2, v2, v3
	v_add_f32_e32 v5, v5, v6
	;; [unrolled: 1-line block ×3, first 2 shown]
	v_mov_b32_dpp v1, v0 row_bcast:15 row_mask:0xa bank_mask:0xf
	v_mov_b32_dpp v3, v2 row_bcast:15 row_mask:0xa bank_mask:0xf
	;; [unrolled: 1-line block ×4, first 2 shown]
	v_add_f32_e32 v0, v0, v1
	v_add_f32_e32 v2, v2, v3
	;; [unrolled: 1-line block ×4, first 2 shown]
	v_mov_b32_dpp v1, v0 row_bcast:31 row_mask:0xc bank_mask:0xf
	v_mov_b32_dpp v3, v2 row_bcast:31 row_mask:0xc bank_mask:0xf
	v_mov_b32_dpp v6, v5 row_bcast:31 row_mask:0xc bank_mask:0xf
	v_mov_b32_dpp v9, v8 row_bcast:31 row_mask:0xc bank_mask:0xf
	v_cmp_eq_u32_e32 vcc, 63, v7
	s_and_b64 exec, exec, vcc
	s_cbranch_execz .LBB9_22
; %bb.19:
	s_load_dwordx2 s[0:1], s[4:5], 0x38
	v_add_f32_e32 v0, v0, v1
	v_add_f32_e32 v1, v2, v3
	;; [unrolled: 1-line block ×4, first 2 shown]
	v_cmp_eq_f32_e64 s[4:5], s2, 0
	s_and_b64 vcc, exec, s[4:5]
	v_mul_f32_e32 v0, s16, v0
	v_mul_f32_e32 v1, s16, v1
	;; [unrolled: 1-line block ×4, first 2 shown]
	v_lshlrev_b32_e32 v4, 2, v4
	s_cbranch_vccz .LBB9_23
; %bb.20:
	v_ashrrev_i32_e32 v5, 31, v4
	v_lshlrev_b64 v[5:6], 2, v[4:5]
	s_waitcnt lgkmcnt(0)
	v_mov_b32_e32 v7, s1
	v_add_co_u32_e32 v5, vcc, s0, v5
	v_addc_co_u32_e32 v6, vcc, v7, v6, vcc
	global_store_dwordx4 v[5:6], v[0:3], off
	s_cbranch_execnz .LBB9_22
.LBB9_21:
	v_ashrrev_i32_e32 v5, 31, v4
	v_lshlrev_b64 v[4:5], 2, v[4:5]
	s_waitcnt lgkmcnt(0)
	v_mov_b32_e32 v6, s1
	v_add_co_u32_e32 v8, vcc, s0, v4
	v_addc_co_u32_e32 v9, vcc, v6, v5, vcc
	global_load_dwordx4 v[4:7], v[8:9], off
	s_waitcnt vmcnt(0)
	v_fmac_f32_e32 v0, s2, v4
	v_fmac_f32_e32 v1, s2, v5
	v_fmac_f32_e32 v2, s2, v6
	v_fmac_f32_e32 v3, s2, v7
	global_store_dwordx4 v[8:9], v[0:3], off
.LBB9_22:
	s_endpgm
.LBB9_23:
	s_branch .LBB9_21
	.section	.rodata,"a",@progbits
	.p2align	6, 0x0
	.amdhsa_kernel _ZN9rocsparseL19gebsrmvn_4xn_kernelILj128ELj2ELj64EfEEvi20rocsparse_direction_NS_24const_host_device_scalarIT2_EEPKiS6_PKS3_S8_S4_PS3_21rocsparse_index_base_b
		.amdhsa_group_segment_fixed_size 0
		.amdhsa_private_segment_fixed_size 0
		.amdhsa_kernarg_size 72
		.amdhsa_user_sgpr_count 6
		.amdhsa_user_sgpr_private_segment_buffer 1
		.amdhsa_user_sgpr_dispatch_ptr 0
		.amdhsa_user_sgpr_queue_ptr 0
		.amdhsa_user_sgpr_kernarg_segment_ptr 1
		.amdhsa_user_sgpr_dispatch_id 0
		.amdhsa_user_sgpr_flat_scratch_init 0
		.amdhsa_user_sgpr_private_segment_size 0
		.amdhsa_uses_dynamic_stack 0
		.amdhsa_system_sgpr_private_segment_wavefront_offset 0
		.amdhsa_system_sgpr_workgroup_id_x 1
		.amdhsa_system_sgpr_workgroup_id_y 0
		.amdhsa_system_sgpr_workgroup_id_z 0
		.amdhsa_system_sgpr_workgroup_info 0
		.amdhsa_system_vgpr_workitem_id 0
		.amdhsa_next_free_vgpr 26
		.amdhsa_next_free_sgpr 20
		.amdhsa_reserve_vcc 1
		.amdhsa_reserve_flat_scratch 0
		.amdhsa_float_round_mode_32 0
		.amdhsa_float_round_mode_16_64 0
		.amdhsa_float_denorm_mode_32 3
		.amdhsa_float_denorm_mode_16_64 3
		.amdhsa_dx10_clamp 1
		.amdhsa_ieee_mode 1
		.amdhsa_fp16_overflow 0
		.amdhsa_exception_fp_ieee_invalid_op 0
		.amdhsa_exception_fp_denorm_src 0
		.amdhsa_exception_fp_ieee_div_zero 0
		.amdhsa_exception_fp_ieee_overflow 0
		.amdhsa_exception_fp_ieee_underflow 0
		.amdhsa_exception_fp_ieee_inexact 0
		.amdhsa_exception_int_div_zero 0
	.end_amdhsa_kernel
	.section	.text._ZN9rocsparseL19gebsrmvn_4xn_kernelILj128ELj2ELj64EfEEvi20rocsparse_direction_NS_24const_host_device_scalarIT2_EEPKiS6_PKS3_S8_S4_PS3_21rocsparse_index_base_b,"axG",@progbits,_ZN9rocsparseL19gebsrmvn_4xn_kernelILj128ELj2ELj64EfEEvi20rocsparse_direction_NS_24const_host_device_scalarIT2_EEPKiS6_PKS3_S8_S4_PS3_21rocsparse_index_base_b,comdat
.Lfunc_end9:
	.size	_ZN9rocsparseL19gebsrmvn_4xn_kernelILj128ELj2ELj64EfEEvi20rocsparse_direction_NS_24const_host_device_scalarIT2_EEPKiS6_PKS3_S8_S4_PS3_21rocsparse_index_base_b, .Lfunc_end9-_ZN9rocsparseL19gebsrmvn_4xn_kernelILj128ELj2ELj64EfEEvi20rocsparse_direction_NS_24const_host_device_scalarIT2_EEPKiS6_PKS3_S8_S4_PS3_21rocsparse_index_base_b
                                        ; -- End function
	.set _ZN9rocsparseL19gebsrmvn_4xn_kernelILj128ELj2ELj64EfEEvi20rocsparse_direction_NS_24const_host_device_scalarIT2_EEPKiS6_PKS3_S8_S4_PS3_21rocsparse_index_base_b.num_vgpr, 26
	.set _ZN9rocsparseL19gebsrmvn_4xn_kernelILj128ELj2ELj64EfEEvi20rocsparse_direction_NS_24const_host_device_scalarIT2_EEPKiS6_PKS3_S8_S4_PS3_21rocsparse_index_base_b.num_agpr, 0
	.set _ZN9rocsparseL19gebsrmvn_4xn_kernelILj128ELj2ELj64EfEEvi20rocsparse_direction_NS_24const_host_device_scalarIT2_EEPKiS6_PKS3_S8_S4_PS3_21rocsparse_index_base_b.numbered_sgpr, 20
	.set _ZN9rocsparseL19gebsrmvn_4xn_kernelILj128ELj2ELj64EfEEvi20rocsparse_direction_NS_24const_host_device_scalarIT2_EEPKiS6_PKS3_S8_S4_PS3_21rocsparse_index_base_b.num_named_barrier, 0
	.set _ZN9rocsparseL19gebsrmvn_4xn_kernelILj128ELj2ELj64EfEEvi20rocsparse_direction_NS_24const_host_device_scalarIT2_EEPKiS6_PKS3_S8_S4_PS3_21rocsparse_index_base_b.private_seg_size, 0
	.set _ZN9rocsparseL19gebsrmvn_4xn_kernelILj128ELj2ELj64EfEEvi20rocsparse_direction_NS_24const_host_device_scalarIT2_EEPKiS6_PKS3_S8_S4_PS3_21rocsparse_index_base_b.uses_vcc, 1
	.set _ZN9rocsparseL19gebsrmvn_4xn_kernelILj128ELj2ELj64EfEEvi20rocsparse_direction_NS_24const_host_device_scalarIT2_EEPKiS6_PKS3_S8_S4_PS3_21rocsparse_index_base_b.uses_flat_scratch, 0
	.set _ZN9rocsparseL19gebsrmvn_4xn_kernelILj128ELj2ELj64EfEEvi20rocsparse_direction_NS_24const_host_device_scalarIT2_EEPKiS6_PKS3_S8_S4_PS3_21rocsparse_index_base_b.has_dyn_sized_stack, 0
	.set _ZN9rocsparseL19gebsrmvn_4xn_kernelILj128ELj2ELj64EfEEvi20rocsparse_direction_NS_24const_host_device_scalarIT2_EEPKiS6_PKS3_S8_S4_PS3_21rocsparse_index_base_b.has_recursion, 0
	.set _ZN9rocsparseL19gebsrmvn_4xn_kernelILj128ELj2ELj64EfEEvi20rocsparse_direction_NS_24const_host_device_scalarIT2_EEPKiS6_PKS3_S8_S4_PS3_21rocsparse_index_base_b.has_indirect_call, 0
	.section	.AMDGPU.csdata,"",@progbits
; Kernel info:
; codeLenInByte = 1168
; TotalNumSgprs: 24
; NumVgprs: 26
; ScratchSize: 0
; MemoryBound: 0
; FloatMode: 240
; IeeeMode: 1
; LDSByteSize: 0 bytes/workgroup (compile time only)
; SGPRBlocks: 2
; VGPRBlocks: 6
; NumSGPRsForWavesPerEU: 24
; NumVGPRsForWavesPerEU: 26
; Occupancy: 9
; WaveLimiterHint : 1
; COMPUTE_PGM_RSRC2:SCRATCH_EN: 0
; COMPUTE_PGM_RSRC2:USER_SGPR: 6
; COMPUTE_PGM_RSRC2:TRAP_HANDLER: 0
; COMPUTE_PGM_RSRC2:TGID_X_EN: 1
; COMPUTE_PGM_RSRC2:TGID_Y_EN: 0
; COMPUTE_PGM_RSRC2:TGID_Z_EN: 0
; COMPUTE_PGM_RSRC2:TIDIG_COMP_CNT: 0
	.section	.text._ZN9rocsparseL19gebsrmvn_4xn_kernelILj128ELj3ELj4EfEEvi20rocsparse_direction_NS_24const_host_device_scalarIT2_EEPKiS6_PKS3_S8_S4_PS3_21rocsparse_index_base_b,"axG",@progbits,_ZN9rocsparseL19gebsrmvn_4xn_kernelILj128ELj3ELj4EfEEvi20rocsparse_direction_NS_24const_host_device_scalarIT2_EEPKiS6_PKS3_S8_S4_PS3_21rocsparse_index_base_b,comdat
	.globl	_ZN9rocsparseL19gebsrmvn_4xn_kernelILj128ELj3ELj4EfEEvi20rocsparse_direction_NS_24const_host_device_scalarIT2_EEPKiS6_PKS3_S8_S4_PS3_21rocsparse_index_base_b ; -- Begin function _ZN9rocsparseL19gebsrmvn_4xn_kernelILj128ELj3ELj4EfEEvi20rocsparse_direction_NS_24const_host_device_scalarIT2_EEPKiS6_PKS3_S8_S4_PS3_21rocsparse_index_base_b
	.p2align	8
	.type	_ZN9rocsparseL19gebsrmvn_4xn_kernelILj128ELj3ELj4EfEEvi20rocsparse_direction_NS_24const_host_device_scalarIT2_EEPKiS6_PKS3_S8_S4_PS3_21rocsparse_index_base_b,@function
_ZN9rocsparseL19gebsrmvn_4xn_kernelILj128ELj3ELj4EfEEvi20rocsparse_direction_NS_24const_host_device_scalarIT2_EEPKiS6_PKS3_S8_S4_PS3_21rocsparse_index_base_b: ; @_ZN9rocsparseL19gebsrmvn_4xn_kernelILj128ELj3ELj4EfEEvi20rocsparse_direction_NS_24const_host_device_scalarIT2_EEPKiS6_PKS3_S8_S4_PS3_21rocsparse_index_base_b
; %bb.0:
	s_load_dwordx2 s[18:19], s[4:5], 0x40
	s_load_dwordx2 s[16:17], s[4:5], 0x8
	;; [unrolled: 1-line block ×3, first 2 shown]
	s_waitcnt lgkmcnt(0)
	s_bitcmp1_b32 s19, 0
	s_cselect_b64 s[8:9], -1, 0
	s_xor_b64 s[0:1], s[8:9], -1
	s_and_b64 vcc, exec, s[8:9]
	s_cbranch_vccnz .LBB10_2
; %bb.1:
	s_load_dword s16, s[16:17], 0x0
.LBB10_2:
	s_andn2_b64 vcc, exec, s[0:1]
	s_cbranch_vccnz .LBB10_4
; %bb.3:
	s_load_dword s2, s[2:3], 0x0
.LBB10_4:
	s_waitcnt lgkmcnt(0)
	v_cmp_eq_f32_e64 s[0:1], s16, 0
	v_cmp_eq_f32_e64 s[8:9], s2, 1.0
	s_and_b64 s[0:1], s[0:1], s[8:9]
	s_and_b64 vcc, exec, s[0:1]
	s_cbranch_vccnz .LBB10_22
; %bb.5:
	s_load_dwordx2 s[0:1], s[4:5], 0x0
	v_lshrrev_b32_e32 v1, 2, v0
	v_lshl_or_b32 v4, s6, 5, v1
	s_waitcnt lgkmcnt(0)
	v_cmp_gt_i32_e32 vcc, s0, v4
	s_and_saveexec_b64 s[6:7], vcc
	s_cbranch_execz .LBB10_22
; %bb.6:
	s_load_dwordx8 s[8:15], s[4:5], 0x10
	v_ashrrev_i32_e32 v5, 31, v4
	v_lshlrev_b64 v[1:2], 2, v[4:5]
	v_and_b32_e32 v7, 3, v0
	s_cmp_lg_u32 s1, 0
	s_waitcnt lgkmcnt(0)
	v_mov_b32_e32 v3, s9
	v_add_co_u32_e32 v1, vcc, s8, v1
	v_addc_co_u32_e32 v2, vcc, v3, v2, vcc
	global_load_dwordx2 v[1:2], v[1:2], off
	s_waitcnt vmcnt(0)
	v_subrev_u32_e32 v0, s18, v1
	v_subrev_u32_e32 v8, s18, v2
	v_add_u32_e32 v0, v0, v7
	v_cmp_lt_i32_e64 s[0:1], v0, v8
	s_cbranch_scc0 .LBB10_12
; %bb.7:
	v_mov_b32_e32 v10, 0
	v_mov_b32_e32 v9, 0
	;; [unrolled: 1-line block ×4, first 2 shown]
	s_and_saveexec_b64 s[6:7], s[0:1]
	s_cbranch_execz .LBB10_11
; %bb.8:
	v_mul_lo_u32 v1, v0, 12
	v_mov_b32_e32 v2, 0
	s_mov_b64 s[8:9], 0
	v_mov_b32_e32 v3, s11
	v_mov_b32_e32 v13, s13
	;; [unrolled: 1-line block ×8, first 2 shown]
.LBB10_9:                               ; =>This Inner Loop Header: Depth=1
	v_ashrrev_i32_e32 v6, 31, v5
	v_lshlrev_b64 v[15:16], 2, v[5:6]
	v_add_u32_e32 v17, 4, v1
	v_add_co_u32_e32 v15, vcc, s10, v15
	v_addc_co_u32_e32 v16, vcc, v3, v16, vcc
	global_load_dword v6, v[15:16], off
	v_lshlrev_b64 v[15:16], 2, v[1:2]
	v_mov_b32_e32 v18, v2
	v_lshlrev_b64 v[21:22], 2, v[17:18]
	v_add_co_u32_e32 v15, vcc, s12, v15
	v_add_u32_e32 v19, 8, v1
	v_mov_b32_e32 v20, v2
	v_addc_co_u32_e32 v16, vcc, v13, v16, vcc
	v_lshlrev_b64 v[19:20], 2, v[19:20]
	v_add_co_u32_e32 v32, vcc, s12, v21
	v_addc_co_u32_e32 v33, vcc, v13, v22, vcc
	v_mov_b32_e32 v28, v2
	v_add_co_u32_e32 v34, vcc, s12, v19
	global_load_dwordx4 v[15:18], v[15:16], off
	v_addc_co_u32_e32 v35, vcc, v13, v20, vcc
	global_load_dwordx4 v[19:22], v[32:33], off
	global_load_dwordx4 v[23:26], v[34:35], off
	v_mov_b32_e32 v29, v2
	v_mov_b32_e32 v31, v2
	v_add_u32_e32 v5, 4, v5
	v_add_u32_e32 v1, 48, v1
	s_waitcnt vmcnt(3)
	v_subrev_u32_e32 v6, s18, v6
	v_lshl_add_u32 v27, v6, 1, v6
	v_lshlrev_b64 v[32:33], 2, v[27:28]
	v_add_u32_e32 v28, 1, v27
	v_add_u32_e32 v30, 2, v27
	v_lshlrev_b64 v[27:28], 2, v[28:29]
	v_lshlrev_b64 v[29:30], 2, v[30:31]
	v_add_co_u32_e32 v31, vcc, s14, v32
	v_addc_co_u32_e32 v32, vcc, v14, v33, vcc
	v_add_co_u32_e32 v27, vcc, s14, v27
	global_load_dword v6, v[31:32], off
	v_addc_co_u32_e32 v28, vcc, v14, v28, vcc
	v_add_co_u32_e32 v29, vcc, s14, v29
	v_addc_co_u32_e32 v30, vcc, v14, v30, vcc
	global_load_dword v31, v[27:28], off
	global_load_dword v32, v[29:30], off
	v_cmp_ge_i32_e32 vcc, v5, v8
	s_or_b64 s[8:9], vcc, s[8:9]
	s_waitcnt vmcnt(2)
	v_fmac_f32_e32 v10, v15, v6
	v_fmac_f32_e32 v12, v16, v6
	v_fmac_f32_e32 v11, v17, v6
	v_fmac_f32_e32 v9, v18, v6
	s_waitcnt vmcnt(1)
	v_fmac_f32_e32 v10, v19, v31
	v_fmac_f32_e32 v12, v20, v31
	v_fmac_f32_e32 v11, v21, v31
	v_fmac_f32_e32 v9, v22, v31
	;; [unrolled: 5-line block ×3, first 2 shown]
	s_andn2_b64 exec, exec, s[8:9]
	s_cbranch_execnz .LBB10_9
; %bb.10:
	s_or_b64 exec, exec, s[8:9]
.LBB10_11:
	s_or_b64 exec, exec, s[6:7]
	s_cbranch_execz .LBB10_13
	s_branch .LBB10_18
.LBB10_12:
                                        ; implicit-def: $vgpr10
                                        ; implicit-def: $vgpr9
                                        ; implicit-def: $vgpr11
                                        ; implicit-def: $vgpr12
.LBB10_13:
	v_mov_b32_e32 v10, 0
	v_mov_b32_e32 v9, 0
	;; [unrolled: 1-line block ×4, first 2 shown]
	s_and_saveexec_b64 s[6:7], s[0:1]
	s_cbranch_execz .LBB10_17
; %bb.14:
	v_mad_u64_u32 v[2:3], s[0:1], v0, 12, 11
	v_mov_b32_e32 v6, 0
	s_mov_b64 s[0:1], 0
	v_mov_b32_e32 v13, s11
	v_mov_b32_e32 v14, s13
	;; [unrolled: 1-line block ×7, first 2 shown]
.LBB10_15:                              ; =>This Inner Loop Header: Depth=1
	v_ashrrev_i32_e32 v1, 31, v0
	v_lshlrev_b64 v[20:21], 2, v[0:1]
	v_add_u32_e32 v5, -11, v2
	v_add_co_u32_e32 v20, vcc, s10, v20
	v_addc_co_u32_e32 v21, vcc, v13, v21, vcc
	global_load_dword v1, v[20:21], off
	v_lshlrev_b64 v[22:23], 2, v[5:6]
	v_add_u32_e32 v18, -5, v2
	v_mov_b32_e32 v19, v6
	v_lshlrev_b64 v[18:19], 2, v[18:19]
	v_add_co_u32_e32 v22, vcc, s12, v22
	v_add_u32_e32 v20, -2, v2
	v_mov_b32_e32 v21, v6
	v_addc_co_u32_e32 v23, vcc, v14, v23, vcc
	v_lshlrev_b64 v[20:21], 2, v[20:21]
	v_add_co_u32_e32 v18, vcc, s12, v18
	v_mov_b32_e32 v3, v6
	v_addc_co_u32_e32 v19, vcc, v14, v19, vcc
	v_lshlrev_b64 v[24:25], 2, v[2:3]
	v_add_co_u32_e32 v20, vcc, s12, v20
	v_addc_co_u32_e32 v21, vcc, v14, v21, vcc
	v_mov_b32_e32 v17, v6
	v_add_co_u32_e32 v24, vcc, s12, v24
	v_addc_co_u32_e32 v25, vcc, v14, v25, vcc
	global_load_dword v3, v[18:19], off
	global_load_dword v28, v[20:21], off
	;; [unrolled: 1-line block ×3, first 2 shown]
	v_add_u32_e32 v0, 4, v0
	s_waitcnt vmcnt(3)
	v_subrev_u32_e32 v1, s18, v1
	v_lshl_add_u32 v16, v1, 1, v1
	v_lshlrev_b64 v[17:18], 2, v[16:17]
	v_add_u32_e32 v5, 1, v16
	v_lshlrev_b64 v[19:20], 2, v[5:6]
	v_add_co_u32_e32 v17, vcc, s14, v17
	v_add_u32_e32 v5, -7, v2
	v_addc_co_u32_e32 v18, vcc, v15, v18, vcc
	v_lshlrev_b64 v[24:25], 2, v[5:6]
	v_add_co_u32_e32 v19, vcc, s14, v19
	v_add_u32_e32 v5, -4, v2
	v_addc_co_u32_e32 v20, vcc, v15, v20, vcc
	v_lshlrev_b64 v[26:27], 2, v[5:6]
	global_load_dword v1, v[17:18], off
	global_load_dword v30, v[19:20], off
	v_add_co_u32_e32 v19, vcc, s12, v24
	v_add_u32_e32 v5, -1, v2
	v_addc_co_u32_e32 v20, vcc, v14, v25, vcc
	v_lshlrev_b64 v[17:18], 2, v[5:6]
	v_add_co_u32_e32 v26, vcc, s12, v26
	v_add_u32_e32 v5, 2, v16
	v_addc_co_u32_e32 v27, vcc, v14, v27, vcc
	v_lshlrev_b64 v[24:25], 2, v[5:6]
	v_add_co_u32_e32 v16, vcc, s12, v17
	v_add_u32_e32 v5, -6, v2
	v_addc_co_u32_e32 v17, vcc, v14, v18, vcc
	global_load_dword v31, v[19:20], off
	v_lshlrev_b64 v[18:19], 2, v[5:6]
	v_add_co_u32_e32 v20, vcc, s14, v24
	v_add_u32_e32 v5, -3, v2
	v_addc_co_u32_e32 v21, vcc, v15, v25, vcc
	global_load_dword v32, v[26:27], off
	v_lshlrev_b64 v[24:25], 2, v[5:6]
	global_load_dword v5, v[16:17], off
	v_add_co_u32_e32 v26, vcc, s12, v18
	v_addc_co_u32_e32 v27, vcc, v14, v19, vcc
	v_add_co_u32_e32 v24, vcc, s12, v24
	v_addc_co_u32_e32 v25, vcc, v14, v25, vcc
	global_load_dwordx4 v[16:19], v[22:23], off
	global_load_dword v33, v[20:21], off
	global_load_dword v34, v[26:27], off
	;; [unrolled: 1-line block ×3, first 2 shown]
	v_cmp_ge_i32_e32 vcc, v0, v8
	s_or_b64 s[0:1], vcc, s[0:1]
	v_add_u32_e32 v2, 48, v2
	s_waitcnt vmcnt(8)
	v_fmac_f32_e32 v11, v3, v1
	v_fmac_f32_e32 v9, v28, v1
	s_waitcnt vmcnt(5)
	v_fmac_f32_e32 v11, v32, v30
	s_waitcnt vmcnt(4)
	;; [unrolled: 2-line block ×3, first 2 shown]
	v_fmac_f32_e32 v10, v16, v1
	v_fmac_f32_e32 v12, v19, v1
	;; [unrolled: 1-line block ×4, first 2 shown]
	s_waitcnt vmcnt(2)
	v_fmac_f32_e32 v10, v18, v33
	v_fmac_f32_e32 v9, v29, v33
	s_waitcnt vmcnt(1)
	v_fmac_f32_e32 v12, v34, v33
	s_waitcnt vmcnt(0)
	v_fmac_f32_e32 v11, v35, v33
	s_andn2_b64 exec, exec, s[0:1]
	s_cbranch_execnz .LBB10_15
; %bb.16:
	s_or_b64 exec, exec, s[0:1]
.LBB10_17:
	s_or_b64 exec, exec, s[6:7]
.LBB10_18:
	v_mov_b32_dpp v0, v10 row_shr:1 row_mask:0xf bank_mask:0xf
	v_mov_b32_dpp v2, v12 row_shr:1 row_mask:0xf bank_mask:0xf
	v_mov_b32_dpp v5, v11 row_shr:1 row_mask:0xf bank_mask:0xf
	v_mov_b32_dpp v8, v9 row_shr:1 row_mask:0xf bank_mask:0xf
	v_add_f32_e32 v0, v10, v0
	v_add_f32_e32 v2, v12, v2
	;; [unrolled: 1-line block ×4, first 2 shown]
	v_mov_b32_dpp v1, v0 row_shr:2 row_mask:0xf bank_mask:0xf
	v_mov_b32_dpp v3, v2 row_shr:2 row_mask:0xf bank_mask:0xf
	;; [unrolled: 1-line block ×4, first 2 shown]
	v_cmp_eq_u32_e32 vcc, 3, v7
	s_and_b64 exec, exec, vcc
	s_cbranch_execz .LBB10_22
; %bb.19:
	s_load_dwordx2 s[0:1], s[4:5], 0x38
	v_add_f32_e32 v0, v0, v1
	v_add_f32_e32 v1, v2, v3
	;; [unrolled: 1-line block ×4, first 2 shown]
	v_cmp_eq_f32_e64 s[4:5], s2, 0
	s_and_b64 vcc, exec, s[4:5]
	v_mul_f32_e32 v0, s16, v0
	v_mul_f32_e32 v1, s16, v1
	;; [unrolled: 1-line block ×4, first 2 shown]
	v_lshlrev_b32_e32 v4, 2, v4
	s_cbranch_vccz .LBB10_23
; %bb.20:
	v_ashrrev_i32_e32 v5, 31, v4
	v_lshlrev_b64 v[5:6], 2, v[4:5]
	s_waitcnt lgkmcnt(0)
	v_mov_b32_e32 v7, s1
	v_add_co_u32_e32 v5, vcc, s0, v5
	v_addc_co_u32_e32 v6, vcc, v7, v6, vcc
	global_store_dwordx4 v[5:6], v[0:3], off
	s_cbranch_execnz .LBB10_22
.LBB10_21:
	v_ashrrev_i32_e32 v5, 31, v4
	v_lshlrev_b64 v[4:5], 2, v[4:5]
	s_waitcnt lgkmcnt(0)
	v_mov_b32_e32 v6, s1
	v_add_co_u32_e32 v8, vcc, s0, v4
	v_addc_co_u32_e32 v9, vcc, v6, v5, vcc
	global_load_dwordx4 v[4:7], v[8:9], off
	s_waitcnt vmcnt(0)
	v_fmac_f32_e32 v0, s2, v4
	v_fmac_f32_e32 v1, s2, v5
	;; [unrolled: 1-line block ×4, first 2 shown]
	global_store_dwordx4 v[8:9], v[0:3], off
.LBB10_22:
	s_endpgm
.LBB10_23:
	s_branch .LBB10_21
	.section	.rodata,"a",@progbits
	.p2align	6, 0x0
	.amdhsa_kernel _ZN9rocsparseL19gebsrmvn_4xn_kernelILj128ELj3ELj4EfEEvi20rocsparse_direction_NS_24const_host_device_scalarIT2_EEPKiS6_PKS3_S8_S4_PS3_21rocsparse_index_base_b
		.amdhsa_group_segment_fixed_size 0
		.amdhsa_private_segment_fixed_size 0
		.amdhsa_kernarg_size 72
		.amdhsa_user_sgpr_count 6
		.amdhsa_user_sgpr_private_segment_buffer 1
		.amdhsa_user_sgpr_dispatch_ptr 0
		.amdhsa_user_sgpr_queue_ptr 0
		.amdhsa_user_sgpr_kernarg_segment_ptr 1
		.amdhsa_user_sgpr_dispatch_id 0
		.amdhsa_user_sgpr_flat_scratch_init 0
		.amdhsa_user_sgpr_private_segment_size 0
		.amdhsa_uses_dynamic_stack 0
		.amdhsa_system_sgpr_private_segment_wavefront_offset 0
		.amdhsa_system_sgpr_workgroup_id_x 1
		.amdhsa_system_sgpr_workgroup_id_y 0
		.amdhsa_system_sgpr_workgroup_id_z 0
		.amdhsa_system_sgpr_workgroup_info 0
		.amdhsa_system_vgpr_workitem_id 0
		.amdhsa_next_free_vgpr 36
		.amdhsa_next_free_sgpr 20
		.amdhsa_reserve_vcc 1
		.amdhsa_reserve_flat_scratch 0
		.amdhsa_float_round_mode_32 0
		.amdhsa_float_round_mode_16_64 0
		.amdhsa_float_denorm_mode_32 3
		.amdhsa_float_denorm_mode_16_64 3
		.amdhsa_dx10_clamp 1
		.amdhsa_ieee_mode 1
		.amdhsa_fp16_overflow 0
		.amdhsa_exception_fp_ieee_invalid_op 0
		.amdhsa_exception_fp_denorm_src 0
		.amdhsa_exception_fp_ieee_div_zero 0
		.amdhsa_exception_fp_ieee_overflow 0
		.amdhsa_exception_fp_ieee_underflow 0
		.amdhsa_exception_fp_ieee_inexact 0
		.amdhsa_exception_int_div_zero 0
	.end_amdhsa_kernel
	.section	.text._ZN9rocsparseL19gebsrmvn_4xn_kernelILj128ELj3ELj4EfEEvi20rocsparse_direction_NS_24const_host_device_scalarIT2_EEPKiS6_PKS3_S8_S4_PS3_21rocsparse_index_base_b,"axG",@progbits,_ZN9rocsparseL19gebsrmvn_4xn_kernelILj128ELj3ELj4EfEEvi20rocsparse_direction_NS_24const_host_device_scalarIT2_EEPKiS6_PKS3_S8_S4_PS3_21rocsparse_index_base_b,comdat
.Lfunc_end10:
	.size	_ZN9rocsparseL19gebsrmvn_4xn_kernelILj128ELj3ELj4EfEEvi20rocsparse_direction_NS_24const_host_device_scalarIT2_EEPKiS6_PKS3_S8_S4_PS3_21rocsparse_index_base_b, .Lfunc_end10-_ZN9rocsparseL19gebsrmvn_4xn_kernelILj128ELj3ELj4EfEEvi20rocsparse_direction_NS_24const_host_device_scalarIT2_EEPKiS6_PKS3_S8_S4_PS3_21rocsparse_index_base_b
                                        ; -- End function
	.set _ZN9rocsparseL19gebsrmvn_4xn_kernelILj128ELj3ELj4EfEEvi20rocsparse_direction_NS_24const_host_device_scalarIT2_EEPKiS6_PKS3_S8_S4_PS3_21rocsparse_index_base_b.num_vgpr, 36
	.set _ZN9rocsparseL19gebsrmvn_4xn_kernelILj128ELj3ELj4EfEEvi20rocsparse_direction_NS_24const_host_device_scalarIT2_EEPKiS6_PKS3_S8_S4_PS3_21rocsparse_index_base_b.num_agpr, 0
	.set _ZN9rocsparseL19gebsrmvn_4xn_kernelILj128ELj3ELj4EfEEvi20rocsparse_direction_NS_24const_host_device_scalarIT2_EEPKiS6_PKS3_S8_S4_PS3_21rocsparse_index_base_b.numbered_sgpr, 20
	.set _ZN9rocsparseL19gebsrmvn_4xn_kernelILj128ELj3ELj4EfEEvi20rocsparse_direction_NS_24const_host_device_scalarIT2_EEPKiS6_PKS3_S8_S4_PS3_21rocsparse_index_base_b.num_named_barrier, 0
	.set _ZN9rocsparseL19gebsrmvn_4xn_kernelILj128ELj3ELj4EfEEvi20rocsparse_direction_NS_24const_host_device_scalarIT2_EEPKiS6_PKS3_S8_S4_PS3_21rocsparse_index_base_b.private_seg_size, 0
	.set _ZN9rocsparseL19gebsrmvn_4xn_kernelILj128ELj3ELj4EfEEvi20rocsparse_direction_NS_24const_host_device_scalarIT2_EEPKiS6_PKS3_S8_S4_PS3_21rocsparse_index_base_b.uses_vcc, 1
	.set _ZN9rocsparseL19gebsrmvn_4xn_kernelILj128ELj3ELj4EfEEvi20rocsparse_direction_NS_24const_host_device_scalarIT2_EEPKiS6_PKS3_S8_S4_PS3_21rocsparse_index_base_b.uses_flat_scratch, 0
	.set _ZN9rocsparseL19gebsrmvn_4xn_kernelILj128ELj3ELj4EfEEvi20rocsparse_direction_NS_24const_host_device_scalarIT2_EEPKiS6_PKS3_S8_S4_PS3_21rocsparse_index_base_b.has_dyn_sized_stack, 0
	.set _ZN9rocsparseL19gebsrmvn_4xn_kernelILj128ELj3ELj4EfEEvi20rocsparse_direction_NS_24const_host_device_scalarIT2_EEPKiS6_PKS3_S8_S4_PS3_21rocsparse_index_base_b.has_recursion, 0
	.set _ZN9rocsparseL19gebsrmvn_4xn_kernelILj128ELj3ELj4EfEEvi20rocsparse_direction_NS_24const_host_device_scalarIT2_EEPKiS6_PKS3_S8_S4_PS3_21rocsparse_index_base_b.has_indirect_call, 0
	.section	.AMDGPU.csdata,"",@progbits
; Kernel info:
; codeLenInByte = 1444
; TotalNumSgprs: 24
; NumVgprs: 36
; ScratchSize: 0
; MemoryBound: 0
; FloatMode: 240
; IeeeMode: 1
; LDSByteSize: 0 bytes/workgroup (compile time only)
; SGPRBlocks: 2
; VGPRBlocks: 8
; NumSGPRsForWavesPerEU: 24
; NumVGPRsForWavesPerEU: 36
; Occupancy: 7
; WaveLimiterHint : 1
; COMPUTE_PGM_RSRC2:SCRATCH_EN: 0
; COMPUTE_PGM_RSRC2:USER_SGPR: 6
; COMPUTE_PGM_RSRC2:TRAP_HANDLER: 0
; COMPUTE_PGM_RSRC2:TGID_X_EN: 1
; COMPUTE_PGM_RSRC2:TGID_Y_EN: 0
; COMPUTE_PGM_RSRC2:TGID_Z_EN: 0
; COMPUTE_PGM_RSRC2:TIDIG_COMP_CNT: 0
	.section	.text._ZN9rocsparseL19gebsrmvn_4xn_kernelILj128ELj3ELj8EfEEvi20rocsparse_direction_NS_24const_host_device_scalarIT2_EEPKiS6_PKS3_S8_S4_PS3_21rocsparse_index_base_b,"axG",@progbits,_ZN9rocsparseL19gebsrmvn_4xn_kernelILj128ELj3ELj8EfEEvi20rocsparse_direction_NS_24const_host_device_scalarIT2_EEPKiS6_PKS3_S8_S4_PS3_21rocsparse_index_base_b,comdat
	.globl	_ZN9rocsparseL19gebsrmvn_4xn_kernelILj128ELj3ELj8EfEEvi20rocsparse_direction_NS_24const_host_device_scalarIT2_EEPKiS6_PKS3_S8_S4_PS3_21rocsparse_index_base_b ; -- Begin function _ZN9rocsparseL19gebsrmvn_4xn_kernelILj128ELj3ELj8EfEEvi20rocsparse_direction_NS_24const_host_device_scalarIT2_EEPKiS6_PKS3_S8_S4_PS3_21rocsparse_index_base_b
	.p2align	8
	.type	_ZN9rocsparseL19gebsrmvn_4xn_kernelILj128ELj3ELj8EfEEvi20rocsparse_direction_NS_24const_host_device_scalarIT2_EEPKiS6_PKS3_S8_S4_PS3_21rocsparse_index_base_b,@function
_ZN9rocsparseL19gebsrmvn_4xn_kernelILj128ELj3ELj8EfEEvi20rocsparse_direction_NS_24const_host_device_scalarIT2_EEPKiS6_PKS3_S8_S4_PS3_21rocsparse_index_base_b: ; @_ZN9rocsparseL19gebsrmvn_4xn_kernelILj128ELj3ELj8EfEEvi20rocsparse_direction_NS_24const_host_device_scalarIT2_EEPKiS6_PKS3_S8_S4_PS3_21rocsparse_index_base_b
; %bb.0:
	s_load_dwordx2 s[18:19], s[4:5], 0x40
	s_load_dwordx2 s[16:17], s[4:5], 0x8
	;; [unrolled: 1-line block ×3, first 2 shown]
	s_waitcnt lgkmcnt(0)
	s_bitcmp1_b32 s19, 0
	s_cselect_b64 s[8:9], -1, 0
	s_xor_b64 s[0:1], s[8:9], -1
	s_and_b64 vcc, exec, s[8:9]
	s_cbranch_vccnz .LBB11_2
; %bb.1:
	s_load_dword s16, s[16:17], 0x0
.LBB11_2:
	s_andn2_b64 vcc, exec, s[0:1]
	s_cbranch_vccnz .LBB11_4
; %bb.3:
	s_load_dword s2, s[2:3], 0x0
.LBB11_4:
	s_waitcnt lgkmcnt(0)
	v_cmp_eq_f32_e64 s[0:1], s16, 0
	v_cmp_eq_f32_e64 s[8:9], s2, 1.0
	s_and_b64 s[0:1], s[0:1], s[8:9]
	s_and_b64 vcc, exec, s[0:1]
	s_cbranch_vccnz .LBB11_22
; %bb.5:
	s_load_dwordx2 s[0:1], s[4:5], 0x0
	v_lshrrev_b32_e32 v1, 3, v0
	v_lshl_or_b32 v4, s6, 4, v1
	s_waitcnt lgkmcnt(0)
	v_cmp_gt_i32_e32 vcc, s0, v4
	s_and_saveexec_b64 s[6:7], vcc
	s_cbranch_execz .LBB11_22
; %bb.6:
	s_load_dwordx8 s[8:15], s[4:5], 0x10
	v_ashrrev_i32_e32 v5, 31, v4
	v_lshlrev_b64 v[1:2], 2, v[4:5]
	v_and_b32_e32 v7, 7, v0
	s_cmp_lg_u32 s1, 0
	s_waitcnt lgkmcnt(0)
	v_mov_b32_e32 v3, s9
	v_add_co_u32_e32 v1, vcc, s8, v1
	v_addc_co_u32_e32 v2, vcc, v3, v2, vcc
	global_load_dwordx2 v[1:2], v[1:2], off
	s_waitcnt vmcnt(0)
	v_subrev_u32_e32 v0, s18, v1
	v_subrev_u32_e32 v9, s18, v2
	v_add_u32_e32 v0, v0, v7
	v_cmp_lt_i32_e64 s[0:1], v0, v9
	s_cbranch_scc0 .LBB11_12
; %bb.7:
	v_mov_b32_e32 v10, 0
	v_mov_b32_e32 v8, 0
	;; [unrolled: 1-line block ×4, first 2 shown]
	s_and_saveexec_b64 s[6:7], s[0:1]
	s_cbranch_execz .LBB11_11
; %bb.8:
	v_mul_lo_u32 v1, v0, 12
	v_mov_b32_e32 v2, 0
	s_mov_b64 s[8:9], 0
	v_mov_b32_e32 v3, s11
	v_mov_b32_e32 v13, s13
	;; [unrolled: 1-line block ×8, first 2 shown]
.LBB11_9:                               ; =>This Inner Loop Header: Depth=1
	v_ashrrev_i32_e32 v6, 31, v5
	v_lshlrev_b64 v[15:16], 2, v[5:6]
	v_add_u32_e32 v17, 4, v1
	v_add_co_u32_e32 v15, vcc, s10, v15
	v_addc_co_u32_e32 v16, vcc, v3, v16, vcc
	global_load_dword v6, v[15:16], off
	v_lshlrev_b64 v[15:16], 2, v[1:2]
	v_mov_b32_e32 v18, v2
	v_lshlrev_b64 v[21:22], 2, v[17:18]
	v_add_co_u32_e32 v15, vcc, s12, v15
	v_add_u32_e32 v19, 8, v1
	v_mov_b32_e32 v20, v2
	v_addc_co_u32_e32 v16, vcc, v13, v16, vcc
	v_lshlrev_b64 v[19:20], 2, v[19:20]
	v_add_co_u32_e32 v32, vcc, s12, v21
	v_addc_co_u32_e32 v33, vcc, v13, v22, vcc
	v_mov_b32_e32 v28, v2
	v_add_co_u32_e32 v34, vcc, s12, v19
	global_load_dwordx4 v[15:18], v[15:16], off
	v_addc_co_u32_e32 v35, vcc, v13, v20, vcc
	global_load_dwordx4 v[19:22], v[32:33], off
	global_load_dwordx4 v[23:26], v[34:35], off
	v_mov_b32_e32 v29, v2
	v_mov_b32_e32 v31, v2
	v_add_u32_e32 v5, 8, v5
	v_add_u32_e32 v1, 0x60, v1
	s_waitcnt vmcnt(3)
	v_subrev_u32_e32 v6, s18, v6
	v_lshl_add_u32 v27, v6, 1, v6
	v_lshlrev_b64 v[32:33], 2, v[27:28]
	v_add_u32_e32 v28, 1, v27
	v_add_u32_e32 v30, 2, v27
	v_lshlrev_b64 v[27:28], 2, v[28:29]
	v_lshlrev_b64 v[29:30], 2, v[30:31]
	v_add_co_u32_e32 v31, vcc, s14, v32
	v_addc_co_u32_e32 v32, vcc, v14, v33, vcc
	v_add_co_u32_e32 v27, vcc, s14, v27
	global_load_dword v6, v[31:32], off
	v_addc_co_u32_e32 v28, vcc, v14, v28, vcc
	v_add_co_u32_e32 v29, vcc, s14, v29
	v_addc_co_u32_e32 v30, vcc, v14, v30, vcc
	global_load_dword v31, v[27:28], off
	global_load_dword v32, v[29:30], off
	v_cmp_ge_i32_e32 vcc, v5, v9
	s_or_b64 s[8:9], vcc, s[8:9]
	s_waitcnt vmcnt(2)
	v_fmac_f32_e32 v10, v15, v6
	v_fmac_f32_e32 v12, v16, v6
	v_fmac_f32_e32 v11, v17, v6
	v_fmac_f32_e32 v8, v18, v6
	s_waitcnt vmcnt(1)
	v_fmac_f32_e32 v10, v19, v31
	v_fmac_f32_e32 v12, v20, v31
	v_fmac_f32_e32 v11, v21, v31
	v_fmac_f32_e32 v8, v22, v31
	;; [unrolled: 5-line block ×3, first 2 shown]
	s_andn2_b64 exec, exec, s[8:9]
	s_cbranch_execnz .LBB11_9
; %bb.10:
	s_or_b64 exec, exec, s[8:9]
.LBB11_11:
	s_or_b64 exec, exec, s[6:7]
	s_cbranch_execz .LBB11_13
	s_branch .LBB11_18
.LBB11_12:
                                        ; implicit-def: $vgpr10
                                        ; implicit-def: $vgpr8
                                        ; implicit-def: $vgpr11
                                        ; implicit-def: $vgpr12
.LBB11_13:
	v_mov_b32_e32 v10, 0
	v_mov_b32_e32 v8, 0
	;; [unrolled: 1-line block ×4, first 2 shown]
	s_and_saveexec_b64 s[6:7], s[0:1]
	s_cbranch_execz .LBB11_17
; %bb.14:
	v_mad_u64_u32 v[2:3], s[0:1], v0, 12, 11
	v_mov_b32_e32 v6, 0
	s_mov_b64 s[0:1], 0
	v_mov_b32_e32 v13, s11
	v_mov_b32_e32 v14, s13
	;; [unrolled: 1-line block ×7, first 2 shown]
.LBB11_15:                              ; =>This Inner Loop Header: Depth=1
	v_ashrrev_i32_e32 v1, 31, v0
	v_lshlrev_b64 v[20:21], 2, v[0:1]
	v_add_u32_e32 v5, -11, v2
	v_add_co_u32_e32 v20, vcc, s10, v20
	v_addc_co_u32_e32 v21, vcc, v13, v21, vcc
	global_load_dword v1, v[20:21], off
	v_lshlrev_b64 v[22:23], 2, v[5:6]
	v_add_u32_e32 v18, -5, v2
	v_mov_b32_e32 v19, v6
	v_lshlrev_b64 v[18:19], 2, v[18:19]
	v_add_co_u32_e32 v22, vcc, s12, v22
	v_add_u32_e32 v20, -2, v2
	v_mov_b32_e32 v21, v6
	v_addc_co_u32_e32 v23, vcc, v14, v23, vcc
	v_lshlrev_b64 v[20:21], 2, v[20:21]
	v_add_co_u32_e32 v18, vcc, s12, v18
	v_mov_b32_e32 v3, v6
	v_addc_co_u32_e32 v19, vcc, v14, v19, vcc
	v_lshlrev_b64 v[24:25], 2, v[2:3]
	v_add_co_u32_e32 v20, vcc, s12, v20
	v_addc_co_u32_e32 v21, vcc, v14, v21, vcc
	v_mov_b32_e32 v17, v6
	v_add_co_u32_e32 v24, vcc, s12, v24
	v_addc_co_u32_e32 v25, vcc, v14, v25, vcc
	global_load_dword v3, v[18:19], off
	global_load_dword v28, v[20:21], off
	;; [unrolled: 1-line block ×3, first 2 shown]
	v_add_u32_e32 v0, 8, v0
	s_waitcnt vmcnt(3)
	v_subrev_u32_e32 v1, s18, v1
	v_lshl_add_u32 v16, v1, 1, v1
	v_lshlrev_b64 v[17:18], 2, v[16:17]
	v_add_u32_e32 v5, 1, v16
	v_lshlrev_b64 v[19:20], 2, v[5:6]
	v_add_co_u32_e32 v17, vcc, s14, v17
	v_add_u32_e32 v5, -7, v2
	v_addc_co_u32_e32 v18, vcc, v15, v18, vcc
	v_lshlrev_b64 v[24:25], 2, v[5:6]
	v_add_co_u32_e32 v19, vcc, s14, v19
	v_add_u32_e32 v5, -4, v2
	v_addc_co_u32_e32 v20, vcc, v15, v20, vcc
	v_lshlrev_b64 v[26:27], 2, v[5:6]
	global_load_dword v1, v[17:18], off
	global_load_dword v30, v[19:20], off
	v_add_co_u32_e32 v19, vcc, s12, v24
	v_add_u32_e32 v5, -1, v2
	v_addc_co_u32_e32 v20, vcc, v14, v25, vcc
	v_lshlrev_b64 v[17:18], 2, v[5:6]
	v_add_co_u32_e32 v26, vcc, s12, v26
	v_add_u32_e32 v5, 2, v16
	v_addc_co_u32_e32 v27, vcc, v14, v27, vcc
	v_lshlrev_b64 v[24:25], 2, v[5:6]
	v_add_co_u32_e32 v16, vcc, s12, v17
	v_add_u32_e32 v5, -6, v2
	v_addc_co_u32_e32 v17, vcc, v14, v18, vcc
	global_load_dword v31, v[19:20], off
	v_lshlrev_b64 v[18:19], 2, v[5:6]
	v_add_co_u32_e32 v20, vcc, s14, v24
	v_add_u32_e32 v5, -3, v2
	v_addc_co_u32_e32 v21, vcc, v15, v25, vcc
	global_load_dword v32, v[26:27], off
	v_lshlrev_b64 v[24:25], 2, v[5:6]
	global_load_dword v5, v[16:17], off
	v_add_co_u32_e32 v26, vcc, s12, v18
	v_addc_co_u32_e32 v27, vcc, v14, v19, vcc
	v_add_co_u32_e32 v24, vcc, s12, v24
	v_addc_co_u32_e32 v25, vcc, v14, v25, vcc
	global_load_dwordx4 v[16:19], v[22:23], off
	global_load_dword v33, v[20:21], off
	global_load_dword v34, v[26:27], off
	;; [unrolled: 1-line block ×3, first 2 shown]
	v_cmp_ge_i32_e32 vcc, v0, v9
	s_or_b64 s[0:1], vcc, s[0:1]
	v_add_u32_e32 v2, 0x60, v2
	s_waitcnt vmcnt(8)
	v_fmac_f32_e32 v11, v3, v1
	v_fmac_f32_e32 v8, v28, v1
	s_waitcnt vmcnt(5)
	v_fmac_f32_e32 v11, v32, v30
	s_waitcnt vmcnt(4)
	;; [unrolled: 2-line block ×3, first 2 shown]
	v_fmac_f32_e32 v10, v16, v1
	v_fmac_f32_e32 v12, v19, v1
	;; [unrolled: 1-line block ×4, first 2 shown]
	s_waitcnt vmcnt(2)
	v_fmac_f32_e32 v10, v18, v33
	v_fmac_f32_e32 v8, v29, v33
	s_waitcnt vmcnt(1)
	v_fmac_f32_e32 v12, v34, v33
	s_waitcnt vmcnt(0)
	v_fmac_f32_e32 v11, v35, v33
	s_andn2_b64 exec, exec, s[0:1]
	s_cbranch_execnz .LBB11_15
; %bb.16:
	s_or_b64 exec, exec, s[0:1]
.LBB11_17:
	s_or_b64 exec, exec, s[6:7]
.LBB11_18:
	v_mov_b32_dpp v0, v10 row_shr:1 row_mask:0xf bank_mask:0xf
	v_mov_b32_dpp v2, v12 row_shr:1 row_mask:0xf bank_mask:0xf
	;; [unrolled: 1-line block ×4, first 2 shown]
	v_add_f32_e32 v0, v10, v0
	v_add_f32_e32 v2, v12, v2
	;; [unrolled: 1-line block ×4, first 2 shown]
	v_mov_b32_dpp v1, v0 row_shr:2 row_mask:0xf bank_mask:0xf
	v_mov_b32_dpp v3, v2 row_shr:2 row_mask:0xf bank_mask:0xf
	;; [unrolled: 1-line block ×4, first 2 shown]
	v_add_f32_e32 v0, v0, v1
	v_add_f32_e32 v2, v2, v3
	;; [unrolled: 1-line block ×4, first 2 shown]
	v_mov_b32_dpp v1, v0 row_shr:4 row_mask:0xf bank_mask:0xe
	v_mov_b32_dpp v3, v2 row_shr:4 row_mask:0xf bank_mask:0xe
	v_mov_b32_dpp v6, v5 row_shr:4 row_mask:0xf bank_mask:0xe
	v_mov_b32_dpp v9, v8 row_shr:4 row_mask:0xf bank_mask:0xe
	v_cmp_eq_u32_e32 vcc, 7, v7
	s_and_b64 exec, exec, vcc
	s_cbranch_execz .LBB11_22
; %bb.19:
	s_load_dwordx2 s[0:1], s[4:5], 0x38
	v_add_f32_e32 v0, v0, v1
	v_add_f32_e32 v1, v2, v3
	;; [unrolled: 1-line block ×4, first 2 shown]
	v_cmp_eq_f32_e64 s[4:5], s2, 0
	s_and_b64 vcc, exec, s[4:5]
	v_mul_f32_e32 v0, s16, v0
	v_mul_f32_e32 v1, s16, v1
	;; [unrolled: 1-line block ×4, first 2 shown]
	v_lshlrev_b32_e32 v4, 2, v4
	s_cbranch_vccz .LBB11_23
; %bb.20:
	v_ashrrev_i32_e32 v5, 31, v4
	v_lshlrev_b64 v[5:6], 2, v[4:5]
	s_waitcnt lgkmcnt(0)
	v_mov_b32_e32 v7, s1
	v_add_co_u32_e32 v5, vcc, s0, v5
	v_addc_co_u32_e32 v6, vcc, v7, v6, vcc
	global_store_dwordx4 v[5:6], v[0:3], off
	s_cbranch_execnz .LBB11_22
.LBB11_21:
	v_ashrrev_i32_e32 v5, 31, v4
	v_lshlrev_b64 v[4:5], 2, v[4:5]
	s_waitcnt lgkmcnt(0)
	v_mov_b32_e32 v6, s1
	v_add_co_u32_e32 v8, vcc, s0, v4
	v_addc_co_u32_e32 v9, vcc, v6, v5, vcc
	global_load_dwordx4 v[4:7], v[8:9], off
	s_waitcnt vmcnt(0)
	v_fmac_f32_e32 v0, s2, v4
	v_fmac_f32_e32 v1, s2, v5
	;; [unrolled: 1-line block ×4, first 2 shown]
	global_store_dwordx4 v[8:9], v[0:3], off
.LBB11_22:
	s_endpgm
.LBB11_23:
	s_branch .LBB11_21
	.section	.rodata,"a",@progbits
	.p2align	6, 0x0
	.amdhsa_kernel _ZN9rocsparseL19gebsrmvn_4xn_kernelILj128ELj3ELj8EfEEvi20rocsparse_direction_NS_24const_host_device_scalarIT2_EEPKiS6_PKS3_S8_S4_PS3_21rocsparse_index_base_b
		.amdhsa_group_segment_fixed_size 0
		.amdhsa_private_segment_fixed_size 0
		.amdhsa_kernarg_size 72
		.amdhsa_user_sgpr_count 6
		.amdhsa_user_sgpr_private_segment_buffer 1
		.amdhsa_user_sgpr_dispatch_ptr 0
		.amdhsa_user_sgpr_queue_ptr 0
		.amdhsa_user_sgpr_kernarg_segment_ptr 1
		.amdhsa_user_sgpr_dispatch_id 0
		.amdhsa_user_sgpr_flat_scratch_init 0
		.amdhsa_user_sgpr_private_segment_size 0
		.amdhsa_uses_dynamic_stack 0
		.amdhsa_system_sgpr_private_segment_wavefront_offset 0
		.amdhsa_system_sgpr_workgroup_id_x 1
		.amdhsa_system_sgpr_workgroup_id_y 0
		.amdhsa_system_sgpr_workgroup_id_z 0
		.amdhsa_system_sgpr_workgroup_info 0
		.amdhsa_system_vgpr_workitem_id 0
		.amdhsa_next_free_vgpr 36
		.amdhsa_next_free_sgpr 20
		.amdhsa_reserve_vcc 1
		.amdhsa_reserve_flat_scratch 0
		.amdhsa_float_round_mode_32 0
		.amdhsa_float_round_mode_16_64 0
		.amdhsa_float_denorm_mode_32 3
		.amdhsa_float_denorm_mode_16_64 3
		.amdhsa_dx10_clamp 1
		.amdhsa_ieee_mode 1
		.amdhsa_fp16_overflow 0
		.amdhsa_exception_fp_ieee_invalid_op 0
		.amdhsa_exception_fp_denorm_src 0
		.amdhsa_exception_fp_ieee_div_zero 0
		.amdhsa_exception_fp_ieee_overflow 0
		.amdhsa_exception_fp_ieee_underflow 0
		.amdhsa_exception_fp_ieee_inexact 0
		.amdhsa_exception_int_div_zero 0
	.end_amdhsa_kernel
	.section	.text._ZN9rocsparseL19gebsrmvn_4xn_kernelILj128ELj3ELj8EfEEvi20rocsparse_direction_NS_24const_host_device_scalarIT2_EEPKiS6_PKS3_S8_S4_PS3_21rocsparse_index_base_b,"axG",@progbits,_ZN9rocsparseL19gebsrmvn_4xn_kernelILj128ELj3ELj8EfEEvi20rocsparse_direction_NS_24const_host_device_scalarIT2_EEPKiS6_PKS3_S8_S4_PS3_21rocsparse_index_base_b,comdat
.Lfunc_end11:
	.size	_ZN9rocsparseL19gebsrmvn_4xn_kernelILj128ELj3ELj8EfEEvi20rocsparse_direction_NS_24const_host_device_scalarIT2_EEPKiS6_PKS3_S8_S4_PS3_21rocsparse_index_base_b, .Lfunc_end11-_ZN9rocsparseL19gebsrmvn_4xn_kernelILj128ELj3ELj8EfEEvi20rocsparse_direction_NS_24const_host_device_scalarIT2_EEPKiS6_PKS3_S8_S4_PS3_21rocsparse_index_base_b
                                        ; -- End function
	.set _ZN9rocsparseL19gebsrmvn_4xn_kernelILj128ELj3ELj8EfEEvi20rocsparse_direction_NS_24const_host_device_scalarIT2_EEPKiS6_PKS3_S8_S4_PS3_21rocsparse_index_base_b.num_vgpr, 36
	.set _ZN9rocsparseL19gebsrmvn_4xn_kernelILj128ELj3ELj8EfEEvi20rocsparse_direction_NS_24const_host_device_scalarIT2_EEPKiS6_PKS3_S8_S4_PS3_21rocsparse_index_base_b.num_agpr, 0
	.set _ZN9rocsparseL19gebsrmvn_4xn_kernelILj128ELj3ELj8EfEEvi20rocsparse_direction_NS_24const_host_device_scalarIT2_EEPKiS6_PKS3_S8_S4_PS3_21rocsparse_index_base_b.numbered_sgpr, 20
	.set _ZN9rocsparseL19gebsrmvn_4xn_kernelILj128ELj3ELj8EfEEvi20rocsparse_direction_NS_24const_host_device_scalarIT2_EEPKiS6_PKS3_S8_S4_PS3_21rocsparse_index_base_b.num_named_barrier, 0
	.set _ZN9rocsparseL19gebsrmvn_4xn_kernelILj128ELj3ELj8EfEEvi20rocsparse_direction_NS_24const_host_device_scalarIT2_EEPKiS6_PKS3_S8_S4_PS3_21rocsparse_index_base_b.private_seg_size, 0
	.set _ZN9rocsparseL19gebsrmvn_4xn_kernelILj128ELj3ELj8EfEEvi20rocsparse_direction_NS_24const_host_device_scalarIT2_EEPKiS6_PKS3_S8_S4_PS3_21rocsparse_index_base_b.uses_vcc, 1
	.set _ZN9rocsparseL19gebsrmvn_4xn_kernelILj128ELj3ELj8EfEEvi20rocsparse_direction_NS_24const_host_device_scalarIT2_EEPKiS6_PKS3_S8_S4_PS3_21rocsparse_index_base_b.uses_flat_scratch, 0
	.set _ZN9rocsparseL19gebsrmvn_4xn_kernelILj128ELj3ELj8EfEEvi20rocsparse_direction_NS_24const_host_device_scalarIT2_EEPKiS6_PKS3_S8_S4_PS3_21rocsparse_index_base_b.has_dyn_sized_stack, 0
	.set _ZN9rocsparseL19gebsrmvn_4xn_kernelILj128ELj3ELj8EfEEvi20rocsparse_direction_NS_24const_host_device_scalarIT2_EEPKiS6_PKS3_S8_S4_PS3_21rocsparse_index_base_b.has_recursion, 0
	.set _ZN9rocsparseL19gebsrmvn_4xn_kernelILj128ELj3ELj8EfEEvi20rocsparse_direction_NS_24const_host_device_scalarIT2_EEPKiS6_PKS3_S8_S4_PS3_21rocsparse_index_base_b.has_indirect_call, 0
	.section	.AMDGPU.csdata,"",@progbits
; Kernel info:
; codeLenInByte = 1500
; TotalNumSgprs: 24
; NumVgprs: 36
; ScratchSize: 0
; MemoryBound: 0
; FloatMode: 240
; IeeeMode: 1
; LDSByteSize: 0 bytes/workgroup (compile time only)
; SGPRBlocks: 2
; VGPRBlocks: 8
; NumSGPRsForWavesPerEU: 24
; NumVGPRsForWavesPerEU: 36
; Occupancy: 7
; WaveLimiterHint : 1
; COMPUTE_PGM_RSRC2:SCRATCH_EN: 0
; COMPUTE_PGM_RSRC2:USER_SGPR: 6
; COMPUTE_PGM_RSRC2:TRAP_HANDLER: 0
; COMPUTE_PGM_RSRC2:TGID_X_EN: 1
; COMPUTE_PGM_RSRC2:TGID_Y_EN: 0
; COMPUTE_PGM_RSRC2:TGID_Z_EN: 0
; COMPUTE_PGM_RSRC2:TIDIG_COMP_CNT: 0
	.section	.text._ZN9rocsparseL19gebsrmvn_4xn_kernelILj128ELj3ELj16EfEEvi20rocsparse_direction_NS_24const_host_device_scalarIT2_EEPKiS6_PKS3_S8_S4_PS3_21rocsparse_index_base_b,"axG",@progbits,_ZN9rocsparseL19gebsrmvn_4xn_kernelILj128ELj3ELj16EfEEvi20rocsparse_direction_NS_24const_host_device_scalarIT2_EEPKiS6_PKS3_S8_S4_PS3_21rocsparse_index_base_b,comdat
	.globl	_ZN9rocsparseL19gebsrmvn_4xn_kernelILj128ELj3ELj16EfEEvi20rocsparse_direction_NS_24const_host_device_scalarIT2_EEPKiS6_PKS3_S8_S4_PS3_21rocsparse_index_base_b ; -- Begin function _ZN9rocsparseL19gebsrmvn_4xn_kernelILj128ELj3ELj16EfEEvi20rocsparse_direction_NS_24const_host_device_scalarIT2_EEPKiS6_PKS3_S8_S4_PS3_21rocsparse_index_base_b
	.p2align	8
	.type	_ZN9rocsparseL19gebsrmvn_4xn_kernelILj128ELj3ELj16EfEEvi20rocsparse_direction_NS_24const_host_device_scalarIT2_EEPKiS6_PKS3_S8_S4_PS3_21rocsparse_index_base_b,@function
_ZN9rocsparseL19gebsrmvn_4xn_kernelILj128ELj3ELj16EfEEvi20rocsparse_direction_NS_24const_host_device_scalarIT2_EEPKiS6_PKS3_S8_S4_PS3_21rocsparse_index_base_b: ; @_ZN9rocsparseL19gebsrmvn_4xn_kernelILj128ELj3ELj16EfEEvi20rocsparse_direction_NS_24const_host_device_scalarIT2_EEPKiS6_PKS3_S8_S4_PS3_21rocsparse_index_base_b
; %bb.0:
	s_load_dwordx2 s[18:19], s[4:5], 0x40
	s_load_dwordx2 s[16:17], s[4:5], 0x8
	;; [unrolled: 1-line block ×3, first 2 shown]
	s_waitcnt lgkmcnt(0)
	s_bitcmp1_b32 s19, 0
	s_cselect_b64 s[8:9], -1, 0
	s_xor_b64 s[0:1], s[8:9], -1
	s_and_b64 vcc, exec, s[8:9]
	s_cbranch_vccnz .LBB12_2
; %bb.1:
	s_load_dword s16, s[16:17], 0x0
.LBB12_2:
	s_andn2_b64 vcc, exec, s[0:1]
	s_cbranch_vccnz .LBB12_4
; %bb.3:
	s_load_dword s2, s[2:3], 0x0
.LBB12_4:
	s_waitcnt lgkmcnt(0)
	v_cmp_eq_f32_e64 s[0:1], s16, 0
	v_cmp_eq_f32_e64 s[8:9], s2, 1.0
	s_and_b64 s[0:1], s[0:1], s[8:9]
	s_and_b64 vcc, exec, s[0:1]
	s_cbranch_vccnz .LBB12_22
; %bb.5:
	s_load_dwordx2 s[0:1], s[4:5], 0x0
	v_lshrrev_b32_e32 v1, 4, v0
	v_lshl_or_b32 v4, s6, 3, v1
	s_waitcnt lgkmcnt(0)
	v_cmp_gt_i32_e32 vcc, s0, v4
	s_and_saveexec_b64 s[6:7], vcc
	s_cbranch_execz .LBB12_22
; %bb.6:
	s_load_dwordx8 s[8:15], s[4:5], 0x10
	v_ashrrev_i32_e32 v5, 31, v4
	v_lshlrev_b64 v[1:2], 2, v[4:5]
	v_and_b32_e32 v7, 15, v0
	s_cmp_lg_u32 s1, 0
	s_waitcnt lgkmcnt(0)
	v_mov_b32_e32 v3, s9
	v_add_co_u32_e32 v1, vcc, s8, v1
	v_addc_co_u32_e32 v2, vcc, v3, v2, vcc
	global_load_dwordx2 v[1:2], v[1:2], off
	s_waitcnt vmcnt(0)
	v_subrev_u32_e32 v0, s18, v1
	v_subrev_u32_e32 v9, s18, v2
	v_add_u32_e32 v0, v0, v7
	v_cmp_lt_i32_e64 s[0:1], v0, v9
	s_cbranch_scc0 .LBB12_12
; %bb.7:
	v_mov_b32_e32 v11, 0
	v_mov_b32_e32 v8, 0
	;; [unrolled: 1-line block ×4, first 2 shown]
	s_and_saveexec_b64 s[6:7], s[0:1]
	s_cbranch_execz .LBB12_11
; %bb.8:
	v_mul_lo_u32 v1, v0, 12
	v_mov_b32_e32 v2, 0
	s_mov_b64 s[8:9], 0
	v_mov_b32_e32 v3, s11
	v_mov_b32_e32 v13, s13
	;; [unrolled: 1-line block ×8, first 2 shown]
.LBB12_9:                               ; =>This Inner Loop Header: Depth=1
	v_ashrrev_i32_e32 v6, 31, v5
	v_lshlrev_b64 v[15:16], 2, v[5:6]
	v_add_u32_e32 v17, 4, v1
	v_add_co_u32_e32 v15, vcc, s10, v15
	v_addc_co_u32_e32 v16, vcc, v3, v16, vcc
	global_load_dword v6, v[15:16], off
	v_lshlrev_b64 v[15:16], 2, v[1:2]
	v_mov_b32_e32 v18, v2
	v_lshlrev_b64 v[21:22], 2, v[17:18]
	v_add_co_u32_e32 v15, vcc, s12, v15
	v_add_u32_e32 v19, 8, v1
	v_mov_b32_e32 v20, v2
	v_addc_co_u32_e32 v16, vcc, v13, v16, vcc
	v_lshlrev_b64 v[19:20], 2, v[19:20]
	v_add_co_u32_e32 v32, vcc, s12, v21
	v_addc_co_u32_e32 v33, vcc, v13, v22, vcc
	v_mov_b32_e32 v28, v2
	v_add_co_u32_e32 v34, vcc, s12, v19
	global_load_dwordx4 v[15:18], v[15:16], off
	v_addc_co_u32_e32 v35, vcc, v13, v20, vcc
	global_load_dwordx4 v[19:22], v[32:33], off
	global_load_dwordx4 v[23:26], v[34:35], off
	v_mov_b32_e32 v29, v2
	v_mov_b32_e32 v31, v2
	v_add_u32_e32 v5, 16, v5
	v_add_u32_e32 v1, 0xc0, v1
	s_waitcnt vmcnt(3)
	v_subrev_u32_e32 v6, s18, v6
	v_lshl_add_u32 v27, v6, 1, v6
	v_lshlrev_b64 v[32:33], 2, v[27:28]
	v_add_u32_e32 v28, 1, v27
	v_add_u32_e32 v30, 2, v27
	v_lshlrev_b64 v[27:28], 2, v[28:29]
	v_lshlrev_b64 v[29:30], 2, v[30:31]
	v_add_co_u32_e32 v31, vcc, s14, v32
	v_addc_co_u32_e32 v32, vcc, v14, v33, vcc
	v_add_co_u32_e32 v27, vcc, s14, v27
	global_load_dword v6, v[31:32], off
	v_addc_co_u32_e32 v28, vcc, v14, v28, vcc
	v_add_co_u32_e32 v29, vcc, s14, v29
	v_addc_co_u32_e32 v30, vcc, v14, v30, vcc
	global_load_dword v31, v[27:28], off
	global_load_dword v32, v[29:30], off
	v_cmp_ge_i32_e32 vcc, v5, v9
	s_or_b64 s[8:9], vcc, s[8:9]
	s_waitcnt vmcnt(2)
	v_fmac_f32_e32 v11, v15, v6
	v_fmac_f32_e32 v12, v16, v6
	v_fmac_f32_e32 v10, v17, v6
	v_fmac_f32_e32 v8, v18, v6
	s_waitcnt vmcnt(1)
	v_fmac_f32_e32 v11, v19, v31
	v_fmac_f32_e32 v12, v20, v31
	v_fmac_f32_e32 v10, v21, v31
	v_fmac_f32_e32 v8, v22, v31
	;; [unrolled: 5-line block ×3, first 2 shown]
	s_andn2_b64 exec, exec, s[8:9]
	s_cbranch_execnz .LBB12_9
; %bb.10:
	s_or_b64 exec, exec, s[8:9]
.LBB12_11:
	s_or_b64 exec, exec, s[6:7]
	s_cbranch_execz .LBB12_13
	s_branch .LBB12_18
.LBB12_12:
                                        ; implicit-def: $vgpr11
                                        ; implicit-def: $vgpr8
                                        ; implicit-def: $vgpr10
                                        ; implicit-def: $vgpr12
.LBB12_13:
	v_mov_b32_e32 v11, 0
	v_mov_b32_e32 v8, 0
	;; [unrolled: 1-line block ×4, first 2 shown]
	s_and_saveexec_b64 s[6:7], s[0:1]
	s_cbranch_execz .LBB12_17
; %bb.14:
	v_mad_u64_u32 v[2:3], s[0:1], v0, 12, 11
	v_mov_b32_e32 v6, 0
	s_mov_b64 s[0:1], 0
	v_mov_b32_e32 v13, s11
	v_mov_b32_e32 v14, s13
	;; [unrolled: 1-line block ×7, first 2 shown]
.LBB12_15:                              ; =>This Inner Loop Header: Depth=1
	v_ashrrev_i32_e32 v1, 31, v0
	v_lshlrev_b64 v[20:21], 2, v[0:1]
	v_add_u32_e32 v5, -11, v2
	v_add_co_u32_e32 v20, vcc, s10, v20
	v_addc_co_u32_e32 v21, vcc, v13, v21, vcc
	global_load_dword v1, v[20:21], off
	v_lshlrev_b64 v[22:23], 2, v[5:6]
	v_add_u32_e32 v18, -5, v2
	v_mov_b32_e32 v19, v6
	v_lshlrev_b64 v[18:19], 2, v[18:19]
	v_add_co_u32_e32 v22, vcc, s12, v22
	v_add_u32_e32 v20, -2, v2
	v_mov_b32_e32 v21, v6
	v_addc_co_u32_e32 v23, vcc, v14, v23, vcc
	v_lshlrev_b64 v[20:21], 2, v[20:21]
	v_add_co_u32_e32 v18, vcc, s12, v18
	v_mov_b32_e32 v3, v6
	v_addc_co_u32_e32 v19, vcc, v14, v19, vcc
	v_lshlrev_b64 v[24:25], 2, v[2:3]
	v_add_co_u32_e32 v20, vcc, s12, v20
	v_addc_co_u32_e32 v21, vcc, v14, v21, vcc
	v_mov_b32_e32 v17, v6
	v_add_co_u32_e32 v24, vcc, s12, v24
	v_addc_co_u32_e32 v25, vcc, v14, v25, vcc
	global_load_dword v3, v[18:19], off
	global_load_dword v28, v[20:21], off
	;; [unrolled: 1-line block ×3, first 2 shown]
	v_add_u32_e32 v0, 16, v0
	s_waitcnt vmcnt(3)
	v_subrev_u32_e32 v1, s18, v1
	v_lshl_add_u32 v16, v1, 1, v1
	v_lshlrev_b64 v[17:18], 2, v[16:17]
	v_add_u32_e32 v5, 1, v16
	v_lshlrev_b64 v[19:20], 2, v[5:6]
	v_add_co_u32_e32 v17, vcc, s14, v17
	v_add_u32_e32 v5, -7, v2
	v_addc_co_u32_e32 v18, vcc, v15, v18, vcc
	v_lshlrev_b64 v[24:25], 2, v[5:6]
	v_add_co_u32_e32 v19, vcc, s14, v19
	v_add_u32_e32 v5, -4, v2
	v_addc_co_u32_e32 v20, vcc, v15, v20, vcc
	v_lshlrev_b64 v[26:27], 2, v[5:6]
	global_load_dword v1, v[17:18], off
	global_load_dword v30, v[19:20], off
	v_add_co_u32_e32 v19, vcc, s12, v24
	v_add_u32_e32 v5, -1, v2
	v_addc_co_u32_e32 v20, vcc, v14, v25, vcc
	v_lshlrev_b64 v[17:18], 2, v[5:6]
	v_add_co_u32_e32 v26, vcc, s12, v26
	v_add_u32_e32 v5, 2, v16
	v_addc_co_u32_e32 v27, vcc, v14, v27, vcc
	v_lshlrev_b64 v[24:25], 2, v[5:6]
	v_add_co_u32_e32 v16, vcc, s12, v17
	v_add_u32_e32 v5, -6, v2
	v_addc_co_u32_e32 v17, vcc, v14, v18, vcc
	global_load_dword v31, v[19:20], off
	v_lshlrev_b64 v[18:19], 2, v[5:6]
	v_add_co_u32_e32 v20, vcc, s14, v24
	v_add_u32_e32 v5, -3, v2
	v_addc_co_u32_e32 v21, vcc, v15, v25, vcc
	global_load_dword v32, v[26:27], off
	v_lshlrev_b64 v[24:25], 2, v[5:6]
	global_load_dword v5, v[16:17], off
	v_add_co_u32_e32 v26, vcc, s12, v18
	v_addc_co_u32_e32 v27, vcc, v14, v19, vcc
	v_add_co_u32_e32 v24, vcc, s12, v24
	v_addc_co_u32_e32 v25, vcc, v14, v25, vcc
	global_load_dwordx4 v[16:19], v[22:23], off
	global_load_dword v33, v[20:21], off
	global_load_dword v34, v[26:27], off
	global_load_dword v35, v[24:25], off
	v_cmp_ge_i32_e32 vcc, v0, v9
	s_or_b64 s[0:1], vcc, s[0:1]
	v_add_u32_e32 v2, 0xc0, v2
	s_waitcnt vmcnt(8)
	v_fmac_f32_e32 v10, v3, v1
	v_fmac_f32_e32 v8, v28, v1
	s_waitcnt vmcnt(5)
	v_fmac_f32_e32 v10, v32, v30
	s_waitcnt vmcnt(4)
	;; [unrolled: 2-line block ×3, first 2 shown]
	v_fmac_f32_e32 v11, v16, v1
	v_fmac_f32_e32 v12, v19, v1
	;; [unrolled: 1-line block ×4, first 2 shown]
	s_waitcnt vmcnt(2)
	v_fmac_f32_e32 v11, v18, v33
	v_fmac_f32_e32 v8, v29, v33
	s_waitcnt vmcnt(1)
	v_fmac_f32_e32 v12, v34, v33
	s_waitcnt vmcnt(0)
	v_fmac_f32_e32 v10, v35, v33
	s_andn2_b64 exec, exec, s[0:1]
	s_cbranch_execnz .LBB12_15
; %bb.16:
	s_or_b64 exec, exec, s[0:1]
.LBB12_17:
	s_or_b64 exec, exec, s[6:7]
.LBB12_18:
	v_mov_b32_dpp v0, v11 row_shr:1 row_mask:0xf bank_mask:0xf
	v_mov_b32_dpp v2, v12 row_shr:1 row_mask:0xf bank_mask:0xf
	v_mov_b32_dpp v5, v10 row_shr:1 row_mask:0xf bank_mask:0xf
	v_mov_b32_dpp v9, v8 row_shr:1 row_mask:0xf bank_mask:0xf
	v_add_f32_e32 v0, v11, v0
	v_add_f32_e32 v2, v12, v2
	v_add_f32_e32 v5, v10, v5
	v_add_f32_e32 v8, v8, v9
	v_mov_b32_dpp v1, v0 row_shr:2 row_mask:0xf bank_mask:0xf
	v_mov_b32_dpp v3, v2 row_shr:2 row_mask:0xf bank_mask:0xf
	v_mov_b32_dpp v6, v5 row_shr:2 row_mask:0xf bank_mask:0xf
	v_mov_b32_dpp v9, v8 row_shr:2 row_mask:0xf bank_mask:0xf
	v_add_f32_e32 v0, v0, v1
	v_add_f32_e32 v2, v2, v3
	v_add_f32_e32 v5, v5, v6
	v_add_f32_e32 v8, v8, v9
	v_mov_b32_dpp v1, v0 row_shr:4 row_mask:0xf bank_mask:0xe
	v_mov_b32_dpp v3, v2 row_shr:4 row_mask:0xf bank_mask:0xe
	v_mov_b32_dpp v6, v5 row_shr:4 row_mask:0xf bank_mask:0xe
	v_mov_b32_dpp v9, v8 row_shr:4 row_mask:0xf bank_mask:0xe
	v_add_f32_e32 v0, v0, v1
	v_add_f32_e32 v2, v2, v3
	v_add_f32_e32 v5, v5, v6
	v_add_f32_e32 v8, v8, v9
	v_mov_b32_dpp v1, v0 row_shr:8 row_mask:0xf bank_mask:0xc
	v_mov_b32_dpp v3, v2 row_shr:8 row_mask:0xf bank_mask:0xc
	;; [unrolled: 1-line block ×4, first 2 shown]
	v_cmp_eq_u32_e32 vcc, 15, v7
	s_and_b64 exec, exec, vcc
	s_cbranch_execz .LBB12_22
; %bb.19:
	s_load_dwordx2 s[0:1], s[4:5], 0x38
	v_add_f32_e32 v0, v0, v1
	v_add_f32_e32 v1, v2, v3
	;; [unrolled: 1-line block ×4, first 2 shown]
	v_cmp_eq_f32_e64 s[4:5], s2, 0
	s_and_b64 vcc, exec, s[4:5]
	v_mul_f32_e32 v0, s16, v0
	v_mul_f32_e32 v1, s16, v1
	;; [unrolled: 1-line block ×4, first 2 shown]
	v_lshlrev_b32_e32 v4, 2, v4
	s_cbranch_vccz .LBB12_23
; %bb.20:
	v_ashrrev_i32_e32 v5, 31, v4
	v_lshlrev_b64 v[5:6], 2, v[4:5]
	s_waitcnt lgkmcnt(0)
	v_mov_b32_e32 v7, s1
	v_add_co_u32_e32 v5, vcc, s0, v5
	v_addc_co_u32_e32 v6, vcc, v7, v6, vcc
	global_store_dwordx4 v[5:6], v[0:3], off
	s_cbranch_execnz .LBB12_22
.LBB12_21:
	v_ashrrev_i32_e32 v5, 31, v4
	v_lshlrev_b64 v[4:5], 2, v[4:5]
	s_waitcnt lgkmcnt(0)
	v_mov_b32_e32 v6, s1
	v_add_co_u32_e32 v8, vcc, s0, v4
	v_addc_co_u32_e32 v9, vcc, v6, v5, vcc
	global_load_dwordx4 v[4:7], v[8:9], off
	s_waitcnt vmcnt(0)
	v_fmac_f32_e32 v0, s2, v4
	v_fmac_f32_e32 v1, s2, v5
	;; [unrolled: 1-line block ×4, first 2 shown]
	global_store_dwordx4 v[8:9], v[0:3], off
.LBB12_22:
	s_endpgm
.LBB12_23:
	s_branch .LBB12_21
	.section	.rodata,"a",@progbits
	.p2align	6, 0x0
	.amdhsa_kernel _ZN9rocsparseL19gebsrmvn_4xn_kernelILj128ELj3ELj16EfEEvi20rocsparse_direction_NS_24const_host_device_scalarIT2_EEPKiS6_PKS3_S8_S4_PS3_21rocsparse_index_base_b
		.amdhsa_group_segment_fixed_size 0
		.amdhsa_private_segment_fixed_size 0
		.amdhsa_kernarg_size 72
		.amdhsa_user_sgpr_count 6
		.amdhsa_user_sgpr_private_segment_buffer 1
		.amdhsa_user_sgpr_dispatch_ptr 0
		.amdhsa_user_sgpr_queue_ptr 0
		.amdhsa_user_sgpr_kernarg_segment_ptr 1
		.amdhsa_user_sgpr_dispatch_id 0
		.amdhsa_user_sgpr_flat_scratch_init 0
		.amdhsa_user_sgpr_private_segment_size 0
		.amdhsa_uses_dynamic_stack 0
		.amdhsa_system_sgpr_private_segment_wavefront_offset 0
		.amdhsa_system_sgpr_workgroup_id_x 1
		.amdhsa_system_sgpr_workgroup_id_y 0
		.amdhsa_system_sgpr_workgroup_id_z 0
		.amdhsa_system_sgpr_workgroup_info 0
		.amdhsa_system_vgpr_workitem_id 0
		.amdhsa_next_free_vgpr 36
		.amdhsa_next_free_sgpr 20
		.amdhsa_reserve_vcc 1
		.amdhsa_reserve_flat_scratch 0
		.amdhsa_float_round_mode_32 0
		.amdhsa_float_round_mode_16_64 0
		.amdhsa_float_denorm_mode_32 3
		.amdhsa_float_denorm_mode_16_64 3
		.amdhsa_dx10_clamp 1
		.amdhsa_ieee_mode 1
		.amdhsa_fp16_overflow 0
		.amdhsa_exception_fp_ieee_invalid_op 0
		.amdhsa_exception_fp_denorm_src 0
		.amdhsa_exception_fp_ieee_div_zero 0
		.amdhsa_exception_fp_ieee_overflow 0
		.amdhsa_exception_fp_ieee_underflow 0
		.amdhsa_exception_fp_ieee_inexact 0
		.amdhsa_exception_int_div_zero 0
	.end_amdhsa_kernel
	.section	.text._ZN9rocsparseL19gebsrmvn_4xn_kernelILj128ELj3ELj16EfEEvi20rocsparse_direction_NS_24const_host_device_scalarIT2_EEPKiS6_PKS3_S8_S4_PS3_21rocsparse_index_base_b,"axG",@progbits,_ZN9rocsparseL19gebsrmvn_4xn_kernelILj128ELj3ELj16EfEEvi20rocsparse_direction_NS_24const_host_device_scalarIT2_EEPKiS6_PKS3_S8_S4_PS3_21rocsparse_index_base_b,comdat
.Lfunc_end12:
	.size	_ZN9rocsparseL19gebsrmvn_4xn_kernelILj128ELj3ELj16EfEEvi20rocsparse_direction_NS_24const_host_device_scalarIT2_EEPKiS6_PKS3_S8_S4_PS3_21rocsparse_index_base_b, .Lfunc_end12-_ZN9rocsparseL19gebsrmvn_4xn_kernelILj128ELj3ELj16EfEEvi20rocsparse_direction_NS_24const_host_device_scalarIT2_EEPKiS6_PKS3_S8_S4_PS3_21rocsparse_index_base_b
                                        ; -- End function
	.set _ZN9rocsparseL19gebsrmvn_4xn_kernelILj128ELj3ELj16EfEEvi20rocsparse_direction_NS_24const_host_device_scalarIT2_EEPKiS6_PKS3_S8_S4_PS3_21rocsparse_index_base_b.num_vgpr, 36
	.set _ZN9rocsparseL19gebsrmvn_4xn_kernelILj128ELj3ELj16EfEEvi20rocsparse_direction_NS_24const_host_device_scalarIT2_EEPKiS6_PKS3_S8_S4_PS3_21rocsparse_index_base_b.num_agpr, 0
	.set _ZN9rocsparseL19gebsrmvn_4xn_kernelILj128ELj3ELj16EfEEvi20rocsparse_direction_NS_24const_host_device_scalarIT2_EEPKiS6_PKS3_S8_S4_PS3_21rocsparse_index_base_b.numbered_sgpr, 20
	.set _ZN9rocsparseL19gebsrmvn_4xn_kernelILj128ELj3ELj16EfEEvi20rocsparse_direction_NS_24const_host_device_scalarIT2_EEPKiS6_PKS3_S8_S4_PS3_21rocsparse_index_base_b.num_named_barrier, 0
	.set _ZN9rocsparseL19gebsrmvn_4xn_kernelILj128ELj3ELj16EfEEvi20rocsparse_direction_NS_24const_host_device_scalarIT2_EEPKiS6_PKS3_S8_S4_PS3_21rocsparse_index_base_b.private_seg_size, 0
	.set _ZN9rocsparseL19gebsrmvn_4xn_kernelILj128ELj3ELj16EfEEvi20rocsparse_direction_NS_24const_host_device_scalarIT2_EEPKiS6_PKS3_S8_S4_PS3_21rocsparse_index_base_b.uses_vcc, 1
	.set _ZN9rocsparseL19gebsrmvn_4xn_kernelILj128ELj3ELj16EfEEvi20rocsparse_direction_NS_24const_host_device_scalarIT2_EEPKiS6_PKS3_S8_S4_PS3_21rocsparse_index_base_b.uses_flat_scratch, 0
	.set _ZN9rocsparseL19gebsrmvn_4xn_kernelILj128ELj3ELj16EfEEvi20rocsparse_direction_NS_24const_host_device_scalarIT2_EEPKiS6_PKS3_S8_S4_PS3_21rocsparse_index_base_b.has_dyn_sized_stack, 0
	.set _ZN9rocsparseL19gebsrmvn_4xn_kernelILj128ELj3ELj16EfEEvi20rocsparse_direction_NS_24const_host_device_scalarIT2_EEPKiS6_PKS3_S8_S4_PS3_21rocsparse_index_base_b.has_recursion, 0
	.set _ZN9rocsparseL19gebsrmvn_4xn_kernelILj128ELj3ELj16EfEEvi20rocsparse_direction_NS_24const_host_device_scalarIT2_EEPKiS6_PKS3_S8_S4_PS3_21rocsparse_index_base_b.has_indirect_call, 0
	.section	.AMDGPU.csdata,"",@progbits
; Kernel info:
; codeLenInByte = 1548
; TotalNumSgprs: 24
; NumVgprs: 36
; ScratchSize: 0
; MemoryBound: 0
; FloatMode: 240
; IeeeMode: 1
; LDSByteSize: 0 bytes/workgroup (compile time only)
; SGPRBlocks: 2
; VGPRBlocks: 8
; NumSGPRsForWavesPerEU: 24
; NumVGPRsForWavesPerEU: 36
; Occupancy: 7
; WaveLimiterHint : 1
; COMPUTE_PGM_RSRC2:SCRATCH_EN: 0
; COMPUTE_PGM_RSRC2:USER_SGPR: 6
; COMPUTE_PGM_RSRC2:TRAP_HANDLER: 0
; COMPUTE_PGM_RSRC2:TGID_X_EN: 1
; COMPUTE_PGM_RSRC2:TGID_Y_EN: 0
; COMPUTE_PGM_RSRC2:TGID_Z_EN: 0
; COMPUTE_PGM_RSRC2:TIDIG_COMP_CNT: 0
	.section	.text._ZN9rocsparseL19gebsrmvn_4xn_kernelILj128ELj3ELj32EfEEvi20rocsparse_direction_NS_24const_host_device_scalarIT2_EEPKiS6_PKS3_S8_S4_PS3_21rocsparse_index_base_b,"axG",@progbits,_ZN9rocsparseL19gebsrmvn_4xn_kernelILj128ELj3ELj32EfEEvi20rocsparse_direction_NS_24const_host_device_scalarIT2_EEPKiS6_PKS3_S8_S4_PS3_21rocsparse_index_base_b,comdat
	.globl	_ZN9rocsparseL19gebsrmvn_4xn_kernelILj128ELj3ELj32EfEEvi20rocsparse_direction_NS_24const_host_device_scalarIT2_EEPKiS6_PKS3_S8_S4_PS3_21rocsparse_index_base_b ; -- Begin function _ZN9rocsparseL19gebsrmvn_4xn_kernelILj128ELj3ELj32EfEEvi20rocsparse_direction_NS_24const_host_device_scalarIT2_EEPKiS6_PKS3_S8_S4_PS3_21rocsparse_index_base_b
	.p2align	8
	.type	_ZN9rocsparseL19gebsrmvn_4xn_kernelILj128ELj3ELj32EfEEvi20rocsparse_direction_NS_24const_host_device_scalarIT2_EEPKiS6_PKS3_S8_S4_PS3_21rocsparse_index_base_b,@function
_ZN9rocsparseL19gebsrmvn_4xn_kernelILj128ELj3ELj32EfEEvi20rocsparse_direction_NS_24const_host_device_scalarIT2_EEPKiS6_PKS3_S8_S4_PS3_21rocsparse_index_base_b: ; @_ZN9rocsparseL19gebsrmvn_4xn_kernelILj128ELj3ELj32EfEEvi20rocsparse_direction_NS_24const_host_device_scalarIT2_EEPKiS6_PKS3_S8_S4_PS3_21rocsparse_index_base_b
; %bb.0:
	s_load_dwordx2 s[18:19], s[4:5], 0x40
	s_load_dwordx2 s[16:17], s[4:5], 0x8
	s_load_dwordx2 s[2:3], s[4:5], 0x30
	s_waitcnt lgkmcnt(0)
	s_bitcmp1_b32 s19, 0
	s_cselect_b64 s[8:9], -1, 0
	s_xor_b64 s[0:1], s[8:9], -1
	s_and_b64 vcc, exec, s[8:9]
	s_cbranch_vccnz .LBB13_2
; %bb.1:
	s_load_dword s16, s[16:17], 0x0
.LBB13_2:
	s_andn2_b64 vcc, exec, s[0:1]
	s_cbranch_vccnz .LBB13_4
; %bb.3:
	s_load_dword s2, s[2:3], 0x0
.LBB13_4:
	s_waitcnt lgkmcnt(0)
	v_cmp_eq_f32_e64 s[0:1], s16, 0
	v_cmp_eq_f32_e64 s[8:9], s2, 1.0
	s_and_b64 s[0:1], s[0:1], s[8:9]
	s_and_b64 vcc, exec, s[0:1]
	s_cbranch_vccnz .LBB13_22
; %bb.5:
	s_load_dwordx2 s[0:1], s[4:5], 0x0
	v_lshrrev_b32_e32 v1, 5, v0
	v_lshl_or_b32 v4, s6, 2, v1
	s_waitcnt lgkmcnt(0)
	v_cmp_gt_i32_e32 vcc, s0, v4
	s_and_saveexec_b64 s[6:7], vcc
	s_cbranch_execz .LBB13_22
; %bb.6:
	s_load_dwordx8 s[8:15], s[4:5], 0x10
	v_ashrrev_i32_e32 v5, 31, v4
	v_lshlrev_b64 v[1:2], 2, v[4:5]
	v_and_b32_e32 v7, 31, v0
	s_cmp_lg_u32 s1, 0
	s_waitcnt lgkmcnt(0)
	v_mov_b32_e32 v3, s9
	v_add_co_u32_e32 v1, vcc, s8, v1
	v_addc_co_u32_e32 v2, vcc, v3, v2, vcc
	global_load_dwordx2 v[1:2], v[1:2], off
	s_waitcnt vmcnt(0)
	v_subrev_u32_e32 v0, s18, v1
	v_subrev_u32_e32 v9, s18, v2
	v_add_u32_e32 v0, v0, v7
	v_cmp_lt_i32_e64 s[0:1], v0, v9
	s_cbranch_scc0 .LBB13_12
; %bb.7:
	v_mov_b32_e32 v11, 0
	v_mov_b32_e32 v8, 0
	;; [unrolled: 1-line block ×4, first 2 shown]
	s_and_saveexec_b64 s[6:7], s[0:1]
	s_cbranch_execz .LBB13_11
; %bb.8:
	v_mul_lo_u32 v1, v0, 12
	v_mov_b32_e32 v2, 0
	s_mov_b64 s[8:9], 0
	v_mov_b32_e32 v3, s11
	v_mov_b32_e32 v13, s13
	;; [unrolled: 1-line block ×8, first 2 shown]
.LBB13_9:                               ; =>This Inner Loop Header: Depth=1
	v_ashrrev_i32_e32 v6, 31, v5
	v_lshlrev_b64 v[15:16], 2, v[5:6]
	v_add_u32_e32 v17, 4, v1
	v_add_co_u32_e32 v15, vcc, s10, v15
	v_addc_co_u32_e32 v16, vcc, v3, v16, vcc
	global_load_dword v6, v[15:16], off
	v_lshlrev_b64 v[15:16], 2, v[1:2]
	v_mov_b32_e32 v18, v2
	v_lshlrev_b64 v[21:22], 2, v[17:18]
	v_add_co_u32_e32 v15, vcc, s12, v15
	v_add_u32_e32 v19, 8, v1
	v_mov_b32_e32 v20, v2
	v_addc_co_u32_e32 v16, vcc, v13, v16, vcc
	v_lshlrev_b64 v[19:20], 2, v[19:20]
	v_add_co_u32_e32 v32, vcc, s12, v21
	v_addc_co_u32_e32 v33, vcc, v13, v22, vcc
	v_mov_b32_e32 v28, v2
	v_add_co_u32_e32 v34, vcc, s12, v19
	global_load_dwordx4 v[15:18], v[15:16], off
	v_addc_co_u32_e32 v35, vcc, v13, v20, vcc
	global_load_dwordx4 v[19:22], v[32:33], off
	global_load_dwordx4 v[23:26], v[34:35], off
	v_mov_b32_e32 v29, v2
	v_mov_b32_e32 v31, v2
	v_add_u32_e32 v5, 32, v5
	v_add_u32_e32 v1, 0x180, v1
	s_waitcnt vmcnt(3)
	v_subrev_u32_e32 v6, s18, v6
	v_lshl_add_u32 v27, v6, 1, v6
	v_lshlrev_b64 v[32:33], 2, v[27:28]
	v_add_u32_e32 v28, 1, v27
	v_add_u32_e32 v30, 2, v27
	v_lshlrev_b64 v[27:28], 2, v[28:29]
	v_lshlrev_b64 v[29:30], 2, v[30:31]
	v_add_co_u32_e32 v31, vcc, s14, v32
	v_addc_co_u32_e32 v32, vcc, v14, v33, vcc
	v_add_co_u32_e32 v27, vcc, s14, v27
	global_load_dword v6, v[31:32], off
	v_addc_co_u32_e32 v28, vcc, v14, v28, vcc
	v_add_co_u32_e32 v29, vcc, s14, v29
	v_addc_co_u32_e32 v30, vcc, v14, v30, vcc
	global_load_dword v31, v[27:28], off
	global_load_dword v32, v[29:30], off
	v_cmp_ge_i32_e32 vcc, v5, v9
	s_or_b64 s[8:9], vcc, s[8:9]
	s_waitcnt vmcnt(2)
	v_fmac_f32_e32 v11, v15, v6
	v_fmac_f32_e32 v12, v16, v6
	v_fmac_f32_e32 v10, v17, v6
	v_fmac_f32_e32 v8, v18, v6
	s_waitcnt vmcnt(1)
	v_fmac_f32_e32 v11, v19, v31
	v_fmac_f32_e32 v12, v20, v31
	v_fmac_f32_e32 v10, v21, v31
	v_fmac_f32_e32 v8, v22, v31
	;; [unrolled: 5-line block ×3, first 2 shown]
	s_andn2_b64 exec, exec, s[8:9]
	s_cbranch_execnz .LBB13_9
; %bb.10:
	s_or_b64 exec, exec, s[8:9]
.LBB13_11:
	s_or_b64 exec, exec, s[6:7]
	s_cbranch_execz .LBB13_13
	s_branch .LBB13_18
.LBB13_12:
                                        ; implicit-def: $vgpr11
                                        ; implicit-def: $vgpr8
                                        ; implicit-def: $vgpr10
                                        ; implicit-def: $vgpr12
.LBB13_13:
	v_mov_b32_e32 v11, 0
	v_mov_b32_e32 v8, 0
	;; [unrolled: 1-line block ×4, first 2 shown]
	s_and_saveexec_b64 s[6:7], s[0:1]
	s_cbranch_execz .LBB13_17
; %bb.14:
	v_mad_u64_u32 v[2:3], s[0:1], v0, 12, 11
	v_mov_b32_e32 v6, 0
	s_mov_b64 s[0:1], 0
	v_mov_b32_e32 v13, s11
	v_mov_b32_e32 v14, s13
	;; [unrolled: 1-line block ×7, first 2 shown]
.LBB13_15:                              ; =>This Inner Loop Header: Depth=1
	v_ashrrev_i32_e32 v1, 31, v0
	v_lshlrev_b64 v[20:21], 2, v[0:1]
	v_add_u32_e32 v5, -11, v2
	v_add_co_u32_e32 v20, vcc, s10, v20
	v_addc_co_u32_e32 v21, vcc, v13, v21, vcc
	global_load_dword v1, v[20:21], off
	v_lshlrev_b64 v[22:23], 2, v[5:6]
	v_add_u32_e32 v18, -5, v2
	v_mov_b32_e32 v19, v6
	v_lshlrev_b64 v[18:19], 2, v[18:19]
	v_add_co_u32_e32 v22, vcc, s12, v22
	v_add_u32_e32 v20, -2, v2
	v_mov_b32_e32 v21, v6
	v_addc_co_u32_e32 v23, vcc, v14, v23, vcc
	v_lshlrev_b64 v[20:21], 2, v[20:21]
	v_add_co_u32_e32 v18, vcc, s12, v18
	v_mov_b32_e32 v3, v6
	v_addc_co_u32_e32 v19, vcc, v14, v19, vcc
	v_lshlrev_b64 v[24:25], 2, v[2:3]
	v_add_co_u32_e32 v20, vcc, s12, v20
	v_addc_co_u32_e32 v21, vcc, v14, v21, vcc
	v_mov_b32_e32 v17, v6
	v_add_co_u32_e32 v24, vcc, s12, v24
	v_addc_co_u32_e32 v25, vcc, v14, v25, vcc
	global_load_dword v3, v[18:19], off
	global_load_dword v28, v[20:21], off
	;; [unrolled: 1-line block ×3, first 2 shown]
	v_add_u32_e32 v0, 32, v0
	s_waitcnt vmcnt(3)
	v_subrev_u32_e32 v1, s18, v1
	v_lshl_add_u32 v16, v1, 1, v1
	v_lshlrev_b64 v[17:18], 2, v[16:17]
	v_add_u32_e32 v5, 1, v16
	v_lshlrev_b64 v[19:20], 2, v[5:6]
	v_add_co_u32_e32 v17, vcc, s14, v17
	v_add_u32_e32 v5, -7, v2
	v_addc_co_u32_e32 v18, vcc, v15, v18, vcc
	v_lshlrev_b64 v[24:25], 2, v[5:6]
	v_add_co_u32_e32 v19, vcc, s14, v19
	v_add_u32_e32 v5, -4, v2
	v_addc_co_u32_e32 v20, vcc, v15, v20, vcc
	v_lshlrev_b64 v[26:27], 2, v[5:6]
	global_load_dword v1, v[17:18], off
	global_load_dword v30, v[19:20], off
	v_add_co_u32_e32 v19, vcc, s12, v24
	v_add_u32_e32 v5, -1, v2
	v_addc_co_u32_e32 v20, vcc, v14, v25, vcc
	v_lshlrev_b64 v[17:18], 2, v[5:6]
	v_add_co_u32_e32 v26, vcc, s12, v26
	v_add_u32_e32 v5, 2, v16
	v_addc_co_u32_e32 v27, vcc, v14, v27, vcc
	v_lshlrev_b64 v[24:25], 2, v[5:6]
	v_add_co_u32_e32 v16, vcc, s12, v17
	v_add_u32_e32 v5, -6, v2
	v_addc_co_u32_e32 v17, vcc, v14, v18, vcc
	global_load_dword v31, v[19:20], off
	v_lshlrev_b64 v[18:19], 2, v[5:6]
	v_add_co_u32_e32 v20, vcc, s14, v24
	v_add_u32_e32 v5, -3, v2
	v_addc_co_u32_e32 v21, vcc, v15, v25, vcc
	global_load_dword v32, v[26:27], off
	v_lshlrev_b64 v[24:25], 2, v[5:6]
	global_load_dword v5, v[16:17], off
	v_add_co_u32_e32 v26, vcc, s12, v18
	v_addc_co_u32_e32 v27, vcc, v14, v19, vcc
	v_add_co_u32_e32 v24, vcc, s12, v24
	v_addc_co_u32_e32 v25, vcc, v14, v25, vcc
	global_load_dwordx4 v[16:19], v[22:23], off
	global_load_dword v33, v[20:21], off
	global_load_dword v34, v[26:27], off
	;; [unrolled: 1-line block ×3, first 2 shown]
	v_cmp_ge_i32_e32 vcc, v0, v9
	s_or_b64 s[0:1], vcc, s[0:1]
	v_add_u32_e32 v2, 0x180, v2
	s_waitcnt vmcnt(8)
	v_fmac_f32_e32 v10, v3, v1
	v_fmac_f32_e32 v8, v28, v1
	s_waitcnt vmcnt(5)
	v_fmac_f32_e32 v10, v32, v30
	s_waitcnt vmcnt(4)
	;; [unrolled: 2-line block ×3, first 2 shown]
	v_fmac_f32_e32 v11, v16, v1
	v_fmac_f32_e32 v12, v19, v1
	v_fmac_f32_e32 v11, v17, v30
	v_fmac_f32_e32 v12, v31, v30
	s_waitcnt vmcnt(2)
	v_fmac_f32_e32 v11, v18, v33
	v_fmac_f32_e32 v8, v29, v33
	s_waitcnt vmcnt(1)
	v_fmac_f32_e32 v12, v34, v33
	s_waitcnt vmcnt(0)
	v_fmac_f32_e32 v10, v35, v33
	s_andn2_b64 exec, exec, s[0:1]
	s_cbranch_execnz .LBB13_15
; %bb.16:
	s_or_b64 exec, exec, s[0:1]
.LBB13_17:
	s_or_b64 exec, exec, s[6:7]
.LBB13_18:
	v_mov_b32_dpp v0, v11 row_shr:1 row_mask:0xf bank_mask:0xf
	v_mov_b32_dpp v2, v12 row_shr:1 row_mask:0xf bank_mask:0xf
	v_mov_b32_dpp v5, v10 row_shr:1 row_mask:0xf bank_mask:0xf
	v_mov_b32_dpp v9, v8 row_shr:1 row_mask:0xf bank_mask:0xf
	v_add_f32_e32 v0, v11, v0
	v_add_f32_e32 v2, v12, v2
	v_add_f32_e32 v5, v10, v5
	v_add_f32_e32 v8, v8, v9
	v_mov_b32_dpp v1, v0 row_shr:2 row_mask:0xf bank_mask:0xf
	v_mov_b32_dpp v3, v2 row_shr:2 row_mask:0xf bank_mask:0xf
	v_mov_b32_dpp v6, v5 row_shr:2 row_mask:0xf bank_mask:0xf
	v_mov_b32_dpp v9, v8 row_shr:2 row_mask:0xf bank_mask:0xf
	v_add_f32_e32 v0, v0, v1
	v_add_f32_e32 v2, v2, v3
	v_add_f32_e32 v5, v5, v6
	v_add_f32_e32 v8, v8, v9
	;; [unrolled: 8-line block ×4, first 2 shown]
	v_mov_b32_dpp v1, v0 row_bcast:15 row_mask:0xa bank_mask:0xf
	v_mov_b32_dpp v3, v2 row_bcast:15 row_mask:0xa bank_mask:0xf
	;; [unrolled: 1-line block ×4, first 2 shown]
	v_cmp_eq_u32_e32 vcc, 31, v7
	s_and_b64 exec, exec, vcc
	s_cbranch_execz .LBB13_22
; %bb.19:
	s_load_dwordx2 s[0:1], s[4:5], 0x38
	v_add_f32_e32 v0, v0, v1
	v_add_f32_e32 v1, v2, v3
	;; [unrolled: 1-line block ×4, first 2 shown]
	v_cmp_eq_f32_e64 s[4:5], s2, 0
	s_and_b64 vcc, exec, s[4:5]
	v_mul_f32_e32 v0, s16, v0
	v_mul_f32_e32 v1, s16, v1
	;; [unrolled: 1-line block ×4, first 2 shown]
	v_lshlrev_b32_e32 v4, 2, v4
	s_cbranch_vccz .LBB13_23
; %bb.20:
	v_ashrrev_i32_e32 v5, 31, v4
	v_lshlrev_b64 v[5:6], 2, v[4:5]
	s_waitcnt lgkmcnt(0)
	v_mov_b32_e32 v7, s1
	v_add_co_u32_e32 v5, vcc, s0, v5
	v_addc_co_u32_e32 v6, vcc, v7, v6, vcc
	global_store_dwordx4 v[5:6], v[0:3], off
	s_cbranch_execnz .LBB13_22
.LBB13_21:
	v_ashrrev_i32_e32 v5, 31, v4
	v_lshlrev_b64 v[4:5], 2, v[4:5]
	s_waitcnt lgkmcnt(0)
	v_mov_b32_e32 v6, s1
	v_add_co_u32_e32 v8, vcc, s0, v4
	v_addc_co_u32_e32 v9, vcc, v6, v5, vcc
	global_load_dwordx4 v[4:7], v[8:9], off
	s_waitcnt vmcnt(0)
	v_fmac_f32_e32 v0, s2, v4
	v_fmac_f32_e32 v1, s2, v5
	;; [unrolled: 1-line block ×4, first 2 shown]
	global_store_dwordx4 v[8:9], v[0:3], off
.LBB13_22:
	s_endpgm
.LBB13_23:
	s_branch .LBB13_21
	.section	.rodata,"a",@progbits
	.p2align	6, 0x0
	.amdhsa_kernel _ZN9rocsparseL19gebsrmvn_4xn_kernelILj128ELj3ELj32EfEEvi20rocsparse_direction_NS_24const_host_device_scalarIT2_EEPKiS6_PKS3_S8_S4_PS3_21rocsparse_index_base_b
		.amdhsa_group_segment_fixed_size 0
		.amdhsa_private_segment_fixed_size 0
		.amdhsa_kernarg_size 72
		.amdhsa_user_sgpr_count 6
		.amdhsa_user_sgpr_private_segment_buffer 1
		.amdhsa_user_sgpr_dispatch_ptr 0
		.amdhsa_user_sgpr_queue_ptr 0
		.amdhsa_user_sgpr_kernarg_segment_ptr 1
		.amdhsa_user_sgpr_dispatch_id 0
		.amdhsa_user_sgpr_flat_scratch_init 0
		.amdhsa_user_sgpr_private_segment_size 0
		.amdhsa_uses_dynamic_stack 0
		.amdhsa_system_sgpr_private_segment_wavefront_offset 0
		.amdhsa_system_sgpr_workgroup_id_x 1
		.amdhsa_system_sgpr_workgroup_id_y 0
		.amdhsa_system_sgpr_workgroup_id_z 0
		.amdhsa_system_sgpr_workgroup_info 0
		.amdhsa_system_vgpr_workitem_id 0
		.amdhsa_next_free_vgpr 36
		.amdhsa_next_free_sgpr 20
		.amdhsa_reserve_vcc 1
		.amdhsa_reserve_flat_scratch 0
		.amdhsa_float_round_mode_32 0
		.amdhsa_float_round_mode_16_64 0
		.amdhsa_float_denorm_mode_32 3
		.amdhsa_float_denorm_mode_16_64 3
		.amdhsa_dx10_clamp 1
		.amdhsa_ieee_mode 1
		.amdhsa_fp16_overflow 0
		.amdhsa_exception_fp_ieee_invalid_op 0
		.amdhsa_exception_fp_denorm_src 0
		.amdhsa_exception_fp_ieee_div_zero 0
		.amdhsa_exception_fp_ieee_overflow 0
		.amdhsa_exception_fp_ieee_underflow 0
		.amdhsa_exception_fp_ieee_inexact 0
		.amdhsa_exception_int_div_zero 0
	.end_amdhsa_kernel
	.section	.text._ZN9rocsparseL19gebsrmvn_4xn_kernelILj128ELj3ELj32EfEEvi20rocsparse_direction_NS_24const_host_device_scalarIT2_EEPKiS6_PKS3_S8_S4_PS3_21rocsparse_index_base_b,"axG",@progbits,_ZN9rocsparseL19gebsrmvn_4xn_kernelILj128ELj3ELj32EfEEvi20rocsparse_direction_NS_24const_host_device_scalarIT2_EEPKiS6_PKS3_S8_S4_PS3_21rocsparse_index_base_b,comdat
.Lfunc_end13:
	.size	_ZN9rocsparseL19gebsrmvn_4xn_kernelILj128ELj3ELj32EfEEvi20rocsparse_direction_NS_24const_host_device_scalarIT2_EEPKiS6_PKS3_S8_S4_PS3_21rocsparse_index_base_b, .Lfunc_end13-_ZN9rocsparseL19gebsrmvn_4xn_kernelILj128ELj3ELj32EfEEvi20rocsparse_direction_NS_24const_host_device_scalarIT2_EEPKiS6_PKS3_S8_S4_PS3_21rocsparse_index_base_b
                                        ; -- End function
	.set _ZN9rocsparseL19gebsrmvn_4xn_kernelILj128ELj3ELj32EfEEvi20rocsparse_direction_NS_24const_host_device_scalarIT2_EEPKiS6_PKS3_S8_S4_PS3_21rocsparse_index_base_b.num_vgpr, 36
	.set _ZN9rocsparseL19gebsrmvn_4xn_kernelILj128ELj3ELj32EfEEvi20rocsparse_direction_NS_24const_host_device_scalarIT2_EEPKiS6_PKS3_S8_S4_PS3_21rocsparse_index_base_b.num_agpr, 0
	.set _ZN9rocsparseL19gebsrmvn_4xn_kernelILj128ELj3ELj32EfEEvi20rocsparse_direction_NS_24const_host_device_scalarIT2_EEPKiS6_PKS3_S8_S4_PS3_21rocsparse_index_base_b.numbered_sgpr, 20
	.set _ZN9rocsparseL19gebsrmvn_4xn_kernelILj128ELj3ELj32EfEEvi20rocsparse_direction_NS_24const_host_device_scalarIT2_EEPKiS6_PKS3_S8_S4_PS3_21rocsparse_index_base_b.num_named_barrier, 0
	.set _ZN9rocsparseL19gebsrmvn_4xn_kernelILj128ELj3ELj32EfEEvi20rocsparse_direction_NS_24const_host_device_scalarIT2_EEPKiS6_PKS3_S8_S4_PS3_21rocsparse_index_base_b.private_seg_size, 0
	.set _ZN9rocsparseL19gebsrmvn_4xn_kernelILj128ELj3ELj32EfEEvi20rocsparse_direction_NS_24const_host_device_scalarIT2_EEPKiS6_PKS3_S8_S4_PS3_21rocsparse_index_base_b.uses_vcc, 1
	.set _ZN9rocsparseL19gebsrmvn_4xn_kernelILj128ELj3ELj32EfEEvi20rocsparse_direction_NS_24const_host_device_scalarIT2_EEPKiS6_PKS3_S8_S4_PS3_21rocsparse_index_base_b.uses_flat_scratch, 0
	.set _ZN9rocsparseL19gebsrmvn_4xn_kernelILj128ELj3ELj32EfEEvi20rocsparse_direction_NS_24const_host_device_scalarIT2_EEPKiS6_PKS3_S8_S4_PS3_21rocsparse_index_base_b.has_dyn_sized_stack, 0
	.set _ZN9rocsparseL19gebsrmvn_4xn_kernelILj128ELj3ELj32EfEEvi20rocsparse_direction_NS_24const_host_device_scalarIT2_EEPKiS6_PKS3_S8_S4_PS3_21rocsparse_index_base_b.has_recursion, 0
	.set _ZN9rocsparseL19gebsrmvn_4xn_kernelILj128ELj3ELj32EfEEvi20rocsparse_direction_NS_24const_host_device_scalarIT2_EEPKiS6_PKS3_S8_S4_PS3_21rocsparse_index_base_b.has_indirect_call, 0
	.section	.AMDGPU.csdata,"",@progbits
; Kernel info:
; codeLenInByte = 1596
; TotalNumSgprs: 24
; NumVgprs: 36
; ScratchSize: 0
; MemoryBound: 0
; FloatMode: 240
; IeeeMode: 1
; LDSByteSize: 0 bytes/workgroup (compile time only)
; SGPRBlocks: 2
; VGPRBlocks: 8
; NumSGPRsForWavesPerEU: 24
; NumVGPRsForWavesPerEU: 36
; Occupancy: 7
; WaveLimiterHint : 1
; COMPUTE_PGM_RSRC2:SCRATCH_EN: 0
; COMPUTE_PGM_RSRC2:USER_SGPR: 6
; COMPUTE_PGM_RSRC2:TRAP_HANDLER: 0
; COMPUTE_PGM_RSRC2:TGID_X_EN: 1
; COMPUTE_PGM_RSRC2:TGID_Y_EN: 0
; COMPUTE_PGM_RSRC2:TGID_Z_EN: 0
; COMPUTE_PGM_RSRC2:TIDIG_COMP_CNT: 0
	.section	.text._ZN9rocsparseL19gebsrmvn_4xn_kernelILj128ELj3ELj64EfEEvi20rocsparse_direction_NS_24const_host_device_scalarIT2_EEPKiS6_PKS3_S8_S4_PS3_21rocsparse_index_base_b,"axG",@progbits,_ZN9rocsparseL19gebsrmvn_4xn_kernelILj128ELj3ELj64EfEEvi20rocsparse_direction_NS_24const_host_device_scalarIT2_EEPKiS6_PKS3_S8_S4_PS3_21rocsparse_index_base_b,comdat
	.globl	_ZN9rocsparseL19gebsrmvn_4xn_kernelILj128ELj3ELj64EfEEvi20rocsparse_direction_NS_24const_host_device_scalarIT2_EEPKiS6_PKS3_S8_S4_PS3_21rocsparse_index_base_b ; -- Begin function _ZN9rocsparseL19gebsrmvn_4xn_kernelILj128ELj3ELj64EfEEvi20rocsparse_direction_NS_24const_host_device_scalarIT2_EEPKiS6_PKS3_S8_S4_PS3_21rocsparse_index_base_b
	.p2align	8
	.type	_ZN9rocsparseL19gebsrmvn_4xn_kernelILj128ELj3ELj64EfEEvi20rocsparse_direction_NS_24const_host_device_scalarIT2_EEPKiS6_PKS3_S8_S4_PS3_21rocsparse_index_base_b,@function
_ZN9rocsparseL19gebsrmvn_4xn_kernelILj128ELj3ELj64EfEEvi20rocsparse_direction_NS_24const_host_device_scalarIT2_EEPKiS6_PKS3_S8_S4_PS3_21rocsparse_index_base_b: ; @_ZN9rocsparseL19gebsrmvn_4xn_kernelILj128ELj3ELj64EfEEvi20rocsparse_direction_NS_24const_host_device_scalarIT2_EEPKiS6_PKS3_S8_S4_PS3_21rocsparse_index_base_b
; %bb.0:
	s_load_dwordx2 s[18:19], s[4:5], 0x40
	s_load_dwordx2 s[16:17], s[4:5], 0x8
	;; [unrolled: 1-line block ×3, first 2 shown]
	s_waitcnt lgkmcnt(0)
	s_bitcmp1_b32 s19, 0
	s_cselect_b64 s[8:9], -1, 0
	s_xor_b64 s[0:1], s[8:9], -1
	s_and_b64 vcc, exec, s[8:9]
	s_cbranch_vccnz .LBB14_2
; %bb.1:
	s_load_dword s16, s[16:17], 0x0
.LBB14_2:
	s_andn2_b64 vcc, exec, s[0:1]
	s_cbranch_vccnz .LBB14_4
; %bb.3:
	s_load_dword s2, s[2:3], 0x0
.LBB14_4:
	s_waitcnt lgkmcnt(0)
	v_cmp_eq_f32_e64 s[0:1], s16, 0
	v_cmp_eq_f32_e64 s[8:9], s2, 1.0
	s_and_b64 s[0:1], s[0:1], s[8:9]
	s_and_b64 vcc, exec, s[0:1]
	s_cbranch_vccnz .LBB14_22
; %bb.5:
	s_load_dwordx2 s[0:1], s[4:5], 0x0
	v_lshrrev_b32_e32 v1, 6, v0
	v_lshl_or_b32 v4, s6, 1, v1
	s_waitcnt lgkmcnt(0)
	v_cmp_gt_i32_e32 vcc, s0, v4
	s_and_saveexec_b64 s[6:7], vcc
	s_cbranch_execz .LBB14_22
; %bb.6:
	s_load_dwordx8 s[8:15], s[4:5], 0x10
	v_ashrrev_i32_e32 v5, 31, v4
	v_lshlrev_b64 v[1:2], 2, v[4:5]
	v_and_b32_e32 v7, 63, v0
	s_cmp_lg_u32 s1, 0
	s_waitcnt lgkmcnt(0)
	v_mov_b32_e32 v3, s9
	v_add_co_u32_e32 v1, vcc, s8, v1
	v_addc_co_u32_e32 v2, vcc, v3, v2, vcc
	global_load_dwordx2 v[1:2], v[1:2], off
	s_waitcnt vmcnt(0)
	v_subrev_u32_e32 v0, s18, v1
	v_subrev_u32_e32 v10, s18, v2
	v_add_u32_e32 v0, v0, v7
	v_cmp_lt_i32_e64 s[0:1], v0, v10
	s_cbranch_scc0 .LBB14_12
; %bb.7:
	v_mov_b32_e32 v11, 0
	v_mov_b32_e32 v8, 0
	;; [unrolled: 1-line block ×4, first 2 shown]
	s_and_saveexec_b64 s[6:7], s[0:1]
	s_cbranch_execz .LBB14_11
; %bb.8:
	v_mul_lo_u32 v1, v0, 12
	v_mov_b32_e32 v2, 0
	s_mov_b64 s[8:9], 0
	v_mov_b32_e32 v3, s11
	v_mov_b32_e32 v13, s13
	;; [unrolled: 1-line block ×8, first 2 shown]
.LBB14_9:                               ; =>This Inner Loop Header: Depth=1
	v_ashrrev_i32_e32 v6, 31, v5
	v_lshlrev_b64 v[15:16], 2, v[5:6]
	v_add_u32_e32 v17, 4, v1
	v_add_co_u32_e32 v15, vcc, s10, v15
	v_addc_co_u32_e32 v16, vcc, v3, v16, vcc
	global_load_dword v6, v[15:16], off
	v_lshlrev_b64 v[15:16], 2, v[1:2]
	v_mov_b32_e32 v18, v2
	v_lshlrev_b64 v[21:22], 2, v[17:18]
	v_add_co_u32_e32 v15, vcc, s12, v15
	v_add_u32_e32 v19, 8, v1
	v_mov_b32_e32 v20, v2
	v_addc_co_u32_e32 v16, vcc, v13, v16, vcc
	v_lshlrev_b64 v[19:20], 2, v[19:20]
	v_add_co_u32_e32 v32, vcc, s12, v21
	v_addc_co_u32_e32 v33, vcc, v13, v22, vcc
	v_mov_b32_e32 v28, v2
	v_add_co_u32_e32 v34, vcc, s12, v19
	global_load_dwordx4 v[15:18], v[15:16], off
	v_addc_co_u32_e32 v35, vcc, v13, v20, vcc
	global_load_dwordx4 v[19:22], v[32:33], off
	global_load_dwordx4 v[23:26], v[34:35], off
	v_mov_b32_e32 v29, v2
	v_mov_b32_e32 v31, v2
	v_add_u32_e32 v5, 64, v5
	v_add_u32_e32 v1, 0x300, v1
	s_waitcnt vmcnt(3)
	v_subrev_u32_e32 v6, s18, v6
	v_lshl_add_u32 v27, v6, 1, v6
	v_lshlrev_b64 v[32:33], 2, v[27:28]
	v_add_u32_e32 v28, 1, v27
	v_add_u32_e32 v30, 2, v27
	v_lshlrev_b64 v[27:28], 2, v[28:29]
	v_lshlrev_b64 v[29:30], 2, v[30:31]
	v_add_co_u32_e32 v31, vcc, s14, v32
	v_addc_co_u32_e32 v32, vcc, v14, v33, vcc
	v_add_co_u32_e32 v27, vcc, s14, v27
	global_load_dword v6, v[31:32], off
	v_addc_co_u32_e32 v28, vcc, v14, v28, vcc
	v_add_co_u32_e32 v29, vcc, s14, v29
	v_addc_co_u32_e32 v30, vcc, v14, v30, vcc
	global_load_dword v31, v[27:28], off
	global_load_dword v32, v[29:30], off
	v_cmp_ge_i32_e32 vcc, v5, v10
	s_or_b64 s[8:9], vcc, s[8:9]
	s_waitcnt vmcnt(2)
	v_fmac_f32_e32 v11, v15, v6
	v_fmac_f32_e32 v12, v16, v6
	v_fmac_f32_e32 v9, v17, v6
	v_fmac_f32_e32 v8, v18, v6
	s_waitcnt vmcnt(1)
	v_fmac_f32_e32 v11, v19, v31
	v_fmac_f32_e32 v12, v20, v31
	v_fmac_f32_e32 v9, v21, v31
	v_fmac_f32_e32 v8, v22, v31
	s_waitcnt vmcnt(0)
	v_fmac_f32_e32 v11, v23, v32
	v_fmac_f32_e32 v12, v24, v32
	v_fmac_f32_e32 v9, v25, v32
	v_fmac_f32_e32 v8, v26, v32
	s_andn2_b64 exec, exec, s[8:9]
	s_cbranch_execnz .LBB14_9
; %bb.10:
	s_or_b64 exec, exec, s[8:9]
.LBB14_11:
	s_or_b64 exec, exec, s[6:7]
	s_cbranch_execz .LBB14_13
	s_branch .LBB14_18
.LBB14_12:
                                        ; implicit-def: $vgpr11
                                        ; implicit-def: $vgpr8
                                        ; implicit-def: $vgpr9
                                        ; implicit-def: $vgpr12
.LBB14_13:
	v_mov_b32_e32 v11, 0
	v_mov_b32_e32 v8, 0
	;; [unrolled: 1-line block ×4, first 2 shown]
	s_and_saveexec_b64 s[6:7], s[0:1]
	s_cbranch_execz .LBB14_17
; %bb.14:
	v_mad_u64_u32 v[2:3], s[0:1], v0, 12, 11
	v_mov_b32_e32 v6, 0
	s_mov_b64 s[0:1], 0
	v_mov_b32_e32 v13, s11
	v_mov_b32_e32 v14, s13
	;; [unrolled: 1-line block ×7, first 2 shown]
.LBB14_15:                              ; =>This Inner Loop Header: Depth=1
	v_ashrrev_i32_e32 v1, 31, v0
	v_lshlrev_b64 v[20:21], 2, v[0:1]
	v_add_u32_e32 v5, -11, v2
	v_add_co_u32_e32 v20, vcc, s10, v20
	v_addc_co_u32_e32 v21, vcc, v13, v21, vcc
	global_load_dword v1, v[20:21], off
	v_lshlrev_b64 v[22:23], 2, v[5:6]
	v_add_u32_e32 v18, -5, v2
	v_mov_b32_e32 v19, v6
	v_lshlrev_b64 v[18:19], 2, v[18:19]
	v_add_co_u32_e32 v22, vcc, s12, v22
	v_add_u32_e32 v20, -2, v2
	v_mov_b32_e32 v21, v6
	v_addc_co_u32_e32 v23, vcc, v14, v23, vcc
	v_lshlrev_b64 v[20:21], 2, v[20:21]
	v_add_co_u32_e32 v18, vcc, s12, v18
	v_mov_b32_e32 v3, v6
	v_addc_co_u32_e32 v19, vcc, v14, v19, vcc
	v_lshlrev_b64 v[24:25], 2, v[2:3]
	v_add_co_u32_e32 v20, vcc, s12, v20
	v_addc_co_u32_e32 v21, vcc, v14, v21, vcc
	v_mov_b32_e32 v17, v6
	v_add_co_u32_e32 v24, vcc, s12, v24
	v_addc_co_u32_e32 v25, vcc, v14, v25, vcc
	global_load_dword v3, v[18:19], off
	global_load_dword v28, v[20:21], off
	;; [unrolled: 1-line block ×3, first 2 shown]
	v_add_u32_e32 v0, 64, v0
	s_waitcnt vmcnt(3)
	v_subrev_u32_e32 v1, s18, v1
	v_lshl_add_u32 v16, v1, 1, v1
	v_lshlrev_b64 v[17:18], 2, v[16:17]
	v_add_u32_e32 v5, 1, v16
	v_lshlrev_b64 v[19:20], 2, v[5:6]
	v_add_co_u32_e32 v17, vcc, s14, v17
	v_add_u32_e32 v5, -7, v2
	v_addc_co_u32_e32 v18, vcc, v15, v18, vcc
	v_lshlrev_b64 v[24:25], 2, v[5:6]
	v_add_co_u32_e32 v19, vcc, s14, v19
	v_add_u32_e32 v5, -4, v2
	v_addc_co_u32_e32 v20, vcc, v15, v20, vcc
	v_lshlrev_b64 v[26:27], 2, v[5:6]
	global_load_dword v1, v[17:18], off
	global_load_dword v30, v[19:20], off
	v_add_co_u32_e32 v19, vcc, s12, v24
	v_add_u32_e32 v5, -1, v2
	v_addc_co_u32_e32 v20, vcc, v14, v25, vcc
	v_lshlrev_b64 v[17:18], 2, v[5:6]
	v_add_co_u32_e32 v26, vcc, s12, v26
	v_add_u32_e32 v5, 2, v16
	v_addc_co_u32_e32 v27, vcc, v14, v27, vcc
	v_lshlrev_b64 v[24:25], 2, v[5:6]
	v_add_co_u32_e32 v16, vcc, s12, v17
	v_add_u32_e32 v5, -6, v2
	v_addc_co_u32_e32 v17, vcc, v14, v18, vcc
	global_load_dword v31, v[19:20], off
	v_lshlrev_b64 v[18:19], 2, v[5:6]
	v_add_co_u32_e32 v20, vcc, s14, v24
	v_add_u32_e32 v5, -3, v2
	v_addc_co_u32_e32 v21, vcc, v15, v25, vcc
	global_load_dword v32, v[26:27], off
	v_lshlrev_b64 v[24:25], 2, v[5:6]
	global_load_dword v5, v[16:17], off
	v_add_co_u32_e32 v26, vcc, s12, v18
	v_addc_co_u32_e32 v27, vcc, v14, v19, vcc
	v_add_co_u32_e32 v24, vcc, s12, v24
	v_addc_co_u32_e32 v25, vcc, v14, v25, vcc
	global_load_dwordx4 v[16:19], v[22:23], off
	global_load_dword v33, v[20:21], off
	global_load_dword v34, v[26:27], off
	;; [unrolled: 1-line block ×3, first 2 shown]
	v_cmp_ge_i32_e32 vcc, v0, v10
	s_or_b64 s[0:1], vcc, s[0:1]
	v_add_u32_e32 v2, 0x300, v2
	s_waitcnt vmcnt(8)
	v_fmac_f32_e32 v9, v3, v1
	v_fmac_f32_e32 v8, v28, v1
	s_waitcnt vmcnt(5)
	v_fmac_f32_e32 v9, v32, v30
	s_waitcnt vmcnt(4)
	;; [unrolled: 2-line block ×3, first 2 shown]
	v_fmac_f32_e32 v11, v16, v1
	v_fmac_f32_e32 v12, v19, v1
	;; [unrolled: 1-line block ×4, first 2 shown]
	s_waitcnt vmcnt(2)
	v_fmac_f32_e32 v11, v18, v33
	v_fmac_f32_e32 v8, v29, v33
	s_waitcnt vmcnt(1)
	v_fmac_f32_e32 v12, v34, v33
	s_waitcnt vmcnt(0)
	v_fmac_f32_e32 v9, v35, v33
	s_andn2_b64 exec, exec, s[0:1]
	s_cbranch_execnz .LBB14_15
; %bb.16:
	s_or_b64 exec, exec, s[0:1]
.LBB14_17:
	s_or_b64 exec, exec, s[6:7]
.LBB14_18:
	v_mov_b32_dpp v5, v9 row_shr:1 row_mask:0xf bank_mask:0xf
	v_mov_b32_dpp v0, v11 row_shr:1 row_mask:0xf bank_mask:0xf
	;; [unrolled: 1-line block ×3, first 2 shown]
	v_add_f32_e32 v5, v9, v5
	v_mov_b32_dpp v9, v8 row_shr:1 row_mask:0xf bank_mask:0xf
	v_add_f32_e32 v0, v11, v0
	v_add_f32_e32 v2, v12, v2
	v_add_f32_e32 v8, v8, v9
	v_mov_b32_dpp v1, v0 row_shr:2 row_mask:0xf bank_mask:0xf
	v_mov_b32_dpp v3, v2 row_shr:2 row_mask:0xf bank_mask:0xf
	v_mov_b32_dpp v6, v5 row_shr:2 row_mask:0xf bank_mask:0xf
	v_mov_b32_dpp v9, v8 row_shr:2 row_mask:0xf bank_mask:0xf
	v_add_f32_e32 v0, v0, v1
	v_add_f32_e32 v2, v2, v3
	v_add_f32_e32 v5, v5, v6
	v_add_f32_e32 v8, v8, v9
	v_mov_b32_dpp v1, v0 row_shr:4 row_mask:0xf bank_mask:0xe
	v_mov_b32_dpp v3, v2 row_shr:4 row_mask:0xf bank_mask:0xe
	v_mov_b32_dpp v6, v5 row_shr:4 row_mask:0xf bank_mask:0xe
	v_mov_b32_dpp v9, v8 row_shr:4 row_mask:0xf bank_mask:0xe
	v_add_f32_e32 v0, v0, v1
	v_add_f32_e32 v2, v2, v3
	v_add_f32_e32 v5, v5, v6
	v_add_f32_e32 v8, v8, v9
	v_mov_b32_dpp v1, v0 row_shr:8 row_mask:0xf bank_mask:0xc
	v_mov_b32_dpp v3, v2 row_shr:8 row_mask:0xf bank_mask:0xc
	v_mov_b32_dpp v6, v5 row_shr:8 row_mask:0xf bank_mask:0xc
	v_mov_b32_dpp v9, v8 row_shr:8 row_mask:0xf bank_mask:0xc
	v_add_f32_e32 v0, v0, v1
	v_add_f32_e32 v2, v2, v3
	v_add_f32_e32 v5, v5, v6
	;; [unrolled: 1-line block ×3, first 2 shown]
	v_mov_b32_dpp v1, v0 row_bcast:15 row_mask:0xa bank_mask:0xf
	v_mov_b32_dpp v3, v2 row_bcast:15 row_mask:0xa bank_mask:0xf
	v_mov_b32_dpp v6, v5 row_bcast:15 row_mask:0xa bank_mask:0xf
	v_mov_b32_dpp v9, v8 row_bcast:15 row_mask:0xa bank_mask:0xf
	v_add_f32_e32 v0, v0, v1
	v_add_f32_e32 v2, v2, v3
	;; [unrolled: 1-line block ×4, first 2 shown]
	v_mov_b32_dpp v1, v0 row_bcast:31 row_mask:0xc bank_mask:0xf
	v_mov_b32_dpp v3, v2 row_bcast:31 row_mask:0xc bank_mask:0xf
	;; [unrolled: 1-line block ×4, first 2 shown]
	v_cmp_eq_u32_e32 vcc, 63, v7
	s_and_b64 exec, exec, vcc
	s_cbranch_execz .LBB14_22
; %bb.19:
	s_load_dwordx2 s[0:1], s[4:5], 0x38
	v_add_f32_e32 v0, v0, v1
	v_add_f32_e32 v1, v2, v3
	;; [unrolled: 1-line block ×4, first 2 shown]
	v_cmp_eq_f32_e64 s[4:5], s2, 0
	s_and_b64 vcc, exec, s[4:5]
	v_mul_f32_e32 v0, s16, v0
	v_mul_f32_e32 v1, s16, v1
	;; [unrolled: 1-line block ×4, first 2 shown]
	v_lshlrev_b32_e32 v4, 2, v4
	s_cbranch_vccz .LBB14_23
; %bb.20:
	v_ashrrev_i32_e32 v5, 31, v4
	v_lshlrev_b64 v[5:6], 2, v[4:5]
	s_waitcnt lgkmcnt(0)
	v_mov_b32_e32 v7, s1
	v_add_co_u32_e32 v5, vcc, s0, v5
	v_addc_co_u32_e32 v6, vcc, v7, v6, vcc
	global_store_dwordx4 v[5:6], v[0:3], off
	s_cbranch_execnz .LBB14_22
.LBB14_21:
	v_ashrrev_i32_e32 v5, 31, v4
	v_lshlrev_b64 v[4:5], 2, v[4:5]
	s_waitcnt lgkmcnt(0)
	v_mov_b32_e32 v6, s1
	v_add_co_u32_e32 v8, vcc, s0, v4
	v_addc_co_u32_e32 v9, vcc, v6, v5, vcc
	global_load_dwordx4 v[4:7], v[8:9], off
	s_waitcnt vmcnt(0)
	v_fmac_f32_e32 v0, s2, v4
	v_fmac_f32_e32 v1, s2, v5
	;; [unrolled: 1-line block ×4, first 2 shown]
	global_store_dwordx4 v[8:9], v[0:3], off
.LBB14_22:
	s_endpgm
.LBB14_23:
	s_branch .LBB14_21
	.section	.rodata,"a",@progbits
	.p2align	6, 0x0
	.amdhsa_kernel _ZN9rocsparseL19gebsrmvn_4xn_kernelILj128ELj3ELj64EfEEvi20rocsparse_direction_NS_24const_host_device_scalarIT2_EEPKiS6_PKS3_S8_S4_PS3_21rocsparse_index_base_b
		.amdhsa_group_segment_fixed_size 0
		.amdhsa_private_segment_fixed_size 0
		.amdhsa_kernarg_size 72
		.amdhsa_user_sgpr_count 6
		.amdhsa_user_sgpr_private_segment_buffer 1
		.amdhsa_user_sgpr_dispatch_ptr 0
		.amdhsa_user_sgpr_queue_ptr 0
		.amdhsa_user_sgpr_kernarg_segment_ptr 1
		.amdhsa_user_sgpr_dispatch_id 0
		.amdhsa_user_sgpr_flat_scratch_init 0
		.amdhsa_user_sgpr_private_segment_size 0
		.amdhsa_uses_dynamic_stack 0
		.amdhsa_system_sgpr_private_segment_wavefront_offset 0
		.amdhsa_system_sgpr_workgroup_id_x 1
		.amdhsa_system_sgpr_workgroup_id_y 0
		.amdhsa_system_sgpr_workgroup_id_z 0
		.amdhsa_system_sgpr_workgroup_info 0
		.amdhsa_system_vgpr_workitem_id 0
		.amdhsa_next_free_vgpr 36
		.amdhsa_next_free_sgpr 20
		.amdhsa_reserve_vcc 1
		.amdhsa_reserve_flat_scratch 0
		.amdhsa_float_round_mode_32 0
		.amdhsa_float_round_mode_16_64 0
		.amdhsa_float_denorm_mode_32 3
		.amdhsa_float_denorm_mode_16_64 3
		.amdhsa_dx10_clamp 1
		.amdhsa_ieee_mode 1
		.amdhsa_fp16_overflow 0
		.amdhsa_exception_fp_ieee_invalid_op 0
		.amdhsa_exception_fp_denorm_src 0
		.amdhsa_exception_fp_ieee_div_zero 0
		.amdhsa_exception_fp_ieee_overflow 0
		.amdhsa_exception_fp_ieee_underflow 0
		.amdhsa_exception_fp_ieee_inexact 0
		.amdhsa_exception_int_div_zero 0
	.end_amdhsa_kernel
	.section	.text._ZN9rocsparseL19gebsrmvn_4xn_kernelILj128ELj3ELj64EfEEvi20rocsparse_direction_NS_24const_host_device_scalarIT2_EEPKiS6_PKS3_S8_S4_PS3_21rocsparse_index_base_b,"axG",@progbits,_ZN9rocsparseL19gebsrmvn_4xn_kernelILj128ELj3ELj64EfEEvi20rocsparse_direction_NS_24const_host_device_scalarIT2_EEPKiS6_PKS3_S8_S4_PS3_21rocsparse_index_base_b,comdat
.Lfunc_end14:
	.size	_ZN9rocsparseL19gebsrmvn_4xn_kernelILj128ELj3ELj64EfEEvi20rocsparse_direction_NS_24const_host_device_scalarIT2_EEPKiS6_PKS3_S8_S4_PS3_21rocsparse_index_base_b, .Lfunc_end14-_ZN9rocsparseL19gebsrmvn_4xn_kernelILj128ELj3ELj64EfEEvi20rocsparse_direction_NS_24const_host_device_scalarIT2_EEPKiS6_PKS3_S8_S4_PS3_21rocsparse_index_base_b
                                        ; -- End function
	.set _ZN9rocsparseL19gebsrmvn_4xn_kernelILj128ELj3ELj64EfEEvi20rocsparse_direction_NS_24const_host_device_scalarIT2_EEPKiS6_PKS3_S8_S4_PS3_21rocsparse_index_base_b.num_vgpr, 36
	.set _ZN9rocsparseL19gebsrmvn_4xn_kernelILj128ELj3ELj64EfEEvi20rocsparse_direction_NS_24const_host_device_scalarIT2_EEPKiS6_PKS3_S8_S4_PS3_21rocsparse_index_base_b.num_agpr, 0
	.set _ZN9rocsparseL19gebsrmvn_4xn_kernelILj128ELj3ELj64EfEEvi20rocsparse_direction_NS_24const_host_device_scalarIT2_EEPKiS6_PKS3_S8_S4_PS3_21rocsparse_index_base_b.numbered_sgpr, 20
	.set _ZN9rocsparseL19gebsrmvn_4xn_kernelILj128ELj3ELj64EfEEvi20rocsparse_direction_NS_24const_host_device_scalarIT2_EEPKiS6_PKS3_S8_S4_PS3_21rocsparse_index_base_b.num_named_barrier, 0
	.set _ZN9rocsparseL19gebsrmvn_4xn_kernelILj128ELj3ELj64EfEEvi20rocsparse_direction_NS_24const_host_device_scalarIT2_EEPKiS6_PKS3_S8_S4_PS3_21rocsparse_index_base_b.private_seg_size, 0
	.set _ZN9rocsparseL19gebsrmvn_4xn_kernelILj128ELj3ELj64EfEEvi20rocsparse_direction_NS_24const_host_device_scalarIT2_EEPKiS6_PKS3_S8_S4_PS3_21rocsparse_index_base_b.uses_vcc, 1
	.set _ZN9rocsparseL19gebsrmvn_4xn_kernelILj128ELj3ELj64EfEEvi20rocsparse_direction_NS_24const_host_device_scalarIT2_EEPKiS6_PKS3_S8_S4_PS3_21rocsparse_index_base_b.uses_flat_scratch, 0
	.set _ZN9rocsparseL19gebsrmvn_4xn_kernelILj128ELj3ELj64EfEEvi20rocsparse_direction_NS_24const_host_device_scalarIT2_EEPKiS6_PKS3_S8_S4_PS3_21rocsparse_index_base_b.has_dyn_sized_stack, 0
	.set _ZN9rocsparseL19gebsrmvn_4xn_kernelILj128ELj3ELj64EfEEvi20rocsparse_direction_NS_24const_host_device_scalarIT2_EEPKiS6_PKS3_S8_S4_PS3_21rocsparse_index_base_b.has_recursion, 0
	.set _ZN9rocsparseL19gebsrmvn_4xn_kernelILj128ELj3ELj64EfEEvi20rocsparse_direction_NS_24const_host_device_scalarIT2_EEPKiS6_PKS3_S8_S4_PS3_21rocsparse_index_base_b.has_indirect_call, 0
	.section	.AMDGPU.csdata,"",@progbits
; Kernel info:
; codeLenInByte = 1644
; TotalNumSgprs: 24
; NumVgprs: 36
; ScratchSize: 0
; MemoryBound: 0
; FloatMode: 240
; IeeeMode: 1
; LDSByteSize: 0 bytes/workgroup (compile time only)
; SGPRBlocks: 2
; VGPRBlocks: 8
; NumSGPRsForWavesPerEU: 24
; NumVGPRsForWavesPerEU: 36
; Occupancy: 7
; WaveLimiterHint : 1
; COMPUTE_PGM_RSRC2:SCRATCH_EN: 0
; COMPUTE_PGM_RSRC2:USER_SGPR: 6
; COMPUTE_PGM_RSRC2:TRAP_HANDLER: 0
; COMPUTE_PGM_RSRC2:TGID_X_EN: 1
; COMPUTE_PGM_RSRC2:TGID_Y_EN: 0
; COMPUTE_PGM_RSRC2:TGID_Z_EN: 0
; COMPUTE_PGM_RSRC2:TIDIG_COMP_CNT: 0
	.section	.text._ZN9rocsparseL19gebsrmvn_4xn_kernelILj128ELj5ELj4EfEEvi20rocsparse_direction_NS_24const_host_device_scalarIT2_EEPKiS6_PKS3_S8_S4_PS3_21rocsparse_index_base_b,"axG",@progbits,_ZN9rocsparseL19gebsrmvn_4xn_kernelILj128ELj5ELj4EfEEvi20rocsparse_direction_NS_24const_host_device_scalarIT2_EEPKiS6_PKS3_S8_S4_PS3_21rocsparse_index_base_b,comdat
	.globl	_ZN9rocsparseL19gebsrmvn_4xn_kernelILj128ELj5ELj4EfEEvi20rocsparse_direction_NS_24const_host_device_scalarIT2_EEPKiS6_PKS3_S8_S4_PS3_21rocsparse_index_base_b ; -- Begin function _ZN9rocsparseL19gebsrmvn_4xn_kernelILj128ELj5ELj4EfEEvi20rocsparse_direction_NS_24const_host_device_scalarIT2_EEPKiS6_PKS3_S8_S4_PS3_21rocsparse_index_base_b
	.p2align	8
	.type	_ZN9rocsparseL19gebsrmvn_4xn_kernelILj128ELj5ELj4EfEEvi20rocsparse_direction_NS_24const_host_device_scalarIT2_EEPKiS6_PKS3_S8_S4_PS3_21rocsparse_index_base_b,@function
_ZN9rocsparseL19gebsrmvn_4xn_kernelILj128ELj5ELj4EfEEvi20rocsparse_direction_NS_24const_host_device_scalarIT2_EEPKiS6_PKS3_S8_S4_PS3_21rocsparse_index_base_b: ; @_ZN9rocsparseL19gebsrmvn_4xn_kernelILj128ELj5ELj4EfEEvi20rocsparse_direction_NS_24const_host_device_scalarIT2_EEPKiS6_PKS3_S8_S4_PS3_21rocsparse_index_base_b
; %bb.0:
	s_load_dwordx2 s[18:19], s[4:5], 0x40
	s_load_dwordx2 s[16:17], s[4:5], 0x8
	;; [unrolled: 1-line block ×3, first 2 shown]
	s_waitcnt lgkmcnt(0)
	s_bitcmp1_b32 s19, 0
	s_cselect_b64 s[8:9], -1, 0
	s_xor_b64 s[0:1], s[8:9], -1
	s_and_b64 vcc, exec, s[8:9]
	s_cbranch_vccnz .LBB15_2
; %bb.1:
	s_load_dword s16, s[16:17], 0x0
.LBB15_2:
	s_andn2_b64 vcc, exec, s[0:1]
	s_cbranch_vccnz .LBB15_4
; %bb.3:
	s_load_dword s2, s[2:3], 0x0
.LBB15_4:
	s_waitcnt lgkmcnt(0)
	v_cmp_eq_f32_e64 s[0:1], s16, 0
	v_cmp_eq_f32_e64 s[8:9], s2, 1.0
	s_and_b64 s[0:1], s[0:1], s[8:9]
	s_and_b64 vcc, exec, s[0:1]
	s_cbranch_vccnz .LBB15_22
; %bb.5:
	s_load_dwordx2 s[0:1], s[4:5], 0x0
	v_lshrrev_b32_e32 v1, 2, v0
	v_lshl_or_b32 v4, s6, 5, v1
	s_waitcnt lgkmcnt(0)
	v_cmp_gt_i32_e32 vcc, s0, v4
	s_and_saveexec_b64 s[6:7], vcc
	s_cbranch_execz .LBB15_22
; %bb.6:
	s_load_dwordx8 s[8:15], s[4:5], 0x10
	v_ashrrev_i32_e32 v5, 31, v4
	v_lshlrev_b64 v[1:2], 2, v[4:5]
	v_and_b32_e32 v9, 3, v0
	s_cmp_lg_u32 s1, 0
	s_waitcnt lgkmcnt(0)
	v_mov_b32_e32 v3, s9
	v_add_co_u32_e32 v1, vcc, s8, v1
	v_addc_co_u32_e32 v2, vcc, v3, v2, vcc
	global_load_dwordx2 v[1:2], v[1:2], off
	s_waitcnt vmcnt(0)
	v_subrev_u32_e32 v0, s18, v1
	v_subrev_u32_e32 v10, s18, v2
	v_add_u32_e32 v0, v0, v9
	v_cmp_lt_i32_e64 s[0:1], v0, v10
	s_cbranch_scc0 .LBB15_12
; %bb.7:
	v_mov_b32_e32 v12, 0
	v_mov_b32_e32 v11, 0
	;; [unrolled: 1-line block ×4, first 2 shown]
	s_and_saveexec_b64 s[6:7], s[0:1]
	s_cbranch_execz .LBB15_11
; %bb.8:
	v_mad_u64_u32 v[1:2], s[8:9], v0, 20, 16
	v_mov_b32_e32 v6, 0
	s_mov_b64 s[8:9], 0
	v_mov_b32_e32 v3, s11
	v_mov_b32_e32 v15, s13
	;; [unrolled: 1-line block ×8, first 2 shown]
.LBB15_9:                               ; =>This Inner Loop Header: Depth=1
	v_ashrrev_i32_e32 v8, 31, v7
	v_lshlrev_b64 v[17:18], 2, v[7:8]
	v_add_u32_e32 v5, -16, v1
	v_add_co_u32_e32 v17, vcc, s10, v17
	v_addc_co_u32_e32 v18, vcc, v3, v18, vcc
	global_load_dword v8, v[17:18], off
	v_lshlrev_b64 v[17:18], 2, v[5:6]
	v_mov_b32_e32 v2, v6
	v_lshlrev_b64 v[19:20], 2, v[1:2]
	v_add_co_u32_e32 v17, vcc, s12, v17
	v_add_u32_e32 v5, -12, v1
	v_addc_co_u32_e32 v18, vcc, v15, v18, vcc
	v_lshlrev_b64 v[21:22], 2, v[5:6]
	v_add_co_u32_e32 v29, vcc, s12, v19
	v_addc_co_u32_e32 v30, vcc, v15, v20, vcc
	v_mov_b32_e32 v34, v6
	v_add_co_u32_e32 v31, vcc, s12, v21
	global_load_dwordx4 v[17:20], v[17:18], off
	v_addc_co_u32_e32 v32, vcc, v15, v22, vcc
	global_load_dwordx4 v[21:24], v[29:30], off
	global_load_dwordx4 v[25:28], v[31:32], off
	v_add_u32_e32 v7, 4, v7
	s_waitcnt vmcnt(3)
	v_subrev_u32_e32 v2, s18, v8
	v_lshl_add_u32 v33, v2, 2, v2
	v_lshlrev_b64 v[29:30], 2, v[33:34]
	v_add_u32_e32 v5, 1, v33
	v_lshlrev_b64 v[31:32], 2, v[5:6]
	v_add_co_u32_e32 v29, vcc, s14, v29
	v_add_u32_e32 v5, -8, v1
	v_addc_co_u32_e32 v30, vcc, v16, v30, vcc
	v_lshlrev_b64 v[34:35], 2, v[5:6]
	global_load_dword v2, v[29:30], off
	v_add_co_u32_e32 v29, vcc, s14, v31
	v_add_u32_e32 v5, 2, v33
	v_addc_co_u32_e32 v30, vcc, v16, v32, vcc
	v_lshlrev_b64 v[36:37], 2, v[5:6]
	global_load_dword v8, v[29:30], off
	v_add_co_u32_e32 v29, vcc, s12, v34
	v_add_u32_e32 v5, -4, v1
	v_addc_co_u32_e32 v30, vcc, v15, v35, vcc
	v_lshlrev_b64 v[34:35], 2, v[5:6]
	v_add_co_u32_e32 v36, vcc, s14, v36
	v_add_u32_e32 v5, 3, v33
	v_addc_co_u32_e32 v37, vcc, v16, v37, vcc
	v_lshlrev_b64 v[38:39], 2, v[5:6]
	v_add_u32_e32 v5, 4, v33
	v_add_co_u32_e32 v33, vcc, s12, v34
	v_addc_co_u32_e32 v34, vcc, v15, v35, vcc
	global_load_dword v42, v[36:37], off
	v_lshlrev_b64 v[40:41], 2, v[5:6]
	v_add_co_u32_e32 v37, vcc, s14, v38
	v_addc_co_u32_e32 v38, vcc, v16, v39, vcc
	global_load_dwordx4 v[29:32], v[29:30], off
	v_add_u32_e32 v1, 0x50, v1
	global_load_dword v5, v[37:38], off
	v_add_co_u32_e32 v37, vcc, s14, v40
	global_load_dwordx4 v[33:36], v[33:34], off
	v_addc_co_u32_e32 v38, vcc, v16, v41, vcc
	global_load_dword v37, v[37:38], off
	v_cmp_ge_i32_e32 vcc, v7, v10
	s_or_b64 s[8:9], vcc, s[8:9]
	s_waitcnt vmcnt(6)
	v_fmac_f32_e32 v12, v17, v2
	v_fmac_f32_e32 v14, v18, v2
	v_fmac_f32_e32 v13, v19, v2
	v_fmac_f32_e32 v11, v20, v2
	s_waitcnt vmcnt(5)
	v_fmac_f32_e32 v12, v25, v8
	v_fmac_f32_e32 v14, v26, v8
	v_fmac_f32_e32 v13, v27, v8
	v_fmac_f32_e32 v11, v28, v8
	;; [unrolled: 5-line block ×5, first 2 shown]
	s_andn2_b64 exec, exec, s[8:9]
	s_cbranch_execnz .LBB15_9
; %bb.10:
	s_or_b64 exec, exec, s[8:9]
.LBB15_11:
	s_or_b64 exec, exec, s[6:7]
	s_cbranch_execz .LBB15_13
	s_branch .LBB15_18
.LBB15_12:
                                        ; implicit-def: $vgpr12
                                        ; implicit-def: $vgpr11
                                        ; implicit-def: $vgpr13
                                        ; implicit-def: $vgpr14
.LBB15_13:
	v_mov_b32_e32 v12, 0
	v_mov_b32_e32 v11, 0
	;; [unrolled: 1-line block ×4, first 2 shown]
	s_and_saveexec_b64 s[6:7], s[0:1]
	s_cbranch_execz .LBB15_17
; %bb.14:
	v_mad_u64_u32 v[2:3], s[0:1], v0, 20, 19
	v_mov_b32_e32 v6, 0
	s_mov_b64 s[0:1], 0
	v_mov_b32_e32 v7, s11
	v_mov_b32_e32 v8, s13
	;; [unrolled: 1-line block ×7, first 2 shown]
.LBB15_15:                              ; =>This Inner Loop Header: Depth=1
	v_ashrrev_i32_e32 v1, 31, v0
	v_lshlrev_b64 v[24:25], 2, v[0:1]
	v_subrev_u32_e32 v5, 19, v2
	v_lshlrev_b64 v[26:27], 2, v[5:6]
	v_add_co_u32_e32 v24, vcc, s10, v24
	v_add_u32_e32 v16, -14, v2
	v_mov_b32_e32 v17, v6
	v_addc_co_u32_e32 v25, vcc, v7, v25, vcc
	v_lshlrev_b64 v[16:17], 2, v[16:17]
	v_add_co_u32_e32 v26, vcc, s12, v26
	v_add_u32_e32 v18, -9, v2
	v_mov_b32_e32 v19, v6
	v_addc_co_u32_e32 v27, vcc, v8, v27, vcc
	;; [unrolled: 5-line block ×3, first 2 shown]
	v_lshlrev_b64 v[22:23], 2, v[22:23]
	v_add_co_u32_e32 v32, vcc, s12, v18
	v_mov_b32_e32 v3, v6
	v_addc_co_u32_e32 v33, vcc, v8, v19, vcc
	v_lshlrev_b64 v[28:29], 2, v[2:3]
	v_add_co_u32_e32 v22, vcc, s12, v22
	v_addc_co_u32_e32 v23, vcc, v8, v23, vcc
	v_add_co_u32_e32 v28, vcc, s12, v28
	v_addc_co_u32_e32 v29, vcc, v8, v29, vcc
	global_load_dword v1, v[24:25], off
	global_load_dword v3, v[30:31], off
	;; [unrolled: 1-line block ×5, first 2 shown]
	global_load_dwordx4 v[16:19], v[26:27], off
	v_mov_b32_e32 v21, v6
	v_add_u32_e32 v0, 4, v0
	s_waitcnt vmcnt(5)
	v_subrev_u32_e32 v1, s18, v1
	v_lshl_add_u32 v20, v1, 2, v1
	v_lshlrev_b64 v[21:22], 2, v[20:21]
	v_add_u32_e32 v5, 1, v20
	v_lshlrev_b64 v[23:24], 2, v[5:6]
	v_add_co_u32_e32 v21, vcc, s14, v21
	v_add_u32_e32 v5, -13, v2
	v_addc_co_u32_e32 v22, vcc, v15, v22, vcc
	v_lshlrev_b64 v[25:26], 2, v[5:6]
	v_add_co_u32_e32 v23, vcc, s14, v23
	v_add_u32_e32 v5, -8, v2
	v_addc_co_u32_e32 v24, vcc, v15, v24, vcc
	v_lshlrev_b64 v[27:28], 2, v[5:6]
	global_load_dword v1, v[21:22], off
	global_load_dword v29, v[23:24], off
	v_add_co_u32_e32 v21, vcc, s12, v25
	v_add_u32_e32 v5, -3, v2
	v_addc_co_u32_e32 v22, vcc, v8, v26, vcc
	v_lshlrev_b64 v[25:26], 2, v[5:6]
	v_add_co_u32_e32 v23, vcc, s12, v27
	v_add_u32_e32 v5, 2, v20
	v_addc_co_u32_e32 v24, vcc, v8, v28, vcc
	v_lshlrev_b64 v[27:28], 2, v[5:6]
	global_load_dword v30, v[21:22], off
	global_load_dword v31, v[23:24], off
	v_add_co_u32_e32 v21, vcc, s12, v25
	v_add_u32_e32 v5, -12, v2
	v_addc_co_u32_e32 v22, vcc, v8, v26, vcc
	v_lshlrev_b64 v[25:26], 2, v[5:6]
	v_add_co_u32_e32 v23, vcc, s14, v27
	v_add_u32_e32 v5, -7, v2
	v_addc_co_u32_e32 v24, vcc, v15, v28, vcc
	v_lshlrev_b64 v[27:28], 2, v[5:6]
	global_load_dword v32, v[21:22], off
	v_add_co_u32_e32 v21, vcc, s12, v25
	v_add_u32_e32 v5, -2, v2
	v_addc_co_u32_e32 v22, vcc, v8, v26, vcc
	v_lshlrev_b64 v[25:26], 2, v[5:6]
	global_load_dword v33, v[23:24], off
	v_add_co_u32_e32 v23, vcc, s12, v27
	v_add_u32_e32 v5, 3, v20
	v_addc_co_u32_e32 v24, vcc, v8, v28, vcc
	v_lshlrev_b64 v[27:28], 2, v[5:6]
	global_load_dword v37, v[21:22], off
	v_add_co_u32_e32 v21, vcc, s12, v25
	v_add_u32_e32 v5, -11, v2
	v_addc_co_u32_e32 v22, vcc, v8, v26, vcc
	v_lshlrev_b64 v[25:26], 2, v[5:6]
	global_load_dword v38, v[23:24], off
	global_load_dword v39, v[21:22], off
	v_add_co_u32_e32 v23, vcc, s14, v27
	v_add_u32_e32 v5, -6, v2
	v_addc_co_u32_e32 v24, vcc, v15, v28, vcc
	v_lshlrev_b64 v[27:28], 2, v[5:6]
	v_add_co_u32_e32 v21, vcc, s12, v25
	v_add_u32_e32 v5, -1, v2
	v_addc_co_u32_e32 v22, vcc, v8, v26, vcc
	v_lshlrev_b64 v[25:26], 2, v[5:6]
	v_add_co_u32_e32 v27, vcc, s12, v27
	v_add_u32_e32 v5, -15, v2
	v_addc_co_u32_e32 v28, vcc, v8, v28, vcc
	global_load_dword v40, v[23:24], off
	v_lshlrev_b64 v[23:24], 2, v[5:6]
	v_add_u32_e32 v5, 4, v20
	v_add_co_u32_e32 v20, vcc, s12, v25
	global_load_dword v41, v[21:22], off
	v_addc_co_u32_e32 v21, vcc, v8, v26, vcc
	v_lshlrev_b64 v[25:26], 2, v[5:6]
	v_add_co_u32_e32 v22, vcc, s12, v23
	v_add_u32_e32 v5, -10, v2
	v_addc_co_u32_e32 v23, vcc, v8, v24, vcc
	global_load_dword v42, v[27:28], off
	global_load_dword v43, v[20:21], off
	v_lshlrev_b64 v[27:28], 2, v[5:6]
	v_add_co_u32_e32 v20, vcc, s14, v25
	v_add_u32_e32 v5, -5, v2
	v_addc_co_u32_e32 v21, vcc, v15, v26, vcc
	v_lshlrev_b64 v[24:25], 2, v[5:6]
	global_load_dword v5, v[22:23], off
	v_add_co_u32_e32 v22, vcc, s12, v27
	v_addc_co_u32_e32 v23, vcc, v8, v28, vcc
	global_load_dword v26, v[20:21], off
	v_add_co_u32_e32 v20, vcc, s12, v24
	v_addc_co_u32_e32 v21, vcc, v8, v25, vcc
	global_load_dword v24, v[22:23], off
	global_load_dword v25, v[20:21], off
	s_waitcnt vmcnt(16)
	v_fmac_f32_e32 v14, v3, v1
	v_fmac_f32_e32 v13, v34, v1
	;; [unrolled: 1-line block ×4, first 2 shown]
	s_waitcnt vmcnt(15)
	v_fmac_f32_e32 v12, v17, v29
	s_waitcnt vmcnt(14)
	v_fmac_f32_e32 v14, v30, v29
	;; [unrolled: 2-line block ×4, first 2 shown]
	v_cmp_ge_i32_e32 vcc, v0, v10
	s_or_b64 s[0:1], vcc, s[0:1]
	v_add_u32_e32 v2, 0x50, v2
	s_waitcnt vmcnt(11)
	v_fmac_f32_e32 v12, v18, v33
	s_waitcnt vmcnt(10)
	v_fmac_f32_e32 v14, v37, v33
	s_waitcnt vmcnt(9)
	v_fmac_f32_e32 v13, v38, v33
	s_waitcnt vmcnt(8)
	v_fmac_f32_e32 v11, v39, v33
	s_waitcnt vmcnt(7)
	v_fmac_f32_e32 v12, v19, v40
	s_waitcnt vmcnt(6)
	v_fmac_f32_e32 v14, v41, v40
	s_waitcnt vmcnt(5)
	v_fmac_f32_e32 v13, v42, v40
	s_waitcnt vmcnt(4)
	v_fmac_f32_e32 v11, v43, v40
	s_waitcnt vmcnt(2)
	v_fmac_f32_e32 v12, v5, v26
	v_fmac_f32_e32 v11, v36, v26
	s_waitcnt vmcnt(1)
	v_fmac_f32_e32 v14, v24, v26
	s_waitcnt vmcnt(0)
	v_fmac_f32_e32 v13, v25, v26
	s_andn2_b64 exec, exec, s[0:1]
	s_cbranch_execnz .LBB15_15
; %bb.16:
	s_or_b64 exec, exec, s[0:1]
.LBB15_17:
	s_or_b64 exec, exec, s[6:7]
.LBB15_18:
	v_mov_b32_dpp v0, v12 row_shr:1 row_mask:0xf bank_mask:0xf
	v_mov_b32_dpp v2, v14 row_shr:1 row_mask:0xf bank_mask:0xf
	;; [unrolled: 1-line block ×4, first 2 shown]
	v_add_f32_e32 v0, v12, v0
	v_add_f32_e32 v2, v14, v2
	;; [unrolled: 1-line block ×4, first 2 shown]
	v_mov_b32_dpp v1, v0 row_shr:2 row_mask:0xf bank_mask:0xf
	v_mov_b32_dpp v3, v2 row_shr:2 row_mask:0xf bank_mask:0xf
	v_mov_b32_dpp v6, v5 row_shr:2 row_mask:0xf bank_mask:0xf
	v_mov_b32_dpp v8, v7 row_shr:2 row_mask:0xf bank_mask:0xf
	v_cmp_eq_u32_e32 vcc, 3, v9
	s_and_b64 exec, exec, vcc
	s_cbranch_execz .LBB15_22
; %bb.19:
	s_load_dwordx2 s[0:1], s[4:5], 0x38
	v_add_f32_e32 v0, v0, v1
	v_add_f32_e32 v1, v2, v3
	;; [unrolled: 1-line block ×4, first 2 shown]
	v_cmp_eq_f32_e64 s[4:5], s2, 0
	s_and_b64 vcc, exec, s[4:5]
	v_mul_f32_e32 v0, s16, v0
	v_mul_f32_e32 v1, s16, v1
	;; [unrolled: 1-line block ×4, first 2 shown]
	v_lshlrev_b32_e32 v4, 2, v4
	s_cbranch_vccz .LBB15_23
; %bb.20:
	v_ashrrev_i32_e32 v5, 31, v4
	v_lshlrev_b64 v[5:6], 2, v[4:5]
	s_waitcnt lgkmcnt(0)
	v_mov_b32_e32 v7, s1
	v_add_co_u32_e32 v5, vcc, s0, v5
	v_addc_co_u32_e32 v6, vcc, v7, v6, vcc
	global_store_dwordx4 v[5:6], v[0:3], off
	s_cbranch_execnz .LBB15_22
.LBB15_21:
	v_ashrrev_i32_e32 v5, 31, v4
	v_lshlrev_b64 v[4:5], 2, v[4:5]
	s_waitcnt lgkmcnt(0)
	v_mov_b32_e32 v6, s1
	v_add_co_u32_e32 v8, vcc, s0, v4
	v_addc_co_u32_e32 v9, vcc, v6, v5, vcc
	global_load_dwordx4 v[4:7], v[8:9], off
	s_waitcnt vmcnt(0)
	v_fmac_f32_e32 v0, s2, v4
	v_fmac_f32_e32 v1, s2, v5
	;; [unrolled: 1-line block ×4, first 2 shown]
	global_store_dwordx4 v[8:9], v[0:3], off
.LBB15_22:
	s_endpgm
.LBB15_23:
	s_branch .LBB15_21
	.section	.rodata,"a",@progbits
	.p2align	6, 0x0
	.amdhsa_kernel _ZN9rocsparseL19gebsrmvn_4xn_kernelILj128ELj5ELj4EfEEvi20rocsparse_direction_NS_24const_host_device_scalarIT2_EEPKiS6_PKS3_S8_S4_PS3_21rocsparse_index_base_b
		.amdhsa_group_segment_fixed_size 0
		.amdhsa_private_segment_fixed_size 0
		.amdhsa_kernarg_size 72
		.amdhsa_user_sgpr_count 6
		.amdhsa_user_sgpr_private_segment_buffer 1
		.amdhsa_user_sgpr_dispatch_ptr 0
		.amdhsa_user_sgpr_queue_ptr 0
		.amdhsa_user_sgpr_kernarg_segment_ptr 1
		.amdhsa_user_sgpr_dispatch_id 0
		.amdhsa_user_sgpr_flat_scratch_init 0
		.amdhsa_user_sgpr_private_segment_size 0
		.amdhsa_uses_dynamic_stack 0
		.amdhsa_system_sgpr_private_segment_wavefront_offset 0
		.amdhsa_system_sgpr_workgroup_id_x 1
		.amdhsa_system_sgpr_workgroup_id_y 0
		.amdhsa_system_sgpr_workgroup_id_z 0
		.amdhsa_system_sgpr_workgroup_info 0
		.amdhsa_system_vgpr_workitem_id 0
		.amdhsa_next_free_vgpr 44
		.amdhsa_next_free_sgpr 20
		.amdhsa_reserve_vcc 1
		.amdhsa_reserve_flat_scratch 0
		.amdhsa_float_round_mode_32 0
		.amdhsa_float_round_mode_16_64 0
		.amdhsa_float_denorm_mode_32 3
		.amdhsa_float_denorm_mode_16_64 3
		.amdhsa_dx10_clamp 1
		.amdhsa_ieee_mode 1
		.amdhsa_fp16_overflow 0
		.amdhsa_exception_fp_ieee_invalid_op 0
		.amdhsa_exception_fp_denorm_src 0
		.amdhsa_exception_fp_ieee_div_zero 0
		.amdhsa_exception_fp_ieee_overflow 0
		.amdhsa_exception_fp_ieee_underflow 0
		.amdhsa_exception_fp_ieee_inexact 0
		.amdhsa_exception_int_div_zero 0
	.end_amdhsa_kernel
	.section	.text._ZN9rocsparseL19gebsrmvn_4xn_kernelILj128ELj5ELj4EfEEvi20rocsparse_direction_NS_24const_host_device_scalarIT2_EEPKiS6_PKS3_S8_S4_PS3_21rocsparse_index_base_b,"axG",@progbits,_ZN9rocsparseL19gebsrmvn_4xn_kernelILj128ELj5ELj4EfEEvi20rocsparse_direction_NS_24const_host_device_scalarIT2_EEPKiS6_PKS3_S8_S4_PS3_21rocsparse_index_base_b,comdat
.Lfunc_end15:
	.size	_ZN9rocsparseL19gebsrmvn_4xn_kernelILj128ELj5ELj4EfEEvi20rocsparse_direction_NS_24const_host_device_scalarIT2_EEPKiS6_PKS3_S8_S4_PS3_21rocsparse_index_base_b, .Lfunc_end15-_ZN9rocsparseL19gebsrmvn_4xn_kernelILj128ELj5ELj4EfEEvi20rocsparse_direction_NS_24const_host_device_scalarIT2_EEPKiS6_PKS3_S8_S4_PS3_21rocsparse_index_base_b
                                        ; -- End function
	.set _ZN9rocsparseL19gebsrmvn_4xn_kernelILj128ELj5ELj4EfEEvi20rocsparse_direction_NS_24const_host_device_scalarIT2_EEPKiS6_PKS3_S8_S4_PS3_21rocsparse_index_base_b.num_vgpr, 44
	.set _ZN9rocsparseL19gebsrmvn_4xn_kernelILj128ELj5ELj4EfEEvi20rocsparse_direction_NS_24const_host_device_scalarIT2_EEPKiS6_PKS3_S8_S4_PS3_21rocsparse_index_base_b.num_agpr, 0
	.set _ZN9rocsparseL19gebsrmvn_4xn_kernelILj128ELj5ELj4EfEEvi20rocsparse_direction_NS_24const_host_device_scalarIT2_EEPKiS6_PKS3_S8_S4_PS3_21rocsparse_index_base_b.numbered_sgpr, 20
	.set _ZN9rocsparseL19gebsrmvn_4xn_kernelILj128ELj5ELj4EfEEvi20rocsparse_direction_NS_24const_host_device_scalarIT2_EEPKiS6_PKS3_S8_S4_PS3_21rocsparse_index_base_b.num_named_barrier, 0
	.set _ZN9rocsparseL19gebsrmvn_4xn_kernelILj128ELj5ELj4EfEEvi20rocsparse_direction_NS_24const_host_device_scalarIT2_EEPKiS6_PKS3_S8_S4_PS3_21rocsparse_index_base_b.private_seg_size, 0
	.set _ZN9rocsparseL19gebsrmvn_4xn_kernelILj128ELj5ELj4EfEEvi20rocsparse_direction_NS_24const_host_device_scalarIT2_EEPKiS6_PKS3_S8_S4_PS3_21rocsparse_index_base_b.uses_vcc, 1
	.set _ZN9rocsparseL19gebsrmvn_4xn_kernelILj128ELj5ELj4EfEEvi20rocsparse_direction_NS_24const_host_device_scalarIT2_EEPKiS6_PKS3_S8_S4_PS3_21rocsparse_index_base_b.uses_flat_scratch, 0
	.set _ZN9rocsparseL19gebsrmvn_4xn_kernelILj128ELj5ELj4EfEEvi20rocsparse_direction_NS_24const_host_device_scalarIT2_EEPKiS6_PKS3_S8_S4_PS3_21rocsparse_index_base_b.has_dyn_sized_stack, 0
	.set _ZN9rocsparseL19gebsrmvn_4xn_kernelILj128ELj5ELj4EfEEvi20rocsparse_direction_NS_24const_host_device_scalarIT2_EEPKiS6_PKS3_S8_S4_PS3_21rocsparse_index_base_b.has_recursion, 0
	.set _ZN9rocsparseL19gebsrmvn_4xn_kernelILj128ELj5ELj4EfEEvi20rocsparse_direction_NS_24const_host_device_scalarIT2_EEPKiS6_PKS3_S8_S4_PS3_21rocsparse_index_base_b.has_indirect_call, 0
	.section	.AMDGPU.csdata,"",@progbits
; Kernel info:
; codeLenInByte = 1944
; TotalNumSgprs: 24
; NumVgprs: 44
; ScratchSize: 0
; MemoryBound: 0
; FloatMode: 240
; IeeeMode: 1
; LDSByteSize: 0 bytes/workgroup (compile time only)
; SGPRBlocks: 2
; VGPRBlocks: 10
; NumSGPRsForWavesPerEU: 24
; NumVGPRsForWavesPerEU: 44
; Occupancy: 5
; WaveLimiterHint : 1
; COMPUTE_PGM_RSRC2:SCRATCH_EN: 0
; COMPUTE_PGM_RSRC2:USER_SGPR: 6
; COMPUTE_PGM_RSRC2:TRAP_HANDLER: 0
; COMPUTE_PGM_RSRC2:TGID_X_EN: 1
; COMPUTE_PGM_RSRC2:TGID_Y_EN: 0
; COMPUTE_PGM_RSRC2:TGID_Z_EN: 0
; COMPUTE_PGM_RSRC2:TIDIG_COMP_CNT: 0
	.section	.text._ZN9rocsparseL19gebsrmvn_4xn_kernelILj128ELj5ELj8EfEEvi20rocsparse_direction_NS_24const_host_device_scalarIT2_EEPKiS6_PKS3_S8_S4_PS3_21rocsparse_index_base_b,"axG",@progbits,_ZN9rocsparseL19gebsrmvn_4xn_kernelILj128ELj5ELj8EfEEvi20rocsparse_direction_NS_24const_host_device_scalarIT2_EEPKiS6_PKS3_S8_S4_PS3_21rocsparse_index_base_b,comdat
	.globl	_ZN9rocsparseL19gebsrmvn_4xn_kernelILj128ELj5ELj8EfEEvi20rocsparse_direction_NS_24const_host_device_scalarIT2_EEPKiS6_PKS3_S8_S4_PS3_21rocsparse_index_base_b ; -- Begin function _ZN9rocsparseL19gebsrmvn_4xn_kernelILj128ELj5ELj8EfEEvi20rocsparse_direction_NS_24const_host_device_scalarIT2_EEPKiS6_PKS3_S8_S4_PS3_21rocsparse_index_base_b
	.p2align	8
	.type	_ZN9rocsparseL19gebsrmvn_4xn_kernelILj128ELj5ELj8EfEEvi20rocsparse_direction_NS_24const_host_device_scalarIT2_EEPKiS6_PKS3_S8_S4_PS3_21rocsparse_index_base_b,@function
_ZN9rocsparseL19gebsrmvn_4xn_kernelILj128ELj5ELj8EfEEvi20rocsparse_direction_NS_24const_host_device_scalarIT2_EEPKiS6_PKS3_S8_S4_PS3_21rocsparse_index_base_b: ; @_ZN9rocsparseL19gebsrmvn_4xn_kernelILj128ELj5ELj8EfEEvi20rocsparse_direction_NS_24const_host_device_scalarIT2_EEPKiS6_PKS3_S8_S4_PS3_21rocsparse_index_base_b
; %bb.0:
	s_load_dwordx2 s[18:19], s[4:5], 0x40
	s_load_dwordx2 s[16:17], s[4:5], 0x8
	;; [unrolled: 1-line block ×3, first 2 shown]
	s_waitcnt lgkmcnt(0)
	s_bitcmp1_b32 s19, 0
	s_cselect_b64 s[8:9], -1, 0
	s_xor_b64 s[0:1], s[8:9], -1
	s_and_b64 vcc, exec, s[8:9]
	s_cbranch_vccnz .LBB16_2
; %bb.1:
	s_load_dword s16, s[16:17], 0x0
.LBB16_2:
	s_andn2_b64 vcc, exec, s[0:1]
	s_cbranch_vccnz .LBB16_4
; %bb.3:
	s_load_dword s2, s[2:3], 0x0
.LBB16_4:
	s_waitcnt lgkmcnt(0)
	v_cmp_eq_f32_e64 s[0:1], s16, 0
	v_cmp_eq_f32_e64 s[8:9], s2, 1.0
	s_and_b64 s[0:1], s[0:1], s[8:9]
	s_and_b64 vcc, exec, s[0:1]
	s_cbranch_vccnz .LBB16_22
; %bb.5:
	s_load_dwordx2 s[0:1], s[4:5], 0x0
	v_lshrrev_b32_e32 v1, 3, v0
	v_lshl_or_b32 v4, s6, 4, v1
	s_waitcnt lgkmcnt(0)
	v_cmp_gt_i32_e32 vcc, s0, v4
	s_and_saveexec_b64 s[6:7], vcc
	s_cbranch_execz .LBB16_22
; %bb.6:
	s_load_dwordx8 s[8:15], s[4:5], 0x10
	v_ashrrev_i32_e32 v5, 31, v4
	v_lshlrev_b64 v[1:2], 2, v[4:5]
	v_and_b32_e32 v9, 7, v0
	s_cmp_lg_u32 s1, 0
	s_waitcnt lgkmcnt(0)
	v_mov_b32_e32 v3, s9
	v_add_co_u32_e32 v1, vcc, s8, v1
	v_addc_co_u32_e32 v2, vcc, v3, v2, vcc
	global_load_dwordx2 v[1:2], v[1:2], off
	s_waitcnt vmcnt(0)
	v_subrev_u32_e32 v0, s18, v1
	v_subrev_u32_e32 v11, s18, v2
	v_add_u32_e32 v0, v0, v9
	v_cmp_lt_i32_e64 s[0:1], v0, v11
	s_cbranch_scc0 .LBB16_12
; %bb.7:
	v_mov_b32_e32 v12, 0
	v_mov_b32_e32 v10, 0
	;; [unrolled: 1-line block ×4, first 2 shown]
	s_and_saveexec_b64 s[6:7], s[0:1]
	s_cbranch_execz .LBB16_11
; %bb.8:
	v_mad_u64_u32 v[1:2], s[8:9], v0, 20, 16
	v_mov_b32_e32 v6, 0
	s_mov_b64 s[8:9], 0
	v_mov_b32_e32 v3, s11
	v_mov_b32_e32 v15, s13
	;; [unrolled: 1-line block ×8, first 2 shown]
.LBB16_9:                               ; =>This Inner Loop Header: Depth=1
	v_ashrrev_i32_e32 v8, 31, v7
	v_lshlrev_b64 v[17:18], 2, v[7:8]
	v_add_u32_e32 v5, -16, v1
	v_add_co_u32_e32 v17, vcc, s10, v17
	v_addc_co_u32_e32 v18, vcc, v3, v18, vcc
	global_load_dword v8, v[17:18], off
	v_lshlrev_b64 v[17:18], 2, v[5:6]
	v_mov_b32_e32 v2, v6
	v_lshlrev_b64 v[19:20], 2, v[1:2]
	v_add_co_u32_e32 v17, vcc, s12, v17
	v_add_u32_e32 v5, -12, v1
	v_addc_co_u32_e32 v18, vcc, v15, v18, vcc
	v_lshlrev_b64 v[21:22], 2, v[5:6]
	v_add_co_u32_e32 v29, vcc, s12, v19
	v_addc_co_u32_e32 v30, vcc, v15, v20, vcc
	v_mov_b32_e32 v34, v6
	v_add_co_u32_e32 v31, vcc, s12, v21
	global_load_dwordx4 v[17:20], v[17:18], off
	v_addc_co_u32_e32 v32, vcc, v15, v22, vcc
	global_load_dwordx4 v[21:24], v[29:30], off
	global_load_dwordx4 v[25:28], v[31:32], off
	v_add_u32_e32 v7, 8, v7
	s_waitcnt vmcnt(3)
	v_subrev_u32_e32 v2, s18, v8
	v_lshl_add_u32 v33, v2, 2, v2
	v_lshlrev_b64 v[29:30], 2, v[33:34]
	v_add_u32_e32 v5, 1, v33
	v_lshlrev_b64 v[31:32], 2, v[5:6]
	v_add_co_u32_e32 v29, vcc, s14, v29
	v_add_u32_e32 v5, -8, v1
	v_addc_co_u32_e32 v30, vcc, v16, v30, vcc
	v_lshlrev_b64 v[34:35], 2, v[5:6]
	global_load_dword v2, v[29:30], off
	v_add_co_u32_e32 v29, vcc, s14, v31
	v_add_u32_e32 v5, 2, v33
	v_addc_co_u32_e32 v30, vcc, v16, v32, vcc
	v_lshlrev_b64 v[36:37], 2, v[5:6]
	global_load_dword v8, v[29:30], off
	v_add_co_u32_e32 v29, vcc, s12, v34
	v_add_u32_e32 v5, -4, v1
	v_addc_co_u32_e32 v30, vcc, v15, v35, vcc
	v_lshlrev_b64 v[34:35], 2, v[5:6]
	v_add_co_u32_e32 v36, vcc, s14, v36
	v_add_u32_e32 v5, 3, v33
	v_addc_co_u32_e32 v37, vcc, v16, v37, vcc
	v_lshlrev_b64 v[38:39], 2, v[5:6]
	v_add_u32_e32 v5, 4, v33
	v_add_co_u32_e32 v33, vcc, s12, v34
	v_addc_co_u32_e32 v34, vcc, v15, v35, vcc
	global_load_dword v42, v[36:37], off
	v_lshlrev_b64 v[40:41], 2, v[5:6]
	v_add_co_u32_e32 v37, vcc, s14, v38
	v_addc_co_u32_e32 v38, vcc, v16, v39, vcc
	global_load_dwordx4 v[29:32], v[29:30], off
	v_add_u32_e32 v1, 0xa0, v1
	global_load_dword v5, v[37:38], off
	v_add_co_u32_e32 v37, vcc, s14, v40
	global_load_dwordx4 v[33:36], v[33:34], off
	v_addc_co_u32_e32 v38, vcc, v16, v41, vcc
	global_load_dword v37, v[37:38], off
	v_cmp_ge_i32_e32 vcc, v7, v11
	s_or_b64 s[8:9], vcc, s[8:9]
	s_waitcnt vmcnt(6)
	v_fmac_f32_e32 v12, v17, v2
	v_fmac_f32_e32 v14, v18, v2
	v_fmac_f32_e32 v13, v19, v2
	v_fmac_f32_e32 v10, v20, v2
	s_waitcnt vmcnt(5)
	v_fmac_f32_e32 v12, v25, v8
	v_fmac_f32_e32 v14, v26, v8
	v_fmac_f32_e32 v13, v27, v8
	v_fmac_f32_e32 v10, v28, v8
	;; [unrolled: 5-line block ×5, first 2 shown]
	s_andn2_b64 exec, exec, s[8:9]
	s_cbranch_execnz .LBB16_9
; %bb.10:
	s_or_b64 exec, exec, s[8:9]
.LBB16_11:
	s_or_b64 exec, exec, s[6:7]
	s_cbranch_execz .LBB16_13
	s_branch .LBB16_18
.LBB16_12:
                                        ; implicit-def: $vgpr12
                                        ; implicit-def: $vgpr10
                                        ; implicit-def: $vgpr13
                                        ; implicit-def: $vgpr14
.LBB16_13:
	v_mov_b32_e32 v12, 0
	v_mov_b32_e32 v10, 0
	;; [unrolled: 1-line block ×4, first 2 shown]
	s_and_saveexec_b64 s[6:7], s[0:1]
	s_cbranch_execz .LBB16_17
; %bb.14:
	v_mad_u64_u32 v[2:3], s[0:1], v0, 20, 19
	v_mov_b32_e32 v6, 0
	s_mov_b64 s[0:1], 0
	v_mov_b32_e32 v7, s11
	v_mov_b32_e32 v8, s13
	;; [unrolled: 1-line block ×7, first 2 shown]
.LBB16_15:                              ; =>This Inner Loop Header: Depth=1
	v_ashrrev_i32_e32 v1, 31, v0
	v_lshlrev_b64 v[24:25], 2, v[0:1]
	v_subrev_u32_e32 v5, 19, v2
	v_lshlrev_b64 v[26:27], 2, v[5:6]
	v_add_co_u32_e32 v24, vcc, s10, v24
	v_add_u32_e32 v16, -14, v2
	v_mov_b32_e32 v17, v6
	v_addc_co_u32_e32 v25, vcc, v7, v25, vcc
	v_lshlrev_b64 v[16:17], 2, v[16:17]
	v_add_co_u32_e32 v26, vcc, s12, v26
	v_add_u32_e32 v18, -9, v2
	v_mov_b32_e32 v19, v6
	v_addc_co_u32_e32 v27, vcc, v8, v27, vcc
	;; [unrolled: 5-line block ×3, first 2 shown]
	v_lshlrev_b64 v[22:23], 2, v[22:23]
	v_add_co_u32_e32 v32, vcc, s12, v18
	v_mov_b32_e32 v3, v6
	v_addc_co_u32_e32 v33, vcc, v8, v19, vcc
	v_lshlrev_b64 v[28:29], 2, v[2:3]
	v_add_co_u32_e32 v22, vcc, s12, v22
	v_addc_co_u32_e32 v23, vcc, v8, v23, vcc
	v_add_co_u32_e32 v28, vcc, s12, v28
	v_addc_co_u32_e32 v29, vcc, v8, v29, vcc
	global_load_dword v1, v[24:25], off
	global_load_dword v3, v[30:31], off
	;; [unrolled: 1-line block ×5, first 2 shown]
	global_load_dwordx4 v[16:19], v[26:27], off
	v_mov_b32_e32 v21, v6
	v_add_u32_e32 v0, 8, v0
	s_waitcnt vmcnt(5)
	v_subrev_u32_e32 v1, s18, v1
	v_lshl_add_u32 v20, v1, 2, v1
	v_lshlrev_b64 v[21:22], 2, v[20:21]
	v_add_u32_e32 v5, 1, v20
	v_lshlrev_b64 v[23:24], 2, v[5:6]
	v_add_co_u32_e32 v21, vcc, s14, v21
	v_add_u32_e32 v5, -13, v2
	v_addc_co_u32_e32 v22, vcc, v15, v22, vcc
	v_lshlrev_b64 v[25:26], 2, v[5:6]
	v_add_co_u32_e32 v23, vcc, s14, v23
	v_add_u32_e32 v5, -8, v2
	v_addc_co_u32_e32 v24, vcc, v15, v24, vcc
	v_lshlrev_b64 v[27:28], 2, v[5:6]
	global_load_dword v1, v[21:22], off
	global_load_dword v29, v[23:24], off
	v_add_co_u32_e32 v21, vcc, s12, v25
	v_add_u32_e32 v5, -3, v2
	v_addc_co_u32_e32 v22, vcc, v8, v26, vcc
	v_lshlrev_b64 v[25:26], 2, v[5:6]
	v_add_co_u32_e32 v23, vcc, s12, v27
	v_add_u32_e32 v5, 2, v20
	v_addc_co_u32_e32 v24, vcc, v8, v28, vcc
	v_lshlrev_b64 v[27:28], 2, v[5:6]
	global_load_dword v30, v[21:22], off
	global_load_dword v31, v[23:24], off
	v_add_co_u32_e32 v21, vcc, s12, v25
	v_add_u32_e32 v5, -12, v2
	v_addc_co_u32_e32 v22, vcc, v8, v26, vcc
	v_lshlrev_b64 v[25:26], 2, v[5:6]
	v_add_co_u32_e32 v23, vcc, s14, v27
	v_add_u32_e32 v5, -7, v2
	v_addc_co_u32_e32 v24, vcc, v15, v28, vcc
	v_lshlrev_b64 v[27:28], 2, v[5:6]
	global_load_dword v32, v[21:22], off
	v_add_co_u32_e32 v21, vcc, s12, v25
	v_add_u32_e32 v5, -2, v2
	v_addc_co_u32_e32 v22, vcc, v8, v26, vcc
	v_lshlrev_b64 v[25:26], 2, v[5:6]
	global_load_dword v33, v[23:24], off
	v_add_co_u32_e32 v23, vcc, s12, v27
	v_add_u32_e32 v5, 3, v20
	v_addc_co_u32_e32 v24, vcc, v8, v28, vcc
	v_lshlrev_b64 v[27:28], 2, v[5:6]
	global_load_dword v37, v[21:22], off
	v_add_co_u32_e32 v21, vcc, s12, v25
	v_add_u32_e32 v5, -11, v2
	v_addc_co_u32_e32 v22, vcc, v8, v26, vcc
	v_lshlrev_b64 v[25:26], 2, v[5:6]
	global_load_dword v38, v[23:24], off
	global_load_dword v39, v[21:22], off
	v_add_co_u32_e32 v23, vcc, s14, v27
	v_add_u32_e32 v5, -6, v2
	v_addc_co_u32_e32 v24, vcc, v15, v28, vcc
	v_lshlrev_b64 v[27:28], 2, v[5:6]
	v_add_co_u32_e32 v21, vcc, s12, v25
	v_add_u32_e32 v5, -1, v2
	v_addc_co_u32_e32 v22, vcc, v8, v26, vcc
	v_lshlrev_b64 v[25:26], 2, v[5:6]
	v_add_co_u32_e32 v27, vcc, s12, v27
	v_add_u32_e32 v5, -15, v2
	v_addc_co_u32_e32 v28, vcc, v8, v28, vcc
	global_load_dword v40, v[23:24], off
	v_lshlrev_b64 v[23:24], 2, v[5:6]
	v_add_u32_e32 v5, 4, v20
	v_add_co_u32_e32 v20, vcc, s12, v25
	global_load_dword v41, v[21:22], off
	v_addc_co_u32_e32 v21, vcc, v8, v26, vcc
	v_lshlrev_b64 v[25:26], 2, v[5:6]
	v_add_co_u32_e32 v22, vcc, s12, v23
	v_add_u32_e32 v5, -10, v2
	v_addc_co_u32_e32 v23, vcc, v8, v24, vcc
	global_load_dword v42, v[27:28], off
	global_load_dword v43, v[20:21], off
	v_lshlrev_b64 v[27:28], 2, v[5:6]
	v_add_co_u32_e32 v20, vcc, s14, v25
	v_add_u32_e32 v5, -5, v2
	v_addc_co_u32_e32 v21, vcc, v15, v26, vcc
	v_lshlrev_b64 v[24:25], 2, v[5:6]
	global_load_dword v5, v[22:23], off
	v_add_co_u32_e32 v22, vcc, s12, v27
	v_addc_co_u32_e32 v23, vcc, v8, v28, vcc
	global_load_dword v26, v[20:21], off
	v_add_co_u32_e32 v20, vcc, s12, v24
	v_addc_co_u32_e32 v21, vcc, v8, v25, vcc
	global_load_dword v24, v[22:23], off
	global_load_dword v25, v[20:21], off
	s_waitcnt vmcnt(16)
	v_fmac_f32_e32 v14, v3, v1
	v_fmac_f32_e32 v13, v34, v1
	;; [unrolled: 1-line block ×4, first 2 shown]
	s_waitcnt vmcnt(15)
	v_fmac_f32_e32 v12, v17, v29
	s_waitcnt vmcnt(14)
	v_fmac_f32_e32 v14, v30, v29
	;; [unrolled: 2-line block ×4, first 2 shown]
	v_cmp_ge_i32_e32 vcc, v0, v11
	s_or_b64 s[0:1], vcc, s[0:1]
	v_add_u32_e32 v2, 0xa0, v2
	s_waitcnt vmcnt(11)
	v_fmac_f32_e32 v12, v18, v33
	s_waitcnt vmcnt(10)
	v_fmac_f32_e32 v14, v37, v33
	s_waitcnt vmcnt(9)
	v_fmac_f32_e32 v13, v38, v33
	s_waitcnt vmcnt(8)
	v_fmac_f32_e32 v10, v39, v33
	s_waitcnt vmcnt(7)
	v_fmac_f32_e32 v12, v19, v40
	s_waitcnt vmcnt(6)
	v_fmac_f32_e32 v14, v41, v40
	s_waitcnt vmcnt(5)
	v_fmac_f32_e32 v13, v42, v40
	s_waitcnt vmcnt(4)
	v_fmac_f32_e32 v10, v43, v40
	s_waitcnt vmcnt(2)
	v_fmac_f32_e32 v12, v5, v26
	v_fmac_f32_e32 v10, v36, v26
	s_waitcnt vmcnt(1)
	v_fmac_f32_e32 v14, v24, v26
	s_waitcnt vmcnt(0)
	v_fmac_f32_e32 v13, v25, v26
	s_andn2_b64 exec, exec, s[0:1]
	s_cbranch_execnz .LBB16_15
; %bb.16:
	s_or_b64 exec, exec, s[0:1]
.LBB16_17:
	s_or_b64 exec, exec, s[6:7]
.LBB16_18:
	v_mov_b32_dpp v0, v12 row_shr:1 row_mask:0xf bank_mask:0xf
	v_mov_b32_dpp v2, v14 row_shr:1 row_mask:0xf bank_mask:0xf
	;; [unrolled: 1-line block ×4, first 2 shown]
	v_add_f32_e32 v0, v12, v0
	v_add_f32_e32 v2, v14, v2
	;; [unrolled: 1-line block ×4, first 2 shown]
	v_mov_b32_dpp v1, v0 row_shr:2 row_mask:0xf bank_mask:0xf
	v_mov_b32_dpp v3, v2 row_shr:2 row_mask:0xf bank_mask:0xf
	v_mov_b32_dpp v6, v5 row_shr:2 row_mask:0xf bank_mask:0xf
	v_mov_b32_dpp v8, v7 row_shr:2 row_mask:0xf bank_mask:0xf
	v_add_f32_e32 v0, v0, v1
	v_add_f32_e32 v2, v2, v3
	;; [unrolled: 1-line block ×4, first 2 shown]
	v_mov_b32_dpp v1, v0 row_shr:4 row_mask:0xf bank_mask:0xe
	v_mov_b32_dpp v3, v2 row_shr:4 row_mask:0xf bank_mask:0xe
	;; [unrolled: 1-line block ×4, first 2 shown]
	v_cmp_eq_u32_e32 vcc, 7, v9
	s_and_b64 exec, exec, vcc
	s_cbranch_execz .LBB16_22
; %bb.19:
	s_load_dwordx2 s[0:1], s[4:5], 0x38
	v_add_f32_e32 v0, v0, v1
	v_add_f32_e32 v1, v2, v3
	;; [unrolled: 1-line block ×4, first 2 shown]
	v_cmp_eq_f32_e64 s[4:5], s2, 0
	s_and_b64 vcc, exec, s[4:5]
	v_mul_f32_e32 v0, s16, v0
	v_mul_f32_e32 v1, s16, v1
	;; [unrolled: 1-line block ×4, first 2 shown]
	v_lshlrev_b32_e32 v4, 2, v4
	s_cbranch_vccz .LBB16_23
; %bb.20:
	v_ashrrev_i32_e32 v5, 31, v4
	v_lshlrev_b64 v[5:6], 2, v[4:5]
	s_waitcnt lgkmcnt(0)
	v_mov_b32_e32 v7, s1
	v_add_co_u32_e32 v5, vcc, s0, v5
	v_addc_co_u32_e32 v6, vcc, v7, v6, vcc
	global_store_dwordx4 v[5:6], v[0:3], off
	s_cbranch_execnz .LBB16_22
.LBB16_21:
	v_ashrrev_i32_e32 v5, 31, v4
	v_lshlrev_b64 v[4:5], 2, v[4:5]
	s_waitcnt lgkmcnt(0)
	v_mov_b32_e32 v6, s1
	v_add_co_u32_e32 v8, vcc, s0, v4
	v_addc_co_u32_e32 v9, vcc, v6, v5, vcc
	global_load_dwordx4 v[4:7], v[8:9], off
	s_waitcnt vmcnt(0)
	v_fmac_f32_e32 v0, s2, v4
	v_fmac_f32_e32 v1, s2, v5
	;; [unrolled: 1-line block ×4, first 2 shown]
	global_store_dwordx4 v[8:9], v[0:3], off
.LBB16_22:
	s_endpgm
.LBB16_23:
	s_branch .LBB16_21
	.section	.rodata,"a",@progbits
	.p2align	6, 0x0
	.amdhsa_kernel _ZN9rocsparseL19gebsrmvn_4xn_kernelILj128ELj5ELj8EfEEvi20rocsparse_direction_NS_24const_host_device_scalarIT2_EEPKiS6_PKS3_S8_S4_PS3_21rocsparse_index_base_b
		.amdhsa_group_segment_fixed_size 0
		.amdhsa_private_segment_fixed_size 0
		.amdhsa_kernarg_size 72
		.amdhsa_user_sgpr_count 6
		.amdhsa_user_sgpr_private_segment_buffer 1
		.amdhsa_user_sgpr_dispatch_ptr 0
		.amdhsa_user_sgpr_queue_ptr 0
		.amdhsa_user_sgpr_kernarg_segment_ptr 1
		.amdhsa_user_sgpr_dispatch_id 0
		.amdhsa_user_sgpr_flat_scratch_init 0
		.amdhsa_user_sgpr_private_segment_size 0
		.amdhsa_uses_dynamic_stack 0
		.amdhsa_system_sgpr_private_segment_wavefront_offset 0
		.amdhsa_system_sgpr_workgroup_id_x 1
		.amdhsa_system_sgpr_workgroup_id_y 0
		.amdhsa_system_sgpr_workgroup_id_z 0
		.amdhsa_system_sgpr_workgroup_info 0
		.amdhsa_system_vgpr_workitem_id 0
		.amdhsa_next_free_vgpr 44
		.amdhsa_next_free_sgpr 20
		.amdhsa_reserve_vcc 1
		.amdhsa_reserve_flat_scratch 0
		.amdhsa_float_round_mode_32 0
		.amdhsa_float_round_mode_16_64 0
		.amdhsa_float_denorm_mode_32 3
		.amdhsa_float_denorm_mode_16_64 3
		.amdhsa_dx10_clamp 1
		.amdhsa_ieee_mode 1
		.amdhsa_fp16_overflow 0
		.amdhsa_exception_fp_ieee_invalid_op 0
		.amdhsa_exception_fp_denorm_src 0
		.amdhsa_exception_fp_ieee_div_zero 0
		.amdhsa_exception_fp_ieee_overflow 0
		.amdhsa_exception_fp_ieee_underflow 0
		.amdhsa_exception_fp_ieee_inexact 0
		.amdhsa_exception_int_div_zero 0
	.end_amdhsa_kernel
	.section	.text._ZN9rocsparseL19gebsrmvn_4xn_kernelILj128ELj5ELj8EfEEvi20rocsparse_direction_NS_24const_host_device_scalarIT2_EEPKiS6_PKS3_S8_S4_PS3_21rocsparse_index_base_b,"axG",@progbits,_ZN9rocsparseL19gebsrmvn_4xn_kernelILj128ELj5ELj8EfEEvi20rocsparse_direction_NS_24const_host_device_scalarIT2_EEPKiS6_PKS3_S8_S4_PS3_21rocsparse_index_base_b,comdat
.Lfunc_end16:
	.size	_ZN9rocsparseL19gebsrmvn_4xn_kernelILj128ELj5ELj8EfEEvi20rocsparse_direction_NS_24const_host_device_scalarIT2_EEPKiS6_PKS3_S8_S4_PS3_21rocsparse_index_base_b, .Lfunc_end16-_ZN9rocsparseL19gebsrmvn_4xn_kernelILj128ELj5ELj8EfEEvi20rocsparse_direction_NS_24const_host_device_scalarIT2_EEPKiS6_PKS3_S8_S4_PS3_21rocsparse_index_base_b
                                        ; -- End function
	.set _ZN9rocsparseL19gebsrmvn_4xn_kernelILj128ELj5ELj8EfEEvi20rocsparse_direction_NS_24const_host_device_scalarIT2_EEPKiS6_PKS3_S8_S4_PS3_21rocsparse_index_base_b.num_vgpr, 44
	.set _ZN9rocsparseL19gebsrmvn_4xn_kernelILj128ELj5ELj8EfEEvi20rocsparse_direction_NS_24const_host_device_scalarIT2_EEPKiS6_PKS3_S8_S4_PS3_21rocsparse_index_base_b.num_agpr, 0
	.set _ZN9rocsparseL19gebsrmvn_4xn_kernelILj128ELj5ELj8EfEEvi20rocsparse_direction_NS_24const_host_device_scalarIT2_EEPKiS6_PKS3_S8_S4_PS3_21rocsparse_index_base_b.numbered_sgpr, 20
	.set _ZN9rocsparseL19gebsrmvn_4xn_kernelILj128ELj5ELj8EfEEvi20rocsparse_direction_NS_24const_host_device_scalarIT2_EEPKiS6_PKS3_S8_S4_PS3_21rocsparse_index_base_b.num_named_barrier, 0
	.set _ZN9rocsparseL19gebsrmvn_4xn_kernelILj128ELj5ELj8EfEEvi20rocsparse_direction_NS_24const_host_device_scalarIT2_EEPKiS6_PKS3_S8_S4_PS3_21rocsparse_index_base_b.private_seg_size, 0
	.set _ZN9rocsparseL19gebsrmvn_4xn_kernelILj128ELj5ELj8EfEEvi20rocsparse_direction_NS_24const_host_device_scalarIT2_EEPKiS6_PKS3_S8_S4_PS3_21rocsparse_index_base_b.uses_vcc, 1
	.set _ZN9rocsparseL19gebsrmvn_4xn_kernelILj128ELj5ELj8EfEEvi20rocsparse_direction_NS_24const_host_device_scalarIT2_EEPKiS6_PKS3_S8_S4_PS3_21rocsparse_index_base_b.uses_flat_scratch, 0
	.set _ZN9rocsparseL19gebsrmvn_4xn_kernelILj128ELj5ELj8EfEEvi20rocsparse_direction_NS_24const_host_device_scalarIT2_EEPKiS6_PKS3_S8_S4_PS3_21rocsparse_index_base_b.has_dyn_sized_stack, 0
	.set _ZN9rocsparseL19gebsrmvn_4xn_kernelILj128ELj5ELj8EfEEvi20rocsparse_direction_NS_24const_host_device_scalarIT2_EEPKiS6_PKS3_S8_S4_PS3_21rocsparse_index_base_b.has_recursion, 0
	.set _ZN9rocsparseL19gebsrmvn_4xn_kernelILj128ELj5ELj8EfEEvi20rocsparse_direction_NS_24const_host_device_scalarIT2_EEPKiS6_PKS3_S8_S4_PS3_21rocsparse_index_base_b.has_indirect_call, 0
	.section	.AMDGPU.csdata,"",@progbits
; Kernel info:
; codeLenInByte = 1992
; TotalNumSgprs: 24
; NumVgprs: 44
; ScratchSize: 0
; MemoryBound: 0
; FloatMode: 240
; IeeeMode: 1
; LDSByteSize: 0 bytes/workgroup (compile time only)
; SGPRBlocks: 2
; VGPRBlocks: 10
; NumSGPRsForWavesPerEU: 24
; NumVGPRsForWavesPerEU: 44
; Occupancy: 5
; WaveLimiterHint : 1
; COMPUTE_PGM_RSRC2:SCRATCH_EN: 0
; COMPUTE_PGM_RSRC2:USER_SGPR: 6
; COMPUTE_PGM_RSRC2:TRAP_HANDLER: 0
; COMPUTE_PGM_RSRC2:TGID_X_EN: 1
; COMPUTE_PGM_RSRC2:TGID_Y_EN: 0
; COMPUTE_PGM_RSRC2:TGID_Z_EN: 0
; COMPUTE_PGM_RSRC2:TIDIG_COMP_CNT: 0
	.section	.text._ZN9rocsparseL19gebsrmvn_4xn_kernelILj128ELj5ELj16EfEEvi20rocsparse_direction_NS_24const_host_device_scalarIT2_EEPKiS6_PKS3_S8_S4_PS3_21rocsparse_index_base_b,"axG",@progbits,_ZN9rocsparseL19gebsrmvn_4xn_kernelILj128ELj5ELj16EfEEvi20rocsparse_direction_NS_24const_host_device_scalarIT2_EEPKiS6_PKS3_S8_S4_PS3_21rocsparse_index_base_b,comdat
	.globl	_ZN9rocsparseL19gebsrmvn_4xn_kernelILj128ELj5ELj16EfEEvi20rocsparse_direction_NS_24const_host_device_scalarIT2_EEPKiS6_PKS3_S8_S4_PS3_21rocsparse_index_base_b ; -- Begin function _ZN9rocsparseL19gebsrmvn_4xn_kernelILj128ELj5ELj16EfEEvi20rocsparse_direction_NS_24const_host_device_scalarIT2_EEPKiS6_PKS3_S8_S4_PS3_21rocsparse_index_base_b
	.p2align	8
	.type	_ZN9rocsparseL19gebsrmvn_4xn_kernelILj128ELj5ELj16EfEEvi20rocsparse_direction_NS_24const_host_device_scalarIT2_EEPKiS6_PKS3_S8_S4_PS3_21rocsparse_index_base_b,@function
_ZN9rocsparseL19gebsrmvn_4xn_kernelILj128ELj5ELj16EfEEvi20rocsparse_direction_NS_24const_host_device_scalarIT2_EEPKiS6_PKS3_S8_S4_PS3_21rocsparse_index_base_b: ; @_ZN9rocsparseL19gebsrmvn_4xn_kernelILj128ELj5ELj16EfEEvi20rocsparse_direction_NS_24const_host_device_scalarIT2_EEPKiS6_PKS3_S8_S4_PS3_21rocsparse_index_base_b
; %bb.0:
	s_load_dwordx2 s[18:19], s[4:5], 0x40
	s_load_dwordx2 s[16:17], s[4:5], 0x8
	;; [unrolled: 1-line block ×3, first 2 shown]
	s_waitcnt lgkmcnt(0)
	s_bitcmp1_b32 s19, 0
	s_cselect_b64 s[8:9], -1, 0
	s_xor_b64 s[0:1], s[8:9], -1
	s_and_b64 vcc, exec, s[8:9]
	s_cbranch_vccnz .LBB17_2
; %bb.1:
	s_load_dword s16, s[16:17], 0x0
.LBB17_2:
	s_andn2_b64 vcc, exec, s[0:1]
	s_cbranch_vccnz .LBB17_4
; %bb.3:
	s_load_dword s2, s[2:3], 0x0
.LBB17_4:
	s_waitcnt lgkmcnt(0)
	v_cmp_eq_f32_e64 s[0:1], s16, 0
	v_cmp_eq_f32_e64 s[8:9], s2, 1.0
	s_and_b64 s[0:1], s[0:1], s[8:9]
	s_and_b64 vcc, exec, s[0:1]
	s_cbranch_vccnz .LBB17_22
; %bb.5:
	s_load_dwordx2 s[0:1], s[4:5], 0x0
	v_lshrrev_b32_e32 v1, 4, v0
	v_lshl_or_b32 v4, s6, 3, v1
	s_waitcnt lgkmcnt(0)
	v_cmp_gt_i32_e32 vcc, s0, v4
	s_and_saveexec_b64 s[6:7], vcc
	s_cbranch_execz .LBB17_22
; %bb.6:
	s_load_dwordx8 s[8:15], s[4:5], 0x10
	v_ashrrev_i32_e32 v5, 31, v4
	v_lshlrev_b64 v[1:2], 2, v[4:5]
	v_and_b32_e32 v9, 15, v0
	s_cmp_lg_u32 s1, 0
	s_waitcnt lgkmcnt(0)
	v_mov_b32_e32 v3, s9
	v_add_co_u32_e32 v1, vcc, s8, v1
	v_addc_co_u32_e32 v2, vcc, v3, v2, vcc
	global_load_dwordx2 v[1:2], v[1:2], off
	s_waitcnt vmcnt(0)
	v_subrev_u32_e32 v0, s18, v1
	v_subrev_u32_e32 v11, s18, v2
	v_add_u32_e32 v0, v0, v9
	v_cmp_lt_i32_e64 s[0:1], v0, v11
	s_cbranch_scc0 .LBB17_12
; %bb.7:
	v_mov_b32_e32 v13, 0
	v_mov_b32_e32 v10, 0
	;; [unrolled: 1-line block ×4, first 2 shown]
	s_and_saveexec_b64 s[6:7], s[0:1]
	s_cbranch_execz .LBB17_11
; %bb.8:
	v_mad_u64_u32 v[1:2], s[8:9], v0, 20, 16
	v_mov_b32_e32 v6, 0
	s_mov_b64 s[8:9], 0
	v_mov_b32_e32 v3, s11
	v_mov_b32_e32 v15, s13
	;; [unrolled: 1-line block ×8, first 2 shown]
.LBB17_9:                               ; =>This Inner Loop Header: Depth=1
	v_ashrrev_i32_e32 v8, 31, v7
	v_lshlrev_b64 v[17:18], 2, v[7:8]
	v_add_u32_e32 v5, -16, v1
	v_add_co_u32_e32 v17, vcc, s10, v17
	v_addc_co_u32_e32 v18, vcc, v3, v18, vcc
	global_load_dword v8, v[17:18], off
	v_lshlrev_b64 v[17:18], 2, v[5:6]
	v_mov_b32_e32 v2, v6
	v_lshlrev_b64 v[19:20], 2, v[1:2]
	v_add_co_u32_e32 v17, vcc, s12, v17
	v_add_u32_e32 v5, -12, v1
	v_addc_co_u32_e32 v18, vcc, v15, v18, vcc
	v_lshlrev_b64 v[21:22], 2, v[5:6]
	v_add_co_u32_e32 v29, vcc, s12, v19
	v_addc_co_u32_e32 v30, vcc, v15, v20, vcc
	v_mov_b32_e32 v34, v6
	v_add_co_u32_e32 v31, vcc, s12, v21
	global_load_dwordx4 v[17:20], v[17:18], off
	v_addc_co_u32_e32 v32, vcc, v15, v22, vcc
	global_load_dwordx4 v[21:24], v[29:30], off
	global_load_dwordx4 v[25:28], v[31:32], off
	v_add_u32_e32 v7, 16, v7
	s_waitcnt vmcnt(3)
	v_subrev_u32_e32 v2, s18, v8
	v_lshl_add_u32 v33, v2, 2, v2
	v_lshlrev_b64 v[29:30], 2, v[33:34]
	v_add_u32_e32 v5, 1, v33
	v_lshlrev_b64 v[31:32], 2, v[5:6]
	v_add_co_u32_e32 v29, vcc, s14, v29
	v_add_u32_e32 v5, -8, v1
	v_addc_co_u32_e32 v30, vcc, v16, v30, vcc
	v_lshlrev_b64 v[34:35], 2, v[5:6]
	global_load_dword v2, v[29:30], off
	v_add_co_u32_e32 v29, vcc, s14, v31
	v_add_u32_e32 v5, 2, v33
	v_addc_co_u32_e32 v30, vcc, v16, v32, vcc
	v_lshlrev_b64 v[36:37], 2, v[5:6]
	global_load_dword v8, v[29:30], off
	v_add_co_u32_e32 v29, vcc, s12, v34
	v_add_u32_e32 v5, -4, v1
	v_addc_co_u32_e32 v30, vcc, v15, v35, vcc
	v_lshlrev_b64 v[34:35], 2, v[5:6]
	v_add_co_u32_e32 v36, vcc, s14, v36
	v_add_u32_e32 v5, 3, v33
	v_addc_co_u32_e32 v37, vcc, v16, v37, vcc
	v_lshlrev_b64 v[38:39], 2, v[5:6]
	v_add_u32_e32 v5, 4, v33
	v_add_co_u32_e32 v33, vcc, s12, v34
	v_addc_co_u32_e32 v34, vcc, v15, v35, vcc
	global_load_dword v42, v[36:37], off
	v_lshlrev_b64 v[40:41], 2, v[5:6]
	v_add_co_u32_e32 v37, vcc, s14, v38
	v_addc_co_u32_e32 v38, vcc, v16, v39, vcc
	global_load_dwordx4 v[29:32], v[29:30], off
	v_add_u32_e32 v1, 0x140, v1
	global_load_dword v5, v[37:38], off
	v_add_co_u32_e32 v37, vcc, s14, v40
	global_load_dwordx4 v[33:36], v[33:34], off
	v_addc_co_u32_e32 v38, vcc, v16, v41, vcc
	global_load_dword v37, v[37:38], off
	v_cmp_ge_i32_e32 vcc, v7, v11
	s_or_b64 s[8:9], vcc, s[8:9]
	s_waitcnt vmcnt(6)
	v_fmac_f32_e32 v13, v17, v2
	v_fmac_f32_e32 v14, v18, v2
	v_fmac_f32_e32 v12, v19, v2
	v_fmac_f32_e32 v10, v20, v2
	s_waitcnt vmcnt(5)
	v_fmac_f32_e32 v13, v25, v8
	v_fmac_f32_e32 v14, v26, v8
	v_fmac_f32_e32 v12, v27, v8
	v_fmac_f32_e32 v10, v28, v8
	;; [unrolled: 5-line block ×5, first 2 shown]
	s_andn2_b64 exec, exec, s[8:9]
	s_cbranch_execnz .LBB17_9
; %bb.10:
	s_or_b64 exec, exec, s[8:9]
.LBB17_11:
	s_or_b64 exec, exec, s[6:7]
	s_cbranch_execz .LBB17_13
	s_branch .LBB17_18
.LBB17_12:
                                        ; implicit-def: $vgpr13
                                        ; implicit-def: $vgpr10
                                        ; implicit-def: $vgpr12
                                        ; implicit-def: $vgpr14
.LBB17_13:
	v_mov_b32_e32 v13, 0
	v_mov_b32_e32 v10, 0
	;; [unrolled: 1-line block ×4, first 2 shown]
	s_and_saveexec_b64 s[6:7], s[0:1]
	s_cbranch_execz .LBB17_17
; %bb.14:
	v_mad_u64_u32 v[2:3], s[0:1], v0, 20, 19
	v_mov_b32_e32 v6, 0
	s_mov_b64 s[0:1], 0
	v_mov_b32_e32 v7, s11
	v_mov_b32_e32 v8, s13
	v_mov_b32_e32 v15, s15
	v_mov_b32_e32 v13, 0
	v_mov_b32_e32 v10, 0
	v_mov_b32_e32 v12, 0
	v_mov_b32_e32 v14, 0
.LBB17_15:                              ; =>This Inner Loop Header: Depth=1
	v_ashrrev_i32_e32 v1, 31, v0
	v_lshlrev_b64 v[24:25], 2, v[0:1]
	v_subrev_u32_e32 v5, 19, v2
	v_lshlrev_b64 v[26:27], 2, v[5:6]
	v_add_co_u32_e32 v24, vcc, s10, v24
	v_add_u32_e32 v16, -14, v2
	v_mov_b32_e32 v17, v6
	v_addc_co_u32_e32 v25, vcc, v7, v25, vcc
	v_lshlrev_b64 v[16:17], 2, v[16:17]
	v_add_co_u32_e32 v26, vcc, s12, v26
	v_add_u32_e32 v18, -9, v2
	v_mov_b32_e32 v19, v6
	v_addc_co_u32_e32 v27, vcc, v8, v27, vcc
	;; [unrolled: 5-line block ×3, first 2 shown]
	v_lshlrev_b64 v[22:23], 2, v[22:23]
	v_add_co_u32_e32 v32, vcc, s12, v18
	v_mov_b32_e32 v3, v6
	v_addc_co_u32_e32 v33, vcc, v8, v19, vcc
	v_lshlrev_b64 v[28:29], 2, v[2:3]
	v_add_co_u32_e32 v22, vcc, s12, v22
	v_addc_co_u32_e32 v23, vcc, v8, v23, vcc
	v_add_co_u32_e32 v28, vcc, s12, v28
	v_addc_co_u32_e32 v29, vcc, v8, v29, vcc
	global_load_dword v1, v[24:25], off
	global_load_dword v3, v[30:31], off
	;; [unrolled: 1-line block ×5, first 2 shown]
	global_load_dwordx4 v[16:19], v[26:27], off
	v_mov_b32_e32 v21, v6
	v_add_u32_e32 v0, 16, v0
	s_waitcnt vmcnt(5)
	v_subrev_u32_e32 v1, s18, v1
	v_lshl_add_u32 v20, v1, 2, v1
	v_lshlrev_b64 v[21:22], 2, v[20:21]
	v_add_u32_e32 v5, 1, v20
	v_lshlrev_b64 v[23:24], 2, v[5:6]
	v_add_co_u32_e32 v21, vcc, s14, v21
	v_add_u32_e32 v5, -13, v2
	v_addc_co_u32_e32 v22, vcc, v15, v22, vcc
	v_lshlrev_b64 v[25:26], 2, v[5:6]
	v_add_co_u32_e32 v23, vcc, s14, v23
	v_add_u32_e32 v5, -8, v2
	v_addc_co_u32_e32 v24, vcc, v15, v24, vcc
	v_lshlrev_b64 v[27:28], 2, v[5:6]
	global_load_dword v1, v[21:22], off
	global_load_dword v29, v[23:24], off
	v_add_co_u32_e32 v21, vcc, s12, v25
	v_add_u32_e32 v5, -3, v2
	v_addc_co_u32_e32 v22, vcc, v8, v26, vcc
	v_lshlrev_b64 v[25:26], 2, v[5:6]
	v_add_co_u32_e32 v23, vcc, s12, v27
	v_add_u32_e32 v5, 2, v20
	v_addc_co_u32_e32 v24, vcc, v8, v28, vcc
	v_lshlrev_b64 v[27:28], 2, v[5:6]
	global_load_dword v30, v[21:22], off
	global_load_dword v31, v[23:24], off
	v_add_co_u32_e32 v21, vcc, s12, v25
	v_add_u32_e32 v5, -12, v2
	v_addc_co_u32_e32 v22, vcc, v8, v26, vcc
	v_lshlrev_b64 v[25:26], 2, v[5:6]
	v_add_co_u32_e32 v23, vcc, s14, v27
	v_add_u32_e32 v5, -7, v2
	v_addc_co_u32_e32 v24, vcc, v15, v28, vcc
	v_lshlrev_b64 v[27:28], 2, v[5:6]
	global_load_dword v32, v[21:22], off
	v_add_co_u32_e32 v21, vcc, s12, v25
	v_add_u32_e32 v5, -2, v2
	v_addc_co_u32_e32 v22, vcc, v8, v26, vcc
	v_lshlrev_b64 v[25:26], 2, v[5:6]
	global_load_dword v33, v[23:24], off
	v_add_co_u32_e32 v23, vcc, s12, v27
	v_add_u32_e32 v5, 3, v20
	v_addc_co_u32_e32 v24, vcc, v8, v28, vcc
	v_lshlrev_b64 v[27:28], 2, v[5:6]
	global_load_dword v37, v[21:22], off
	v_add_co_u32_e32 v21, vcc, s12, v25
	v_add_u32_e32 v5, -11, v2
	v_addc_co_u32_e32 v22, vcc, v8, v26, vcc
	v_lshlrev_b64 v[25:26], 2, v[5:6]
	global_load_dword v38, v[23:24], off
	global_load_dword v39, v[21:22], off
	v_add_co_u32_e32 v23, vcc, s14, v27
	v_add_u32_e32 v5, -6, v2
	v_addc_co_u32_e32 v24, vcc, v15, v28, vcc
	v_lshlrev_b64 v[27:28], 2, v[5:6]
	v_add_co_u32_e32 v21, vcc, s12, v25
	v_add_u32_e32 v5, -1, v2
	v_addc_co_u32_e32 v22, vcc, v8, v26, vcc
	v_lshlrev_b64 v[25:26], 2, v[5:6]
	v_add_co_u32_e32 v27, vcc, s12, v27
	v_add_u32_e32 v5, -15, v2
	v_addc_co_u32_e32 v28, vcc, v8, v28, vcc
	global_load_dword v40, v[23:24], off
	v_lshlrev_b64 v[23:24], 2, v[5:6]
	v_add_u32_e32 v5, 4, v20
	v_add_co_u32_e32 v20, vcc, s12, v25
	global_load_dword v41, v[21:22], off
	v_addc_co_u32_e32 v21, vcc, v8, v26, vcc
	v_lshlrev_b64 v[25:26], 2, v[5:6]
	v_add_co_u32_e32 v22, vcc, s12, v23
	v_add_u32_e32 v5, -10, v2
	v_addc_co_u32_e32 v23, vcc, v8, v24, vcc
	global_load_dword v42, v[27:28], off
	global_load_dword v43, v[20:21], off
	v_lshlrev_b64 v[27:28], 2, v[5:6]
	v_add_co_u32_e32 v20, vcc, s14, v25
	v_add_u32_e32 v5, -5, v2
	v_addc_co_u32_e32 v21, vcc, v15, v26, vcc
	v_lshlrev_b64 v[24:25], 2, v[5:6]
	global_load_dword v5, v[22:23], off
	v_add_co_u32_e32 v22, vcc, s12, v27
	v_addc_co_u32_e32 v23, vcc, v8, v28, vcc
	global_load_dword v26, v[20:21], off
	v_add_co_u32_e32 v20, vcc, s12, v24
	v_addc_co_u32_e32 v21, vcc, v8, v25, vcc
	global_load_dword v24, v[22:23], off
	global_load_dword v25, v[20:21], off
	s_waitcnt vmcnt(16)
	v_fmac_f32_e32 v14, v3, v1
	v_fmac_f32_e32 v12, v34, v1
	;; [unrolled: 1-line block ×4, first 2 shown]
	s_waitcnt vmcnt(15)
	v_fmac_f32_e32 v13, v17, v29
	s_waitcnt vmcnt(14)
	v_fmac_f32_e32 v14, v30, v29
	;; [unrolled: 2-line block ×4, first 2 shown]
	v_cmp_ge_i32_e32 vcc, v0, v11
	s_or_b64 s[0:1], vcc, s[0:1]
	v_add_u32_e32 v2, 0x140, v2
	s_waitcnt vmcnt(11)
	v_fmac_f32_e32 v13, v18, v33
	s_waitcnt vmcnt(10)
	v_fmac_f32_e32 v14, v37, v33
	s_waitcnt vmcnt(9)
	v_fmac_f32_e32 v12, v38, v33
	s_waitcnt vmcnt(8)
	v_fmac_f32_e32 v10, v39, v33
	s_waitcnt vmcnt(7)
	v_fmac_f32_e32 v13, v19, v40
	s_waitcnt vmcnt(6)
	v_fmac_f32_e32 v14, v41, v40
	s_waitcnt vmcnt(5)
	v_fmac_f32_e32 v12, v42, v40
	s_waitcnt vmcnt(4)
	v_fmac_f32_e32 v10, v43, v40
	s_waitcnt vmcnt(2)
	v_fmac_f32_e32 v13, v5, v26
	v_fmac_f32_e32 v10, v36, v26
	s_waitcnt vmcnt(1)
	v_fmac_f32_e32 v14, v24, v26
	s_waitcnt vmcnt(0)
	v_fmac_f32_e32 v12, v25, v26
	s_andn2_b64 exec, exec, s[0:1]
	s_cbranch_execnz .LBB17_15
; %bb.16:
	s_or_b64 exec, exec, s[0:1]
.LBB17_17:
	s_or_b64 exec, exec, s[6:7]
.LBB17_18:
	v_mov_b32_dpp v0, v13 row_shr:1 row_mask:0xf bank_mask:0xf
	v_mov_b32_dpp v2, v14 row_shr:1 row_mask:0xf bank_mask:0xf
	v_mov_b32_dpp v5, v12 row_shr:1 row_mask:0xf bank_mask:0xf
	v_mov_b32_dpp v7, v10 row_shr:1 row_mask:0xf bank_mask:0xf
	v_add_f32_e32 v0, v13, v0
	v_add_f32_e32 v2, v14, v2
	v_add_f32_e32 v5, v12, v5
	v_add_f32_e32 v7, v10, v7
	v_mov_b32_dpp v1, v0 row_shr:2 row_mask:0xf bank_mask:0xf
	v_mov_b32_dpp v3, v2 row_shr:2 row_mask:0xf bank_mask:0xf
	v_mov_b32_dpp v6, v5 row_shr:2 row_mask:0xf bank_mask:0xf
	v_mov_b32_dpp v8, v7 row_shr:2 row_mask:0xf bank_mask:0xf
	v_add_f32_e32 v0, v0, v1
	v_add_f32_e32 v2, v2, v3
	v_add_f32_e32 v5, v5, v6
	v_add_f32_e32 v7, v7, v8
	;; [unrolled: 8-line block ×3, first 2 shown]
	v_mov_b32_dpp v1, v0 row_shr:8 row_mask:0xf bank_mask:0xc
	v_mov_b32_dpp v3, v2 row_shr:8 row_mask:0xf bank_mask:0xc
	;; [unrolled: 1-line block ×4, first 2 shown]
	v_cmp_eq_u32_e32 vcc, 15, v9
	s_and_b64 exec, exec, vcc
	s_cbranch_execz .LBB17_22
; %bb.19:
	s_load_dwordx2 s[0:1], s[4:5], 0x38
	v_add_f32_e32 v0, v0, v1
	v_add_f32_e32 v1, v2, v3
	;; [unrolled: 1-line block ×4, first 2 shown]
	v_cmp_eq_f32_e64 s[4:5], s2, 0
	s_and_b64 vcc, exec, s[4:5]
	v_mul_f32_e32 v0, s16, v0
	v_mul_f32_e32 v1, s16, v1
	;; [unrolled: 1-line block ×4, first 2 shown]
	v_lshlrev_b32_e32 v4, 2, v4
	s_cbranch_vccz .LBB17_23
; %bb.20:
	v_ashrrev_i32_e32 v5, 31, v4
	v_lshlrev_b64 v[5:6], 2, v[4:5]
	s_waitcnt lgkmcnt(0)
	v_mov_b32_e32 v7, s1
	v_add_co_u32_e32 v5, vcc, s0, v5
	v_addc_co_u32_e32 v6, vcc, v7, v6, vcc
	global_store_dwordx4 v[5:6], v[0:3], off
	s_cbranch_execnz .LBB17_22
.LBB17_21:
	v_ashrrev_i32_e32 v5, 31, v4
	v_lshlrev_b64 v[4:5], 2, v[4:5]
	s_waitcnt lgkmcnt(0)
	v_mov_b32_e32 v6, s1
	v_add_co_u32_e32 v8, vcc, s0, v4
	v_addc_co_u32_e32 v9, vcc, v6, v5, vcc
	global_load_dwordx4 v[4:7], v[8:9], off
	s_waitcnt vmcnt(0)
	v_fmac_f32_e32 v0, s2, v4
	v_fmac_f32_e32 v1, s2, v5
	;; [unrolled: 1-line block ×4, first 2 shown]
	global_store_dwordx4 v[8:9], v[0:3], off
.LBB17_22:
	s_endpgm
.LBB17_23:
	s_branch .LBB17_21
	.section	.rodata,"a",@progbits
	.p2align	6, 0x0
	.amdhsa_kernel _ZN9rocsparseL19gebsrmvn_4xn_kernelILj128ELj5ELj16EfEEvi20rocsparse_direction_NS_24const_host_device_scalarIT2_EEPKiS6_PKS3_S8_S4_PS3_21rocsparse_index_base_b
		.amdhsa_group_segment_fixed_size 0
		.amdhsa_private_segment_fixed_size 0
		.amdhsa_kernarg_size 72
		.amdhsa_user_sgpr_count 6
		.amdhsa_user_sgpr_private_segment_buffer 1
		.amdhsa_user_sgpr_dispatch_ptr 0
		.amdhsa_user_sgpr_queue_ptr 0
		.amdhsa_user_sgpr_kernarg_segment_ptr 1
		.amdhsa_user_sgpr_dispatch_id 0
		.amdhsa_user_sgpr_flat_scratch_init 0
		.amdhsa_user_sgpr_private_segment_size 0
		.amdhsa_uses_dynamic_stack 0
		.amdhsa_system_sgpr_private_segment_wavefront_offset 0
		.amdhsa_system_sgpr_workgroup_id_x 1
		.amdhsa_system_sgpr_workgroup_id_y 0
		.amdhsa_system_sgpr_workgroup_id_z 0
		.amdhsa_system_sgpr_workgroup_info 0
		.amdhsa_system_vgpr_workitem_id 0
		.amdhsa_next_free_vgpr 44
		.amdhsa_next_free_sgpr 20
		.amdhsa_reserve_vcc 1
		.amdhsa_reserve_flat_scratch 0
		.amdhsa_float_round_mode_32 0
		.amdhsa_float_round_mode_16_64 0
		.amdhsa_float_denorm_mode_32 3
		.amdhsa_float_denorm_mode_16_64 3
		.amdhsa_dx10_clamp 1
		.amdhsa_ieee_mode 1
		.amdhsa_fp16_overflow 0
		.amdhsa_exception_fp_ieee_invalid_op 0
		.amdhsa_exception_fp_denorm_src 0
		.amdhsa_exception_fp_ieee_div_zero 0
		.amdhsa_exception_fp_ieee_overflow 0
		.amdhsa_exception_fp_ieee_underflow 0
		.amdhsa_exception_fp_ieee_inexact 0
		.amdhsa_exception_int_div_zero 0
	.end_amdhsa_kernel
	.section	.text._ZN9rocsparseL19gebsrmvn_4xn_kernelILj128ELj5ELj16EfEEvi20rocsparse_direction_NS_24const_host_device_scalarIT2_EEPKiS6_PKS3_S8_S4_PS3_21rocsparse_index_base_b,"axG",@progbits,_ZN9rocsparseL19gebsrmvn_4xn_kernelILj128ELj5ELj16EfEEvi20rocsparse_direction_NS_24const_host_device_scalarIT2_EEPKiS6_PKS3_S8_S4_PS3_21rocsparse_index_base_b,comdat
.Lfunc_end17:
	.size	_ZN9rocsparseL19gebsrmvn_4xn_kernelILj128ELj5ELj16EfEEvi20rocsparse_direction_NS_24const_host_device_scalarIT2_EEPKiS6_PKS3_S8_S4_PS3_21rocsparse_index_base_b, .Lfunc_end17-_ZN9rocsparseL19gebsrmvn_4xn_kernelILj128ELj5ELj16EfEEvi20rocsparse_direction_NS_24const_host_device_scalarIT2_EEPKiS6_PKS3_S8_S4_PS3_21rocsparse_index_base_b
                                        ; -- End function
	.set _ZN9rocsparseL19gebsrmvn_4xn_kernelILj128ELj5ELj16EfEEvi20rocsparse_direction_NS_24const_host_device_scalarIT2_EEPKiS6_PKS3_S8_S4_PS3_21rocsparse_index_base_b.num_vgpr, 44
	.set _ZN9rocsparseL19gebsrmvn_4xn_kernelILj128ELj5ELj16EfEEvi20rocsparse_direction_NS_24const_host_device_scalarIT2_EEPKiS6_PKS3_S8_S4_PS3_21rocsparse_index_base_b.num_agpr, 0
	.set _ZN9rocsparseL19gebsrmvn_4xn_kernelILj128ELj5ELj16EfEEvi20rocsparse_direction_NS_24const_host_device_scalarIT2_EEPKiS6_PKS3_S8_S4_PS3_21rocsparse_index_base_b.numbered_sgpr, 20
	.set _ZN9rocsparseL19gebsrmvn_4xn_kernelILj128ELj5ELj16EfEEvi20rocsparse_direction_NS_24const_host_device_scalarIT2_EEPKiS6_PKS3_S8_S4_PS3_21rocsparse_index_base_b.num_named_barrier, 0
	.set _ZN9rocsparseL19gebsrmvn_4xn_kernelILj128ELj5ELj16EfEEvi20rocsparse_direction_NS_24const_host_device_scalarIT2_EEPKiS6_PKS3_S8_S4_PS3_21rocsparse_index_base_b.private_seg_size, 0
	.set _ZN9rocsparseL19gebsrmvn_4xn_kernelILj128ELj5ELj16EfEEvi20rocsparse_direction_NS_24const_host_device_scalarIT2_EEPKiS6_PKS3_S8_S4_PS3_21rocsparse_index_base_b.uses_vcc, 1
	.set _ZN9rocsparseL19gebsrmvn_4xn_kernelILj128ELj5ELj16EfEEvi20rocsparse_direction_NS_24const_host_device_scalarIT2_EEPKiS6_PKS3_S8_S4_PS3_21rocsparse_index_base_b.uses_flat_scratch, 0
	.set _ZN9rocsparseL19gebsrmvn_4xn_kernelILj128ELj5ELj16EfEEvi20rocsparse_direction_NS_24const_host_device_scalarIT2_EEPKiS6_PKS3_S8_S4_PS3_21rocsparse_index_base_b.has_dyn_sized_stack, 0
	.set _ZN9rocsparseL19gebsrmvn_4xn_kernelILj128ELj5ELj16EfEEvi20rocsparse_direction_NS_24const_host_device_scalarIT2_EEPKiS6_PKS3_S8_S4_PS3_21rocsparse_index_base_b.has_recursion, 0
	.set _ZN9rocsparseL19gebsrmvn_4xn_kernelILj128ELj5ELj16EfEEvi20rocsparse_direction_NS_24const_host_device_scalarIT2_EEPKiS6_PKS3_S8_S4_PS3_21rocsparse_index_base_b.has_indirect_call, 0
	.section	.AMDGPU.csdata,"",@progbits
; Kernel info:
; codeLenInByte = 2040
; TotalNumSgprs: 24
; NumVgprs: 44
; ScratchSize: 0
; MemoryBound: 0
; FloatMode: 240
; IeeeMode: 1
; LDSByteSize: 0 bytes/workgroup (compile time only)
; SGPRBlocks: 2
; VGPRBlocks: 10
; NumSGPRsForWavesPerEU: 24
; NumVGPRsForWavesPerEU: 44
; Occupancy: 5
; WaveLimiterHint : 1
; COMPUTE_PGM_RSRC2:SCRATCH_EN: 0
; COMPUTE_PGM_RSRC2:USER_SGPR: 6
; COMPUTE_PGM_RSRC2:TRAP_HANDLER: 0
; COMPUTE_PGM_RSRC2:TGID_X_EN: 1
; COMPUTE_PGM_RSRC2:TGID_Y_EN: 0
; COMPUTE_PGM_RSRC2:TGID_Z_EN: 0
; COMPUTE_PGM_RSRC2:TIDIG_COMP_CNT: 0
	.section	.text._ZN9rocsparseL19gebsrmvn_4xn_kernelILj128ELj5ELj32EfEEvi20rocsparse_direction_NS_24const_host_device_scalarIT2_EEPKiS6_PKS3_S8_S4_PS3_21rocsparse_index_base_b,"axG",@progbits,_ZN9rocsparseL19gebsrmvn_4xn_kernelILj128ELj5ELj32EfEEvi20rocsparse_direction_NS_24const_host_device_scalarIT2_EEPKiS6_PKS3_S8_S4_PS3_21rocsparse_index_base_b,comdat
	.globl	_ZN9rocsparseL19gebsrmvn_4xn_kernelILj128ELj5ELj32EfEEvi20rocsparse_direction_NS_24const_host_device_scalarIT2_EEPKiS6_PKS3_S8_S4_PS3_21rocsparse_index_base_b ; -- Begin function _ZN9rocsparseL19gebsrmvn_4xn_kernelILj128ELj5ELj32EfEEvi20rocsparse_direction_NS_24const_host_device_scalarIT2_EEPKiS6_PKS3_S8_S4_PS3_21rocsparse_index_base_b
	.p2align	8
	.type	_ZN9rocsparseL19gebsrmvn_4xn_kernelILj128ELj5ELj32EfEEvi20rocsparse_direction_NS_24const_host_device_scalarIT2_EEPKiS6_PKS3_S8_S4_PS3_21rocsparse_index_base_b,@function
_ZN9rocsparseL19gebsrmvn_4xn_kernelILj128ELj5ELj32EfEEvi20rocsparse_direction_NS_24const_host_device_scalarIT2_EEPKiS6_PKS3_S8_S4_PS3_21rocsparse_index_base_b: ; @_ZN9rocsparseL19gebsrmvn_4xn_kernelILj128ELj5ELj32EfEEvi20rocsparse_direction_NS_24const_host_device_scalarIT2_EEPKiS6_PKS3_S8_S4_PS3_21rocsparse_index_base_b
; %bb.0:
	s_load_dwordx2 s[18:19], s[4:5], 0x40
	s_load_dwordx2 s[16:17], s[4:5], 0x8
	;; [unrolled: 1-line block ×3, first 2 shown]
	s_waitcnt lgkmcnt(0)
	s_bitcmp1_b32 s19, 0
	s_cselect_b64 s[8:9], -1, 0
	s_xor_b64 s[0:1], s[8:9], -1
	s_and_b64 vcc, exec, s[8:9]
	s_cbranch_vccnz .LBB18_2
; %bb.1:
	s_load_dword s16, s[16:17], 0x0
.LBB18_2:
	s_andn2_b64 vcc, exec, s[0:1]
	s_cbranch_vccnz .LBB18_4
; %bb.3:
	s_load_dword s2, s[2:3], 0x0
.LBB18_4:
	s_waitcnt lgkmcnt(0)
	v_cmp_eq_f32_e64 s[0:1], s16, 0
	v_cmp_eq_f32_e64 s[8:9], s2, 1.0
	s_and_b64 s[0:1], s[0:1], s[8:9]
	s_and_b64 vcc, exec, s[0:1]
	s_cbranch_vccnz .LBB18_22
; %bb.5:
	s_load_dwordx2 s[0:1], s[4:5], 0x0
	v_lshrrev_b32_e32 v1, 5, v0
	v_lshl_or_b32 v4, s6, 2, v1
	s_waitcnt lgkmcnt(0)
	v_cmp_gt_i32_e32 vcc, s0, v4
	s_and_saveexec_b64 s[6:7], vcc
	s_cbranch_execz .LBB18_22
; %bb.6:
	s_load_dwordx8 s[8:15], s[4:5], 0x10
	v_ashrrev_i32_e32 v5, 31, v4
	v_lshlrev_b64 v[1:2], 2, v[4:5]
	v_and_b32_e32 v9, 31, v0
	s_cmp_lg_u32 s1, 0
	s_waitcnt lgkmcnt(0)
	v_mov_b32_e32 v3, s9
	v_add_co_u32_e32 v1, vcc, s8, v1
	v_addc_co_u32_e32 v2, vcc, v3, v2, vcc
	global_load_dwordx2 v[1:2], v[1:2], off
	s_waitcnt vmcnt(0)
	v_subrev_u32_e32 v0, s18, v1
	v_subrev_u32_e32 v11, s18, v2
	v_add_u32_e32 v0, v0, v9
	v_cmp_lt_i32_e64 s[0:1], v0, v11
	s_cbranch_scc0 .LBB18_12
; %bb.7:
	v_mov_b32_e32 v13, 0
	v_mov_b32_e32 v10, 0
	;; [unrolled: 1-line block ×4, first 2 shown]
	s_and_saveexec_b64 s[6:7], s[0:1]
	s_cbranch_execz .LBB18_11
; %bb.8:
	v_mad_u64_u32 v[1:2], s[8:9], v0, 20, 16
	v_mov_b32_e32 v6, 0
	s_mov_b64 s[8:9], 0
	v_mov_b32_e32 v3, s11
	v_mov_b32_e32 v15, s13
	;; [unrolled: 1-line block ×8, first 2 shown]
.LBB18_9:                               ; =>This Inner Loop Header: Depth=1
	v_ashrrev_i32_e32 v8, 31, v7
	v_lshlrev_b64 v[17:18], 2, v[7:8]
	v_add_u32_e32 v5, -16, v1
	v_add_co_u32_e32 v17, vcc, s10, v17
	v_addc_co_u32_e32 v18, vcc, v3, v18, vcc
	global_load_dword v8, v[17:18], off
	v_lshlrev_b64 v[17:18], 2, v[5:6]
	v_mov_b32_e32 v2, v6
	v_lshlrev_b64 v[19:20], 2, v[1:2]
	v_add_co_u32_e32 v17, vcc, s12, v17
	v_add_u32_e32 v5, -12, v1
	v_addc_co_u32_e32 v18, vcc, v15, v18, vcc
	v_lshlrev_b64 v[21:22], 2, v[5:6]
	v_add_co_u32_e32 v29, vcc, s12, v19
	v_addc_co_u32_e32 v30, vcc, v15, v20, vcc
	v_mov_b32_e32 v34, v6
	v_add_co_u32_e32 v31, vcc, s12, v21
	global_load_dwordx4 v[17:20], v[17:18], off
	v_addc_co_u32_e32 v32, vcc, v15, v22, vcc
	global_load_dwordx4 v[21:24], v[29:30], off
	global_load_dwordx4 v[25:28], v[31:32], off
	v_add_u32_e32 v7, 32, v7
	s_waitcnt vmcnt(3)
	v_subrev_u32_e32 v2, s18, v8
	v_lshl_add_u32 v33, v2, 2, v2
	v_lshlrev_b64 v[29:30], 2, v[33:34]
	v_add_u32_e32 v5, 1, v33
	v_lshlrev_b64 v[31:32], 2, v[5:6]
	v_add_co_u32_e32 v29, vcc, s14, v29
	v_add_u32_e32 v5, -8, v1
	v_addc_co_u32_e32 v30, vcc, v16, v30, vcc
	v_lshlrev_b64 v[34:35], 2, v[5:6]
	global_load_dword v2, v[29:30], off
	v_add_co_u32_e32 v29, vcc, s14, v31
	v_add_u32_e32 v5, 2, v33
	v_addc_co_u32_e32 v30, vcc, v16, v32, vcc
	v_lshlrev_b64 v[36:37], 2, v[5:6]
	global_load_dword v8, v[29:30], off
	v_add_co_u32_e32 v29, vcc, s12, v34
	v_add_u32_e32 v5, -4, v1
	v_addc_co_u32_e32 v30, vcc, v15, v35, vcc
	v_lshlrev_b64 v[34:35], 2, v[5:6]
	v_add_co_u32_e32 v36, vcc, s14, v36
	v_add_u32_e32 v5, 3, v33
	v_addc_co_u32_e32 v37, vcc, v16, v37, vcc
	v_lshlrev_b64 v[38:39], 2, v[5:6]
	v_add_u32_e32 v5, 4, v33
	v_add_co_u32_e32 v33, vcc, s12, v34
	v_addc_co_u32_e32 v34, vcc, v15, v35, vcc
	global_load_dword v42, v[36:37], off
	v_lshlrev_b64 v[40:41], 2, v[5:6]
	v_add_co_u32_e32 v37, vcc, s14, v38
	v_addc_co_u32_e32 v38, vcc, v16, v39, vcc
	global_load_dwordx4 v[29:32], v[29:30], off
	v_add_u32_e32 v1, 0x280, v1
	global_load_dword v5, v[37:38], off
	v_add_co_u32_e32 v37, vcc, s14, v40
	global_load_dwordx4 v[33:36], v[33:34], off
	v_addc_co_u32_e32 v38, vcc, v16, v41, vcc
	global_load_dword v37, v[37:38], off
	v_cmp_ge_i32_e32 vcc, v7, v11
	s_or_b64 s[8:9], vcc, s[8:9]
	s_waitcnt vmcnt(6)
	v_fmac_f32_e32 v13, v17, v2
	v_fmac_f32_e32 v14, v18, v2
	v_fmac_f32_e32 v12, v19, v2
	v_fmac_f32_e32 v10, v20, v2
	s_waitcnt vmcnt(5)
	v_fmac_f32_e32 v13, v25, v8
	v_fmac_f32_e32 v14, v26, v8
	v_fmac_f32_e32 v12, v27, v8
	v_fmac_f32_e32 v10, v28, v8
	;; [unrolled: 5-line block ×5, first 2 shown]
	s_andn2_b64 exec, exec, s[8:9]
	s_cbranch_execnz .LBB18_9
; %bb.10:
	s_or_b64 exec, exec, s[8:9]
.LBB18_11:
	s_or_b64 exec, exec, s[6:7]
	s_cbranch_execz .LBB18_13
	s_branch .LBB18_18
.LBB18_12:
                                        ; implicit-def: $vgpr13
                                        ; implicit-def: $vgpr10
                                        ; implicit-def: $vgpr12
                                        ; implicit-def: $vgpr14
.LBB18_13:
	v_mov_b32_e32 v13, 0
	v_mov_b32_e32 v10, 0
	;; [unrolled: 1-line block ×4, first 2 shown]
	s_and_saveexec_b64 s[6:7], s[0:1]
	s_cbranch_execz .LBB18_17
; %bb.14:
	v_mad_u64_u32 v[2:3], s[0:1], v0, 20, 19
	v_mov_b32_e32 v6, 0
	s_mov_b64 s[0:1], 0
	v_mov_b32_e32 v7, s11
	v_mov_b32_e32 v8, s13
	;; [unrolled: 1-line block ×7, first 2 shown]
.LBB18_15:                              ; =>This Inner Loop Header: Depth=1
	v_ashrrev_i32_e32 v1, 31, v0
	v_lshlrev_b64 v[24:25], 2, v[0:1]
	v_subrev_u32_e32 v5, 19, v2
	v_lshlrev_b64 v[26:27], 2, v[5:6]
	v_add_co_u32_e32 v24, vcc, s10, v24
	v_add_u32_e32 v16, -14, v2
	v_mov_b32_e32 v17, v6
	v_addc_co_u32_e32 v25, vcc, v7, v25, vcc
	v_lshlrev_b64 v[16:17], 2, v[16:17]
	v_add_co_u32_e32 v26, vcc, s12, v26
	v_add_u32_e32 v18, -9, v2
	v_mov_b32_e32 v19, v6
	v_addc_co_u32_e32 v27, vcc, v8, v27, vcc
	;; [unrolled: 5-line block ×3, first 2 shown]
	v_lshlrev_b64 v[22:23], 2, v[22:23]
	v_add_co_u32_e32 v32, vcc, s12, v18
	v_mov_b32_e32 v3, v6
	v_addc_co_u32_e32 v33, vcc, v8, v19, vcc
	v_lshlrev_b64 v[28:29], 2, v[2:3]
	v_add_co_u32_e32 v22, vcc, s12, v22
	v_addc_co_u32_e32 v23, vcc, v8, v23, vcc
	v_add_co_u32_e32 v28, vcc, s12, v28
	v_addc_co_u32_e32 v29, vcc, v8, v29, vcc
	global_load_dword v1, v[24:25], off
	global_load_dword v3, v[30:31], off
	;; [unrolled: 1-line block ×5, first 2 shown]
	global_load_dwordx4 v[16:19], v[26:27], off
	v_mov_b32_e32 v21, v6
	v_add_u32_e32 v0, 32, v0
	s_waitcnt vmcnt(5)
	v_subrev_u32_e32 v1, s18, v1
	v_lshl_add_u32 v20, v1, 2, v1
	v_lshlrev_b64 v[21:22], 2, v[20:21]
	v_add_u32_e32 v5, 1, v20
	v_lshlrev_b64 v[23:24], 2, v[5:6]
	v_add_co_u32_e32 v21, vcc, s14, v21
	v_add_u32_e32 v5, -13, v2
	v_addc_co_u32_e32 v22, vcc, v15, v22, vcc
	v_lshlrev_b64 v[25:26], 2, v[5:6]
	v_add_co_u32_e32 v23, vcc, s14, v23
	v_add_u32_e32 v5, -8, v2
	v_addc_co_u32_e32 v24, vcc, v15, v24, vcc
	v_lshlrev_b64 v[27:28], 2, v[5:6]
	global_load_dword v1, v[21:22], off
	global_load_dword v29, v[23:24], off
	v_add_co_u32_e32 v21, vcc, s12, v25
	v_add_u32_e32 v5, -3, v2
	v_addc_co_u32_e32 v22, vcc, v8, v26, vcc
	v_lshlrev_b64 v[25:26], 2, v[5:6]
	v_add_co_u32_e32 v23, vcc, s12, v27
	v_add_u32_e32 v5, 2, v20
	v_addc_co_u32_e32 v24, vcc, v8, v28, vcc
	v_lshlrev_b64 v[27:28], 2, v[5:6]
	global_load_dword v30, v[21:22], off
	global_load_dword v31, v[23:24], off
	v_add_co_u32_e32 v21, vcc, s12, v25
	v_add_u32_e32 v5, -12, v2
	v_addc_co_u32_e32 v22, vcc, v8, v26, vcc
	v_lshlrev_b64 v[25:26], 2, v[5:6]
	v_add_co_u32_e32 v23, vcc, s14, v27
	v_add_u32_e32 v5, -7, v2
	v_addc_co_u32_e32 v24, vcc, v15, v28, vcc
	v_lshlrev_b64 v[27:28], 2, v[5:6]
	global_load_dword v32, v[21:22], off
	v_add_co_u32_e32 v21, vcc, s12, v25
	v_add_u32_e32 v5, -2, v2
	v_addc_co_u32_e32 v22, vcc, v8, v26, vcc
	v_lshlrev_b64 v[25:26], 2, v[5:6]
	global_load_dword v33, v[23:24], off
	v_add_co_u32_e32 v23, vcc, s12, v27
	v_add_u32_e32 v5, 3, v20
	v_addc_co_u32_e32 v24, vcc, v8, v28, vcc
	v_lshlrev_b64 v[27:28], 2, v[5:6]
	global_load_dword v37, v[21:22], off
	v_add_co_u32_e32 v21, vcc, s12, v25
	v_add_u32_e32 v5, -11, v2
	v_addc_co_u32_e32 v22, vcc, v8, v26, vcc
	v_lshlrev_b64 v[25:26], 2, v[5:6]
	global_load_dword v38, v[23:24], off
	global_load_dword v39, v[21:22], off
	v_add_co_u32_e32 v23, vcc, s14, v27
	v_add_u32_e32 v5, -6, v2
	v_addc_co_u32_e32 v24, vcc, v15, v28, vcc
	v_lshlrev_b64 v[27:28], 2, v[5:6]
	v_add_co_u32_e32 v21, vcc, s12, v25
	v_add_u32_e32 v5, -1, v2
	v_addc_co_u32_e32 v22, vcc, v8, v26, vcc
	v_lshlrev_b64 v[25:26], 2, v[5:6]
	v_add_co_u32_e32 v27, vcc, s12, v27
	v_add_u32_e32 v5, -15, v2
	v_addc_co_u32_e32 v28, vcc, v8, v28, vcc
	global_load_dword v40, v[23:24], off
	v_lshlrev_b64 v[23:24], 2, v[5:6]
	v_add_u32_e32 v5, 4, v20
	v_add_co_u32_e32 v20, vcc, s12, v25
	global_load_dword v41, v[21:22], off
	v_addc_co_u32_e32 v21, vcc, v8, v26, vcc
	v_lshlrev_b64 v[25:26], 2, v[5:6]
	v_add_co_u32_e32 v22, vcc, s12, v23
	v_add_u32_e32 v5, -10, v2
	v_addc_co_u32_e32 v23, vcc, v8, v24, vcc
	global_load_dword v42, v[27:28], off
	global_load_dword v43, v[20:21], off
	v_lshlrev_b64 v[27:28], 2, v[5:6]
	v_add_co_u32_e32 v20, vcc, s14, v25
	v_add_u32_e32 v5, -5, v2
	v_addc_co_u32_e32 v21, vcc, v15, v26, vcc
	v_lshlrev_b64 v[24:25], 2, v[5:6]
	global_load_dword v5, v[22:23], off
	v_add_co_u32_e32 v22, vcc, s12, v27
	v_addc_co_u32_e32 v23, vcc, v8, v28, vcc
	global_load_dword v26, v[20:21], off
	v_add_co_u32_e32 v20, vcc, s12, v24
	v_addc_co_u32_e32 v21, vcc, v8, v25, vcc
	global_load_dword v24, v[22:23], off
	global_load_dword v25, v[20:21], off
	s_waitcnt vmcnt(16)
	v_fmac_f32_e32 v14, v3, v1
	v_fmac_f32_e32 v12, v34, v1
	;; [unrolled: 1-line block ×4, first 2 shown]
	s_waitcnt vmcnt(15)
	v_fmac_f32_e32 v13, v17, v29
	s_waitcnt vmcnt(14)
	v_fmac_f32_e32 v14, v30, v29
	;; [unrolled: 2-line block ×4, first 2 shown]
	v_cmp_ge_i32_e32 vcc, v0, v11
	s_or_b64 s[0:1], vcc, s[0:1]
	v_add_u32_e32 v2, 0x280, v2
	s_waitcnt vmcnt(11)
	v_fmac_f32_e32 v13, v18, v33
	s_waitcnt vmcnt(10)
	v_fmac_f32_e32 v14, v37, v33
	;; [unrolled: 2-line block ×9, first 2 shown]
	v_fmac_f32_e32 v10, v36, v26
	s_waitcnt vmcnt(1)
	v_fmac_f32_e32 v14, v24, v26
	s_waitcnt vmcnt(0)
	v_fmac_f32_e32 v12, v25, v26
	s_andn2_b64 exec, exec, s[0:1]
	s_cbranch_execnz .LBB18_15
; %bb.16:
	s_or_b64 exec, exec, s[0:1]
.LBB18_17:
	s_or_b64 exec, exec, s[6:7]
.LBB18_18:
	v_mov_b32_dpp v0, v13 row_shr:1 row_mask:0xf bank_mask:0xf
	v_mov_b32_dpp v2, v14 row_shr:1 row_mask:0xf bank_mask:0xf
	v_mov_b32_dpp v5, v12 row_shr:1 row_mask:0xf bank_mask:0xf
	v_mov_b32_dpp v7, v10 row_shr:1 row_mask:0xf bank_mask:0xf
	v_add_f32_e32 v0, v13, v0
	v_add_f32_e32 v2, v14, v2
	v_add_f32_e32 v5, v12, v5
	v_add_f32_e32 v7, v10, v7
	v_mov_b32_dpp v1, v0 row_shr:2 row_mask:0xf bank_mask:0xf
	v_mov_b32_dpp v3, v2 row_shr:2 row_mask:0xf bank_mask:0xf
	v_mov_b32_dpp v6, v5 row_shr:2 row_mask:0xf bank_mask:0xf
	v_mov_b32_dpp v8, v7 row_shr:2 row_mask:0xf bank_mask:0xf
	v_add_f32_e32 v0, v0, v1
	v_add_f32_e32 v2, v2, v3
	v_add_f32_e32 v5, v5, v6
	v_add_f32_e32 v7, v7, v8
	;; [unrolled: 8-line block ×4, first 2 shown]
	v_mov_b32_dpp v1, v0 row_bcast:15 row_mask:0xa bank_mask:0xf
	v_mov_b32_dpp v3, v2 row_bcast:15 row_mask:0xa bank_mask:0xf
	;; [unrolled: 1-line block ×4, first 2 shown]
	v_cmp_eq_u32_e32 vcc, 31, v9
	s_and_b64 exec, exec, vcc
	s_cbranch_execz .LBB18_22
; %bb.19:
	s_load_dwordx2 s[0:1], s[4:5], 0x38
	v_add_f32_e32 v0, v0, v1
	v_add_f32_e32 v1, v2, v3
	;; [unrolled: 1-line block ×4, first 2 shown]
	v_cmp_eq_f32_e64 s[4:5], s2, 0
	s_and_b64 vcc, exec, s[4:5]
	v_mul_f32_e32 v0, s16, v0
	v_mul_f32_e32 v1, s16, v1
	;; [unrolled: 1-line block ×4, first 2 shown]
	v_lshlrev_b32_e32 v4, 2, v4
	s_cbranch_vccz .LBB18_23
; %bb.20:
	v_ashrrev_i32_e32 v5, 31, v4
	v_lshlrev_b64 v[5:6], 2, v[4:5]
	s_waitcnt lgkmcnt(0)
	v_mov_b32_e32 v7, s1
	v_add_co_u32_e32 v5, vcc, s0, v5
	v_addc_co_u32_e32 v6, vcc, v7, v6, vcc
	global_store_dwordx4 v[5:6], v[0:3], off
	s_cbranch_execnz .LBB18_22
.LBB18_21:
	v_ashrrev_i32_e32 v5, 31, v4
	v_lshlrev_b64 v[4:5], 2, v[4:5]
	s_waitcnt lgkmcnt(0)
	v_mov_b32_e32 v6, s1
	v_add_co_u32_e32 v8, vcc, s0, v4
	v_addc_co_u32_e32 v9, vcc, v6, v5, vcc
	global_load_dwordx4 v[4:7], v[8:9], off
	s_waitcnt vmcnt(0)
	v_fmac_f32_e32 v0, s2, v4
	v_fmac_f32_e32 v1, s2, v5
	;; [unrolled: 1-line block ×4, first 2 shown]
	global_store_dwordx4 v[8:9], v[0:3], off
.LBB18_22:
	s_endpgm
.LBB18_23:
	s_branch .LBB18_21
	.section	.rodata,"a",@progbits
	.p2align	6, 0x0
	.amdhsa_kernel _ZN9rocsparseL19gebsrmvn_4xn_kernelILj128ELj5ELj32EfEEvi20rocsparse_direction_NS_24const_host_device_scalarIT2_EEPKiS6_PKS3_S8_S4_PS3_21rocsparse_index_base_b
		.amdhsa_group_segment_fixed_size 0
		.amdhsa_private_segment_fixed_size 0
		.amdhsa_kernarg_size 72
		.amdhsa_user_sgpr_count 6
		.amdhsa_user_sgpr_private_segment_buffer 1
		.amdhsa_user_sgpr_dispatch_ptr 0
		.amdhsa_user_sgpr_queue_ptr 0
		.amdhsa_user_sgpr_kernarg_segment_ptr 1
		.amdhsa_user_sgpr_dispatch_id 0
		.amdhsa_user_sgpr_flat_scratch_init 0
		.amdhsa_user_sgpr_private_segment_size 0
		.amdhsa_uses_dynamic_stack 0
		.amdhsa_system_sgpr_private_segment_wavefront_offset 0
		.amdhsa_system_sgpr_workgroup_id_x 1
		.amdhsa_system_sgpr_workgroup_id_y 0
		.amdhsa_system_sgpr_workgroup_id_z 0
		.amdhsa_system_sgpr_workgroup_info 0
		.amdhsa_system_vgpr_workitem_id 0
		.amdhsa_next_free_vgpr 44
		.amdhsa_next_free_sgpr 20
		.amdhsa_reserve_vcc 1
		.amdhsa_reserve_flat_scratch 0
		.amdhsa_float_round_mode_32 0
		.amdhsa_float_round_mode_16_64 0
		.amdhsa_float_denorm_mode_32 3
		.amdhsa_float_denorm_mode_16_64 3
		.amdhsa_dx10_clamp 1
		.amdhsa_ieee_mode 1
		.amdhsa_fp16_overflow 0
		.amdhsa_exception_fp_ieee_invalid_op 0
		.amdhsa_exception_fp_denorm_src 0
		.amdhsa_exception_fp_ieee_div_zero 0
		.amdhsa_exception_fp_ieee_overflow 0
		.amdhsa_exception_fp_ieee_underflow 0
		.amdhsa_exception_fp_ieee_inexact 0
		.amdhsa_exception_int_div_zero 0
	.end_amdhsa_kernel
	.section	.text._ZN9rocsparseL19gebsrmvn_4xn_kernelILj128ELj5ELj32EfEEvi20rocsparse_direction_NS_24const_host_device_scalarIT2_EEPKiS6_PKS3_S8_S4_PS3_21rocsparse_index_base_b,"axG",@progbits,_ZN9rocsparseL19gebsrmvn_4xn_kernelILj128ELj5ELj32EfEEvi20rocsparse_direction_NS_24const_host_device_scalarIT2_EEPKiS6_PKS3_S8_S4_PS3_21rocsparse_index_base_b,comdat
.Lfunc_end18:
	.size	_ZN9rocsparseL19gebsrmvn_4xn_kernelILj128ELj5ELj32EfEEvi20rocsparse_direction_NS_24const_host_device_scalarIT2_EEPKiS6_PKS3_S8_S4_PS3_21rocsparse_index_base_b, .Lfunc_end18-_ZN9rocsparseL19gebsrmvn_4xn_kernelILj128ELj5ELj32EfEEvi20rocsparse_direction_NS_24const_host_device_scalarIT2_EEPKiS6_PKS3_S8_S4_PS3_21rocsparse_index_base_b
                                        ; -- End function
	.set _ZN9rocsparseL19gebsrmvn_4xn_kernelILj128ELj5ELj32EfEEvi20rocsparse_direction_NS_24const_host_device_scalarIT2_EEPKiS6_PKS3_S8_S4_PS3_21rocsparse_index_base_b.num_vgpr, 44
	.set _ZN9rocsparseL19gebsrmvn_4xn_kernelILj128ELj5ELj32EfEEvi20rocsparse_direction_NS_24const_host_device_scalarIT2_EEPKiS6_PKS3_S8_S4_PS3_21rocsparse_index_base_b.num_agpr, 0
	.set _ZN9rocsparseL19gebsrmvn_4xn_kernelILj128ELj5ELj32EfEEvi20rocsparse_direction_NS_24const_host_device_scalarIT2_EEPKiS6_PKS3_S8_S4_PS3_21rocsparse_index_base_b.numbered_sgpr, 20
	.set _ZN9rocsparseL19gebsrmvn_4xn_kernelILj128ELj5ELj32EfEEvi20rocsparse_direction_NS_24const_host_device_scalarIT2_EEPKiS6_PKS3_S8_S4_PS3_21rocsparse_index_base_b.num_named_barrier, 0
	.set _ZN9rocsparseL19gebsrmvn_4xn_kernelILj128ELj5ELj32EfEEvi20rocsparse_direction_NS_24const_host_device_scalarIT2_EEPKiS6_PKS3_S8_S4_PS3_21rocsparse_index_base_b.private_seg_size, 0
	.set _ZN9rocsparseL19gebsrmvn_4xn_kernelILj128ELj5ELj32EfEEvi20rocsparse_direction_NS_24const_host_device_scalarIT2_EEPKiS6_PKS3_S8_S4_PS3_21rocsparse_index_base_b.uses_vcc, 1
	.set _ZN9rocsparseL19gebsrmvn_4xn_kernelILj128ELj5ELj32EfEEvi20rocsparse_direction_NS_24const_host_device_scalarIT2_EEPKiS6_PKS3_S8_S4_PS3_21rocsparse_index_base_b.uses_flat_scratch, 0
	.set _ZN9rocsparseL19gebsrmvn_4xn_kernelILj128ELj5ELj32EfEEvi20rocsparse_direction_NS_24const_host_device_scalarIT2_EEPKiS6_PKS3_S8_S4_PS3_21rocsparse_index_base_b.has_dyn_sized_stack, 0
	.set _ZN9rocsparseL19gebsrmvn_4xn_kernelILj128ELj5ELj32EfEEvi20rocsparse_direction_NS_24const_host_device_scalarIT2_EEPKiS6_PKS3_S8_S4_PS3_21rocsparse_index_base_b.has_recursion, 0
	.set _ZN9rocsparseL19gebsrmvn_4xn_kernelILj128ELj5ELj32EfEEvi20rocsparse_direction_NS_24const_host_device_scalarIT2_EEPKiS6_PKS3_S8_S4_PS3_21rocsparse_index_base_b.has_indirect_call, 0
	.section	.AMDGPU.csdata,"",@progbits
; Kernel info:
; codeLenInByte = 2088
; TotalNumSgprs: 24
; NumVgprs: 44
; ScratchSize: 0
; MemoryBound: 0
; FloatMode: 240
; IeeeMode: 1
; LDSByteSize: 0 bytes/workgroup (compile time only)
; SGPRBlocks: 2
; VGPRBlocks: 10
; NumSGPRsForWavesPerEU: 24
; NumVGPRsForWavesPerEU: 44
; Occupancy: 5
; WaveLimiterHint : 1
; COMPUTE_PGM_RSRC2:SCRATCH_EN: 0
; COMPUTE_PGM_RSRC2:USER_SGPR: 6
; COMPUTE_PGM_RSRC2:TRAP_HANDLER: 0
; COMPUTE_PGM_RSRC2:TGID_X_EN: 1
; COMPUTE_PGM_RSRC2:TGID_Y_EN: 0
; COMPUTE_PGM_RSRC2:TGID_Z_EN: 0
; COMPUTE_PGM_RSRC2:TIDIG_COMP_CNT: 0
	.section	.text._ZN9rocsparseL19gebsrmvn_4xn_kernelILj128ELj5ELj64EfEEvi20rocsparse_direction_NS_24const_host_device_scalarIT2_EEPKiS6_PKS3_S8_S4_PS3_21rocsparse_index_base_b,"axG",@progbits,_ZN9rocsparseL19gebsrmvn_4xn_kernelILj128ELj5ELj64EfEEvi20rocsparse_direction_NS_24const_host_device_scalarIT2_EEPKiS6_PKS3_S8_S4_PS3_21rocsparse_index_base_b,comdat
	.globl	_ZN9rocsparseL19gebsrmvn_4xn_kernelILj128ELj5ELj64EfEEvi20rocsparse_direction_NS_24const_host_device_scalarIT2_EEPKiS6_PKS3_S8_S4_PS3_21rocsparse_index_base_b ; -- Begin function _ZN9rocsparseL19gebsrmvn_4xn_kernelILj128ELj5ELj64EfEEvi20rocsparse_direction_NS_24const_host_device_scalarIT2_EEPKiS6_PKS3_S8_S4_PS3_21rocsparse_index_base_b
	.p2align	8
	.type	_ZN9rocsparseL19gebsrmvn_4xn_kernelILj128ELj5ELj64EfEEvi20rocsparse_direction_NS_24const_host_device_scalarIT2_EEPKiS6_PKS3_S8_S4_PS3_21rocsparse_index_base_b,@function
_ZN9rocsparseL19gebsrmvn_4xn_kernelILj128ELj5ELj64EfEEvi20rocsparse_direction_NS_24const_host_device_scalarIT2_EEPKiS6_PKS3_S8_S4_PS3_21rocsparse_index_base_b: ; @_ZN9rocsparseL19gebsrmvn_4xn_kernelILj128ELj5ELj64EfEEvi20rocsparse_direction_NS_24const_host_device_scalarIT2_EEPKiS6_PKS3_S8_S4_PS3_21rocsparse_index_base_b
; %bb.0:
	s_load_dwordx2 s[18:19], s[4:5], 0x40
	s_load_dwordx2 s[16:17], s[4:5], 0x8
	;; [unrolled: 1-line block ×3, first 2 shown]
	s_waitcnt lgkmcnt(0)
	s_bitcmp1_b32 s19, 0
	s_cselect_b64 s[8:9], -1, 0
	s_xor_b64 s[0:1], s[8:9], -1
	s_and_b64 vcc, exec, s[8:9]
	s_cbranch_vccnz .LBB19_2
; %bb.1:
	s_load_dword s16, s[16:17], 0x0
.LBB19_2:
	s_andn2_b64 vcc, exec, s[0:1]
	s_cbranch_vccnz .LBB19_4
; %bb.3:
	s_load_dword s2, s[2:3], 0x0
.LBB19_4:
	s_waitcnt lgkmcnt(0)
	v_cmp_eq_f32_e64 s[0:1], s16, 0
	v_cmp_eq_f32_e64 s[8:9], s2, 1.0
	s_and_b64 s[0:1], s[0:1], s[8:9]
	s_and_b64 vcc, exec, s[0:1]
	s_cbranch_vccnz .LBB19_22
; %bb.5:
	s_load_dwordx2 s[0:1], s[4:5], 0x0
	v_lshrrev_b32_e32 v1, 6, v0
	v_lshl_or_b32 v4, s6, 1, v1
	s_waitcnt lgkmcnt(0)
	v_cmp_gt_i32_e32 vcc, s0, v4
	s_and_saveexec_b64 s[6:7], vcc
	s_cbranch_execz .LBB19_22
; %bb.6:
	s_load_dwordx8 s[8:15], s[4:5], 0x10
	v_ashrrev_i32_e32 v5, 31, v4
	v_lshlrev_b64 v[1:2], 2, v[4:5]
	v_and_b32_e32 v9, 63, v0
	s_cmp_lg_u32 s1, 0
	s_waitcnt lgkmcnt(0)
	v_mov_b32_e32 v3, s9
	v_add_co_u32_e32 v1, vcc, s8, v1
	v_addc_co_u32_e32 v2, vcc, v3, v2, vcc
	global_load_dwordx2 v[1:2], v[1:2], off
	s_waitcnt vmcnt(0)
	v_subrev_u32_e32 v0, s18, v1
	v_subrev_u32_e32 v12, s18, v2
	v_add_u32_e32 v0, v0, v9
	v_cmp_lt_i32_e64 s[0:1], v0, v12
	s_cbranch_scc0 .LBB19_12
; %bb.7:
	v_mov_b32_e32 v13, 0
	v_mov_b32_e32 v10, 0
	;; [unrolled: 1-line block ×4, first 2 shown]
	s_and_saveexec_b64 s[6:7], s[0:1]
	s_cbranch_execz .LBB19_11
; %bb.8:
	v_mad_u64_u32 v[1:2], s[8:9], v0, 20, 16
	v_mov_b32_e32 v6, 0
	s_mov_b64 s[8:9], 0
	v_mov_b32_e32 v3, s11
	v_mov_b32_e32 v15, s13
	v_mov_b32_e32 v16, s15
	v_mov_b32_e32 v7, v0
	v_mov_b32_e32 v13, 0
	v_mov_b32_e32 v10, 0
	v_mov_b32_e32 v11, 0
	v_mov_b32_e32 v14, 0
.LBB19_9:                               ; =>This Inner Loop Header: Depth=1
	v_ashrrev_i32_e32 v8, 31, v7
	v_lshlrev_b64 v[17:18], 2, v[7:8]
	v_add_u32_e32 v5, -16, v1
	v_add_co_u32_e32 v17, vcc, s10, v17
	v_addc_co_u32_e32 v18, vcc, v3, v18, vcc
	global_load_dword v8, v[17:18], off
	v_lshlrev_b64 v[17:18], 2, v[5:6]
	v_mov_b32_e32 v2, v6
	v_lshlrev_b64 v[19:20], 2, v[1:2]
	v_add_co_u32_e32 v17, vcc, s12, v17
	v_add_u32_e32 v5, -12, v1
	v_addc_co_u32_e32 v18, vcc, v15, v18, vcc
	v_lshlrev_b64 v[21:22], 2, v[5:6]
	v_add_co_u32_e32 v29, vcc, s12, v19
	v_addc_co_u32_e32 v30, vcc, v15, v20, vcc
	v_mov_b32_e32 v34, v6
	v_add_co_u32_e32 v31, vcc, s12, v21
	global_load_dwordx4 v[17:20], v[17:18], off
	v_addc_co_u32_e32 v32, vcc, v15, v22, vcc
	global_load_dwordx4 v[21:24], v[29:30], off
	global_load_dwordx4 v[25:28], v[31:32], off
	v_add_u32_e32 v7, 64, v7
	s_waitcnt vmcnt(3)
	v_subrev_u32_e32 v2, s18, v8
	v_lshl_add_u32 v33, v2, 2, v2
	v_lshlrev_b64 v[29:30], 2, v[33:34]
	v_add_u32_e32 v5, 1, v33
	v_lshlrev_b64 v[31:32], 2, v[5:6]
	v_add_co_u32_e32 v29, vcc, s14, v29
	v_add_u32_e32 v5, -8, v1
	v_addc_co_u32_e32 v30, vcc, v16, v30, vcc
	v_lshlrev_b64 v[34:35], 2, v[5:6]
	global_load_dword v2, v[29:30], off
	v_add_co_u32_e32 v29, vcc, s14, v31
	v_add_u32_e32 v5, 2, v33
	v_addc_co_u32_e32 v30, vcc, v16, v32, vcc
	v_lshlrev_b64 v[36:37], 2, v[5:6]
	global_load_dword v8, v[29:30], off
	v_add_co_u32_e32 v29, vcc, s12, v34
	v_add_u32_e32 v5, -4, v1
	v_addc_co_u32_e32 v30, vcc, v15, v35, vcc
	v_lshlrev_b64 v[34:35], 2, v[5:6]
	v_add_co_u32_e32 v36, vcc, s14, v36
	v_add_u32_e32 v5, 3, v33
	v_addc_co_u32_e32 v37, vcc, v16, v37, vcc
	v_lshlrev_b64 v[38:39], 2, v[5:6]
	v_add_u32_e32 v5, 4, v33
	v_add_co_u32_e32 v33, vcc, s12, v34
	v_addc_co_u32_e32 v34, vcc, v15, v35, vcc
	global_load_dword v42, v[36:37], off
	v_lshlrev_b64 v[40:41], 2, v[5:6]
	v_add_co_u32_e32 v37, vcc, s14, v38
	v_addc_co_u32_e32 v38, vcc, v16, v39, vcc
	global_load_dwordx4 v[29:32], v[29:30], off
	v_add_u32_e32 v1, 0x500, v1
	global_load_dword v5, v[37:38], off
	v_add_co_u32_e32 v37, vcc, s14, v40
	global_load_dwordx4 v[33:36], v[33:34], off
	v_addc_co_u32_e32 v38, vcc, v16, v41, vcc
	global_load_dword v37, v[37:38], off
	v_cmp_ge_i32_e32 vcc, v7, v12
	s_or_b64 s[8:9], vcc, s[8:9]
	s_waitcnt vmcnt(6)
	v_fmac_f32_e32 v13, v17, v2
	v_fmac_f32_e32 v14, v18, v2
	v_fmac_f32_e32 v11, v19, v2
	v_fmac_f32_e32 v10, v20, v2
	s_waitcnt vmcnt(5)
	v_fmac_f32_e32 v13, v25, v8
	v_fmac_f32_e32 v14, v26, v8
	v_fmac_f32_e32 v11, v27, v8
	v_fmac_f32_e32 v10, v28, v8
	;; [unrolled: 5-line block ×5, first 2 shown]
	s_andn2_b64 exec, exec, s[8:9]
	s_cbranch_execnz .LBB19_9
; %bb.10:
	s_or_b64 exec, exec, s[8:9]
.LBB19_11:
	s_or_b64 exec, exec, s[6:7]
	s_cbranch_execz .LBB19_13
	s_branch .LBB19_18
.LBB19_12:
                                        ; implicit-def: $vgpr13
                                        ; implicit-def: $vgpr10
                                        ; implicit-def: $vgpr11
                                        ; implicit-def: $vgpr14
.LBB19_13:
	v_mov_b32_e32 v13, 0
	v_mov_b32_e32 v10, 0
	;; [unrolled: 1-line block ×4, first 2 shown]
	s_and_saveexec_b64 s[6:7], s[0:1]
	s_cbranch_execz .LBB19_17
; %bb.14:
	v_mad_u64_u32 v[2:3], s[0:1], v0, 20, 19
	v_mov_b32_e32 v6, 0
	s_mov_b64 s[0:1], 0
	v_mov_b32_e32 v7, s11
	v_mov_b32_e32 v8, s13
	;; [unrolled: 1-line block ×7, first 2 shown]
.LBB19_15:                              ; =>This Inner Loop Header: Depth=1
	v_ashrrev_i32_e32 v1, 31, v0
	v_lshlrev_b64 v[24:25], 2, v[0:1]
	v_subrev_u32_e32 v5, 19, v2
	v_lshlrev_b64 v[26:27], 2, v[5:6]
	v_add_co_u32_e32 v24, vcc, s10, v24
	v_add_u32_e32 v16, -14, v2
	v_mov_b32_e32 v17, v6
	v_addc_co_u32_e32 v25, vcc, v7, v25, vcc
	v_lshlrev_b64 v[16:17], 2, v[16:17]
	v_add_co_u32_e32 v26, vcc, s12, v26
	v_add_u32_e32 v18, -9, v2
	v_mov_b32_e32 v19, v6
	v_addc_co_u32_e32 v27, vcc, v8, v27, vcc
	;; [unrolled: 5-line block ×3, first 2 shown]
	v_lshlrev_b64 v[22:23], 2, v[22:23]
	v_add_co_u32_e32 v32, vcc, s12, v18
	v_mov_b32_e32 v3, v6
	v_addc_co_u32_e32 v33, vcc, v8, v19, vcc
	v_lshlrev_b64 v[28:29], 2, v[2:3]
	v_add_co_u32_e32 v22, vcc, s12, v22
	v_addc_co_u32_e32 v23, vcc, v8, v23, vcc
	v_add_co_u32_e32 v28, vcc, s12, v28
	v_addc_co_u32_e32 v29, vcc, v8, v29, vcc
	global_load_dword v1, v[24:25], off
	global_load_dword v3, v[30:31], off
	;; [unrolled: 1-line block ×5, first 2 shown]
	global_load_dwordx4 v[16:19], v[26:27], off
	v_mov_b32_e32 v21, v6
	v_add_u32_e32 v0, 64, v0
	s_waitcnt vmcnt(5)
	v_subrev_u32_e32 v1, s18, v1
	v_lshl_add_u32 v20, v1, 2, v1
	v_lshlrev_b64 v[21:22], 2, v[20:21]
	v_add_u32_e32 v5, 1, v20
	v_lshlrev_b64 v[23:24], 2, v[5:6]
	v_add_co_u32_e32 v21, vcc, s14, v21
	v_add_u32_e32 v5, -13, v2
	v_addc_co_u32_e32 v22, vcc, v15, v22, vcc
	v_lshlrev_b64 v[25:26], 2, v[5:6]
	v_add_co_u32_e32 v23, vcc, s14, v23
	v_add_u32_e32 v5, -8, v2
	v_addc_co_u32_e32 v24, vcc, v15, v24, vcc
	v_lshlrev_b64 v[27:28], 2, v[5:6]
	global_load_dword v1, v[21:22], off
	global_load_dword v29, v[23:24], off
	v_add_co_u32_e32 v21, vcc, s12, v25
	v_add_u32_e32 v5, -3, v2
	v_addc_co_u32_e32 v22, vcc, v8, v26, vcc
	v_lshlrev_b64 v[25:26], 2, v[5:6]
	v_add_co_u32_e32 v23, vcc, s12, v27
	v_add_u32_e32 v5, 2, v20
	v_addc_co_u32_e32 v24, vcc, v8, v28, vcc
	v_lshlrev_b64 v[27:28], 2, v[5:6]
	global_load_dword v30, v[21:22], off
	global_load_dword v31, v[23:24], off
	v_add_co_u32_e32 v21, vcc, s12, v25
	v_add_u32_e32 v5, -12, v2
	v_addc_co_u32_e32 v22, vcc, v8, v26, vcc
	v_lshlrev_b64 v[25:26], 2, v[5:6]
	v_add_co_u32_e32 v23, vcc, s14, v27
	v_add_u32_e32 v5, -7, v2
	v_addc_co_u32_e32 v24, vcc, v15, v28, vcc
	v_lshlrev_b64 v[27:28], 2, v[5:6]
	global_load_dword v32, v[21:22], off
	v_add_co_u32_e32 v21, vcc, s12, v25
	v_add_u32_e32 v5, -2, v2
	v_addc_co_u32_e32 v22, vcc, v8, v26, vcc
	v_lshlrev_b64 v[25:26], 2, v[5:6]
	global_load_dword v33, v[23:24], off
	v_add_co_u32_e32 v23, vcc, s12, v27
	v_add_u32_e32 v5, 3, v20
	v_addc_co_u32_e32 v24, vcc, v8, v28, vcc
	v_lshlrev_b64 v[27:28], 2, v[5:6]
	global_load_dword v37, v[21:22], off
	v_add_co_u32_e32 v21, vcc, s12, v25
	v_add_u32_e32 v5, -11, v2
	v_addc_co_u32_e32 v22, vcc, v8, v26, vcc
	v_lshlrev_b64 v[25:26], 2, v[5:6]
	global_load_dword v38, v[23:24], off
	global_load_dword v39, v[21:22], off
	v_add_co_u32_e32 v23, vcc, s14, v27
	v_add_u32_e32 v5, -6, v2
	v_addc_co_u32_e32 v24, vcc, v15, v28, vcc
	v_lshlrev_b64 v[27:28], 2, v[5:6]
	v_add_co_u32_e32 v21, vcc, s12, v25
	v_add_u32_e32 v5, -1, v2
	v_addc_co_u32_e32 v22, vcc, v8, v26, vcc
	v_lshlrev_b64 v[25:26], 2, v[5:6]
	v_add_co_u32_e32 v27, vcc, s12, v27
	v_add_u32_e32 v5, -15, v2
	v_addc_co_u32_e32 v28, vcc, v8, v28, vcc
	global_load_dword v40, v[23:24], off
	v_lshlrev_b64 v[23:24], 2, v[5:6]
	v_add_u32_e32 v5, 4, v20
	v_add_co_u32_e32 v20, vcc, s12, v25
	global_load_dword v41, v[21:22], off
	v_addc_co_u32_e32 v21, vcc, v8, v26, vcc
	v_lshlrev_b64 v[25:26], 2, v[5:6]
	v_add_co_u32_e32 v22, vcc, s12, v23
	v_add_u32_e32 v5, -10, v2
	v_addc_co_u32_e32 v23, vcc, v8, v24, vcc
	global_load_dword v42, v[27:28], off
	global_load_dword v43, v[20:21], off
	v_lshlrev_b64 v[27:28], 2, v[5:6]
	v_add_co_u32_e32 v20, vcc, s14, v25
	v_add_u32_e32 v5, -5, v2
	v_addc_co_u32_e32 v21, vcc, v15, v26, vcc
	v_lshlrev_b64 v[24:25], 2, v[5:6]
	global_load_dword v5, v[22:23], off
	v_add_co_u32_e32 v22, vcc, s12, v27
	v_addc_co_u32_e32 v23, vcc, v8, v28, vcc
	global_load_dword v26, v[20:21], off
	v_add_co_u32_e32 v20, vcc, s12, v24
	v_addc_co_u32_e32 v21, vcc, v8, v25, vcc
	global_load_dword v24, v[22:23], off
	global_load_dword v25, v[20:21], off
	s_waitcnt vmcnt(16)
	v_fmac_f32_e32 v14, v3, v1
	v_fmac_f32_e32 v11, v34, v1
	;; [unrolled: 1-line block ×4, first 2 shown]
	s_waitcnt vmcnt(15)
	v_fmac_f32_e32 v13, v17, v29
	s_waitcnt vmcnt(14)
	v_fmac_f32_e32 v14, v30, v29
	;; [unrolled: 2-line block ×4, first 2 shown]
	v_cmp_ge_i32_e32 vcc, v0, v12
	s_or_b64 s[0:1], vcc, s[0:1]
	v_add_u32_e32 v2, 0x500, v2
	s_waitcnt vmcnt(11)
	v_fmac_f32_e32 v13, v18, v33
	s_waitcnt vmcnt(10)
	v_fmac_f32_e32 v14, v37, v33
	s_waitcnt vmcnt(9)
	v_fmac_f32_e32 v11, v38, v33
	s_waitcnt vmcnt(8)
	v_fmac_f32_e32 v10, v39, v33
	s_waitcnt vmcnt(7)
	v_fmac_f32_e32 v13, v19, v40
	s_waitcnt vmcnt(6)
	v_fmac_f32_e32 v14, v41, v40
	s_waitcnt vmcnt(5)
	v_fmac_f32_e32 v11, v42, v40
	s_waitcnt vmcnt(4)
	v_fmac_f32_e32 v10, v43, v40
	s_waitcnt vmcnt(2)
	v_fmac_f32_e32 v13, v5, v26
	v_fmac_f32_e32 v10, v36, v26
	s_waitcnt vmcnt(1)
	v_fmac_f32_e32 v14, v24, v26
	s_waitcnt vmcnt(0)
	v_fmac_f32_e32 v11, v25, v26
	s_andn2_b64 exec, exec, s[0:1]
	s_cbranch_execnz .LBB19_15
; %bb.16:
	s_or_b64 exec, exec, s[0:1]
.LBB19_17:
	s_or_b64 exec, exec, s[6:7]
.LBB19_18:
	v_mov_b32_dpp v0, v13 row_shr:1 row_mask:0xf bank_mask:0xf
	v_mov_b32_dpp v2, v14 row_shr:1 row_mask:0xf bank_mask:0xf
	v_mov_b32_dpp v5, v11 row_shr:1 row_mask:0xf bank_mask:0xf
	v_mov_b32_dpp v7, v10 row_shr:1 row_mask:0xf bank_mask:0xf
	v_add_f32_e32 v0, v13, v0
	v_add_f32_e32 v2, v14, v2
	v_add_f32_e32 v5, v11, v5
	v_add_f32_e32 v7, v10, v7
	v_mov_b32_dpp v1, v0 row_shr:2 row_mask:0xf bank_mask:0xf
	v_mov_b32_dpp v3, v2 row_shr:2 row_mask:0xf bank_mask:0xf
	v_mov_b32_dpp v6, v5 row_shr:2 row_mask:0xf bank_mask:0xf
	v_mov_b32_dpp v8, v7 row_shr:2 row_mask:0xf bank_mask:0xf
	v_add_f32_e32 v0, v0, v1
	v_add_f32_e32 v2, v2, v3
	v_add_f32_e32 v5, v5, v6
	v_add_f32_e32 v7, v7, v8
	;; [unrolled: 8-line block ×4, first 2 shown]
	v_mov_b32_dpp v1, v0 row_bcast:15 row_mask:0xa bank_mask:0xf
	v_mov_b32_dpp v3, v2 row_bcast:15 row_mask:0xa bank_mask:0xf
	;; [unrolled: 1-line block ×4, first 2 shown]
	v_add_f32_e32 v0, v0, v1
	v_add_f32_e32 v2, v2, v3
	;; [unrolled: 1-line block ×4, first 2 shown]
	v_mov_b32_dpp v1, v0 row_bcast:31 row_mask:0xc bank_mask:0xf
	v_mov_b32_dpp v3, v2 row_bcast:31 row_mask:0xc bank_mask:0xf
	;; [unrolled: 1-line block ×4, first 2 shown]
	v_cmp_eq_u32_e32 vcc, 63, v9
	s_and_b64 exec, exec, vcc
	s_cbranch_execz .LBB19_22
; %bb.19:
	s_load_dwordx2 s[0:1], s[4:5], 0x38
	v_add_f32_e32 v0, v0, v1
	v_add_f32_e32 v1, v2, v3
	;; [unrolled: 1-line block ×4, first 2 shown]
	v_cmp_eq_f32_e64 s[4:5], s2, 0
	s_and_b64 vcc, exec, s[4:5]
	v_mul_f32_e32 v0, s16, v0
	v_mul_f32_e32 v1, s16, v1
	;; [unrolled: 1-line block ×4, first 2 shown]
	v_lshlrev_b32_e32 v4, 2, v4
	s_cbranch_vccz .LBB19_23
; %bb.20:
	v_ashrrev_i32_e32 v5, 31, v4
	v_lshlrev_b64 v[5:6], 2, v[4:5]
	s_waitcnt lgkmcnt(0)
	v_mov_b32_e32 v7, s1
	v_add_co_u32_e32 v5, vcc, s0, v5
	v_addc_co_u32_e32 v6, vcc, v7, v6, vcc
	global_store_dwordx4 v[5:6], v[0:3], off
	s_cbranch_execnz .LBB19_22
.LBB19_21:
	v_ashrrev_i32_e32 v5, 31, v4
	v_lshlrev_b64 v[4:5], 2, v[4:5]
	s_waitcnt lgkmcnt(0)
	v_mov_b32_e32 v6, s1
	v_add_co_u32_e32 v8, vcc, s0, v4
	v_addc_co_u32_e32 v9, vcc, v6, v5, vcc
	global_load_dwordx4 v[4:7], v[8:9], off
	s_waitcnt vmcnt(0)
	v_fmac_f32_e32 v0, s2, v4
	v_fmac_f32_e32 v1, s2, v5
	;; [unrolled: 1-line block ×4, first 2 shown]
	global_store_dwordx4 v[8:9], v[0:3], off
.LBB19_22:
	s_endpgm
.LBB19_23:
	s_branch .LBB19_21
	.section	.rodata,"a",@progbits
	.p2align	6, 0x0
	.amdhsa_kernel _ZN9rocsparseL19gebsrmvn_4xn_kernelILj128ELj5ELj64EfEEvi20rocsparse_direction_NS_24const_host_device_scalarIT2_EEPKiS6_PKS3_S8_S4_PS3_21rocsparse_index_base_b
		.amdhsa_group_segment_fixed_size 0
		.amdhsa_private_segment_fixed_size 0
		.amdhsa_kernarg_size 72
		.amdhsa_user_sgpr_count 6
		.amdhsa_user_sgpr_private_segment_buffer 1
		.amdhsa_user_sgpr_dispatch_ptr 0
		.amdhsa_user_sgpr_queue_ptr 0
		.amdhsa_user_sgpr_kernarg_segment_ptr 1
		.amdhsa_user_sgpr_dispatch_id 0
		.amdhsa_user_sgpr_flat_scratch_init 0
		.amdhsa_user_sgpr_private_segment_size 0
		.amdhsa_uses_dynamic_stack 0
		.amdhsa_system_sgpr_private_segment_wavefront_offset 0
		.amdhsa_system_sgpr_workgroup_id_x 1
		.amdhsa_system_sgpr_workgroup_id_y 0
		.amdhsa_system_sgpr_workgroup_id_z 0
		.amdhsa_system_sgpr_workgroup_info 0
		.amdhsa_system_vgpr_workitem_id 0
		.amdhsa_next_free_vgpr 44
		.amdhsa_next_free_sgpr 20
		.amdhsa_reserve_vcc 1
		.amdhsa_reserve_flat_scratch 0
		.amdhsa_float_round_mode_32 0
		.amdhsa_float_round_mode_16_64 0
		.amdhsa_float_denorm_mode_32 3
		.amdhsa_float_denorm_mode_16_64 3
		.amdhsa_dx10_clamp 1
		.amdhsa_ieee_mode 1
		.amdhsa_fp16_overflow 0
		.amdhsa_exception_fp_ieee_invalid_op 0
		.amdhsa_exception_fp_denorm_src 0
		.amdhsa_exception_fp_ieee_div_zero 0
		.amdhsa_exception_fp_ieee_overflow 0
		.amdhsa_exception_fp_ieee_underflow 0
		.amdhsa_exception_fp_ieee_inexact 0
		.amdhsa_exception_int_div_zero 0
	.end_amdhsa_kernel
	.section	.text._ZN9rocsparseL19gebsrmvn_4xn_kernelILj128ELj5ELj64EfEEvi20rocsparse_direction_NS_24const_host_device_scalarIT2_EEPKiS6_PKS3_S8_S4_PS3_21rocsparse_index_base_b,"axG",@progbits,_ZN9rocsparseL19gebsrmvn_4xn_kernelILj128ELj5ELj64EfEEvi20rocsparse_direction_NS_24const_host_device_scalarIT2_EEPKiS6_PKS3_S8_S4_PS3_21rocsparse_index_base_b,comdat
.Lfunc_end19:
	.size	_ZN9rocsparseL19gebsrmvn_4xn_kernelILj128ELj5ELj64EfEEvi20rocsparse_direction_NS_24const_host_device_scalarIT2_EEPKiS6_PKS3_S8_S4_PS3_21rocsparse_index_base_b, .Lfunc_end19-_ZN9rocsparseL19gebsrmvn_4xn_kernelILj128ELj5ELj64EfEEvi20rocsparse_direction_NS_24const_host_device_scalarIT2_EEPKiS6_PKS3_S8_S4_PS3_21rocsparse_index_base_b
                                        ; -- End function
	.set _ZN9rocsparseL19gebsrmvn_4xn_kernelILj128ELj5ELj64EfEEvi20rocsparse_direction_NS_24const_host_device_scalarIT2_EEPKiS6_PKS3_S8_S4_PS3_21rocsparse_index_base_b.num_vgpr, 44
	.set _ZN9rocsparseL19gebsrmvn_4xn_kernelILj128ELj5ELj64EfEEvi20rocsparse_direction_NS_24const_host_device_scalarIT2_EEPKiS6_PKS3_S8_S4_PS3_21rocsparse_index_base_b.num_agpr, 0
	.set _ZN9rocsparseL19gebsrmvn_4xn_kernelILj128ELj5ELj64EfEEvi20rocsparse_direction_NS_24const_host_device_scalarIT2_EEPKiS6_PKS3_S8_S4_PS3_21rocsparse_index_base_b.numbered_sgpr, 20
	.set _ZN9rocsparseL19gebsrmvn_4xn_kernelILj128ELj5ELj64EfEEvi20rocsparse_direction_NS_24const_host_device_scalarIT2_EEPKiS6_PKS3_S8_S4_PS3_21rocsparse_index_base_b.num_named_barrier, 0
	.set _ZN9rocsparseL19gebsrmvn_4xn_kernelILj128ELj5ELj64EfEEvi20rocsparse_direction_NS_24const_host_device_scalarIT2_EEPKiS6_PKS3_S8_S4_PS3_21rocsparse_index_base_b.private_seg_size, 0
	.set _ZN9rocsparseL19gebsrmvn_4xn_kernelILj128ELj5ELj64EfEEvi20rocsparse_direction_NS_24const_host_device_scalarIT2_EEPKiS6_PKS3_S8_S4_PS3_21rocsparse_index_base_b.uses_vcc, 1
	.set _ZN9rocsparseL19gebsrmvn_4xn_kernelILj128ELj5ELj64EfEEvi20rocsparse_direction_NS_24const_host_device_scalarIT2_EEPKiS6_PKS3_S8_S4_PS3_21rocsparse_index_base_b.uses_flat_scratch, 0
	.set _ZN9rocsparseL19gebsrmvn_4xn_kernelILj128ELj5ELj64EfEEvi20rocsparse_direction_NS_24const_host_device_scalarIT2_EEPKiS6_PKS3_S8_S4_PS3_21rocsparse_index_base_b.has_dyn_sized_stack, 0
	.set _ZN9rocsparseL19gebsrmvn_4xn_kernelILj128ELj5ELj64EfEEvi20rocsparse_direction_NS_24const_host_device_scalarIT2_EEPKiS6_PKS3_S8_S4_PS3_21rocsparse_index_base_b.has_recursion, 0
	.set _ZN9rocsparseL19gebsrmvn_4xn_kernelILj128ELj5ELj64EfEEvi20rocsparse_direction_NS_24const_host_device_scalarIT2_EEPKiS6_PKS3_S8_S4_PS3_21rocsparse_index_base_b.has_indirect_call, 0
	.section	.AMDGPU.csdata,"",@progbits
; Kernel info:
; codeLenInByte = 2136
; TotalNumSgprs: 24
; NumVgprs: 44
; ScratchSize: 0
; MemoryBound: 0
; FloatMode: 240
; IeeeMode: 1
; LDSByteSize: 0 bytes/workgroup (compile time only)
; SGPRBlocks: 2
; VGPRBlocks: 10
; NumSGPRsForWavesPerEU: 24
; NumVGPRsForWavesPerEU: 44
; Occupancy: 5
; WaveLimiterHint : 1
; COMPUTE_PGM_RSRC2:SCRATCH_EN: 0
; COMPUTE_PGM_RSRC2:USER_SGPR: 6
; COMPUTE_PGM_RSRC2:TRAP_HANDLER: 0
; COMPUTE_PGM_RSRC2:TGID_X_EN: 1
; COMPUTE_PGM_RSRC2:TGID_Y_EN: 0
; COMPUTE_PGM_RSRC2:TGID_Z_EN: 0
; COMPUTE_PGM_RSRC2:TIDIG_COMP_CNT: 0
	.section	.text._ZN9rocsparseL19gebsrmvn_4xn_kernelILj128ELj6ELj4EfEEvi20rocsparse_direction_NS_24const_host_device_scalarIT2_EEPKiS6_PKS3_S8_S4_PS3_21rocsparse_index_base_b,"axG",@progbits,_ZN9rocsparseL19gebsrmvn_4xn_kernelILj128ELj6ELj4EfEEvi20rocsparse_direction_NS_24const_host_device_scalarIT2_EEPKiS6_PKS3_S8_S4_PS3_21rocsparse_index_base_b,comdat
	.globl	_ZN9rocsparseL19gebsrmvn_4xn_kernelILj128ELj6ELj4EfEEvi20rocsparse_direction_NS_24const_host_device_scalarIT2_EEPKiS6_PKS3_S8_S4_PS3_21rocsparse_index_base_b ; -- Begin function _ZN9rocsparseL19gebsrmvn_4xn_kernelILj128ELj6ELj4EfEEvi20rocsparse_direction_NS_24const_host_device_scalarIT2_EEPKiS6_PKS3_S8_S4_PS3_21rocsparse_index_base_b
	.p2align	8
	.type	_ZN9rocsparseL19gebsrmvn_4xn_kernelILj128ELj6ELj4EfEEvi20rocsparse_direction_NS_24const_host_device_scalarIT2_EEPKiS6_PKS3_S8_S4_PS3_21rocsparse_index_base_b,@function
_ZN9rocsparseL19gebsrmvn_4xn_kernelILj128ELj6ELj4EfEEvi20rocsparse_direction_NS_24const_host_device_scalarIT2_EEPKiS6_PKS3_S8_S4_PS3_21rocsparse_index_base_b: ; @_ZN9rocsparseL19gebsrmvn_4xn_kernelILj128ELj6ELj4EfEEvi20rocsparse_direction_NS_24const_host_device_scalarIT2_EEPKiS6_PKS3_S8_S4_PS3_21rocsparse_index_base_b
; %bb.0:
	s_load_dwordx2 s[18:19], s[4:5], 0x40
	s_load_dwordx2 s[16:17], s[4:5], 0x8
	;; [unrolled: 1-line block ×3, first 2 shown]
	s_waitcnt lgkmcnt(0)
	s_bitcmp1_b32 s19, 0
	s_cselect_b64 s[8:9], -1, 0
	s_xor_b64 s[0:1], s[8:9], -1
	s_and_b64 vcc, exec, s[8:9]
	s_cbranch_vccnz .LBB20_2
; %bb.1:
	s_load_dword s16, s[16:17], 0x0
.LBB20_2:
	s_andn2_b64 vcc, exec, s[0:1]
	s_cbranch_vccnz .LBB20_4
; %bb.3:
	s_load_dword s2, s[2:3], 0x0
.LBB20_4:
	s_waitcnt lgkmcnt(0)
	v_cmp_eq_f32_e64 s[0:1], s16, 0
	v_cmp_eq_f32_e64 s[8:9], s2, 1.0
	s_and_b64 s[0:1], s[0:1], s[8:9]
	s_and_b64 vcc, exec, s[0:1]
	s_cbranch_vccnz .LBB20_22
; %bb.5:
	s_load_dwordx2 s[0:1], s[4:5], 0x0
	v_lshrrev_b32_e32 v1, 2, v0
	v_lshl_or_b32 v4, s6, 5, v1
	s_waitcnt lgkmcnt(0)
	v_cmp_gt_i32_e32 vcc, s0, v4
	s_and_saveexec_b64 s[6:7], vcc
	s_cbranch_execz .LBB20_22
; %bb.6:
	s_load_dwordx8 s[8:15], s[4:5], 0x10
	v_ashrrev_i32_e32 v5, 31, v4
	v_lshlrev_b64 v[1:2], 2, v[4:5]
	v_and_b32_e32 v9, 3, v0
	s_cmp_lg_u32 s1, 0
	s_waitcnt lgkmcnt(0)
	v_mov_b32_e32 v3, s9
	v_add_co_u32_e32 v1, vcc, s8, v1
	v_addc_co_u32_e32 v2, vcc, v3, v2, vcc
	global_load_dwordx2 v[1:2], v[1:2], off
	s_waitcnt vmcnt(0)
	v_subrev_u32_e32 v0, s18, v1
	v_subrev_u32_e32 v10, s18, v2
	v_add_u32_e32 v0, v0, v9
	v_cmp_lt_i32_e64 s[0:1], v0, v10
	s_cbranch_scc0 .LBB20_12
; %bb.7:
	v_mov_b32_e32 v12, 0
	v_mov_b32_e32 v11, 0
	;; [unrolled: 1-line block ×4, first 2 shown]
	s_and_saveexec_b64 s[6:7], s[0:1]
	s_cbranch_execz .LBB20_11
; %bb.8:
	v_mad_u64_u32 v[1:2], s[8:9], v0, 24, 20
	v_mov_b32_e32 v6, 0
	s_mov_b64 s[8:9], 0
	v_mov_b32_e32 v3, s11
	v_mov_b32_e32 v15, s13
	;; [unrolled: 1-line block ×8, first 2 shown]
.LBB20_9:                               ; =>This Inner Loop Header: Depth=1
	v_ashrrev_i32_e32 v8, 31, v7
	v_lshlrev_b64 v[17:18], 2, v[7:8]
	v_subrev_u32_e32 v5, 20, v1
	v_add_co_u32_e32 v17, vcc, s10, v17
	v_addc_co_u32_e32 v18, vcc, v3, v18, vcc
	global_load_dword v8, v[17:18], off
	v_mov_b32_e32 v2, v6
	v_lshlrev_b64 v[17:18], 2, v[5:6]
	v_lshlrev_b64 v[19:20], 2, v[1:2]
	v_add_co_u32_e32 v27, vcc, s12, v17
	v_add_u32_e32 v5, -12, v1
	v_addc_co_u32_e32 v28, vcc, v15, v18, vcc
	v_lshlrev_b64 v[25:26], 2, v[5:6]
	v_add_co_u32_e32 v41, vcc, s12, v19
	v_mov_b32_e32 v30, v6
	v_addc_co_u32_e32 v42, vcc, v15, v20, vcc
	v_add_co_u32_e32 v25, vcc, s12, v25
	v_addc_co_u32_e32 v26, vcc, v15, v26, vcc
	global_load_dwordx4 v[17:20], v[27:28], off offset:16
	global_load_dwordx4 v[21:24], v[27:28], off
	v_add_u32_e32 v7, 4, v7
	global_load_dwordx4 v[25:28], v[25:26], off
	s_waitcnt vmcnt(3)
	v_subrev_u32_e32 v2, s18, v8
	v_mul_lo_u32 v29, v2, 6
	v_lshlrev_b64 v[30:31], 2, v[29:30]
	v_add_u32_e32 v5, 2, v29
	v_lshlrev_b64 v[32:33], 2, v[5:6]
	v_add_co_u32_e32 v30, vcc, s14, v30
	v_add_u32_e32 v5, -8, v1
	v_addc_co_u32_e32 v31, vcc, v16, v31, vcc
	v_lshlrev_b64 v[34:35], 2, v[5:6]
	global_load_dwordx2 v[43:44], v[30:31], off
	v_add_co_u32_e32 v30, vcc, s14, v32
	v_add_u32_e32 v5, -4, v1
	v_addc_co_u32_e32 v31, vcc, v16, v33, vcc
	v_lshlrev_b64 v[32:33], 2, v[5:6]
	v_add_co_u32_e32 v37, vcc, s12, v34
	v_add_u32_e32 v5, 4, v29
	v_addc_co_u32_e32 v38, vcc, v15, v35, vcc
	v_lshlrev_b64 v[39:40], 2, v[5:6]
	v_add_co_u32_e32 v47, vcc, s12, v32
	global_load_dwordx2 v[45:46], v[30:31], off
	v_addc_co_u32_e32 v48, vcc, v15, v33, vcc
	global_load_dwordx4 v[29:32], v[37:38], off
	global_load_dwordx4 v[33:36], v[47:48], off
	v_add_co_u32_e32 v47, vcc, s14, v39
	v_addc_co_u32_e32 v48, vcc, v16, v40, vcc
	global_load_dwordx2 v[49:50], v[47:48], off
	global_load_dwordx4 v[37:40], v[41:42], off
	v_cmp_ge_i32_e32 vcc, v7, v10
	s_or_b64 s[8:9], vcc, s[8:9]
	v_add_u32_e32 v1, 0x60, v1
	s_waitcnt vmcnt(5)
	v_fmac_f32_e32 v12, v21, v43
	v_fmac_f32_e32 v14, v22, v43
	;; [unrolled: 1-line block ×8, first 2 shown]
	s_waitcnt vmcnt(4)
	v_fmac_f32_e32 v12, v25, v45
	v_fmac_f32_e32 v14, v26, v45
	v_fmac_f32_e32 v13, v27, v45
	v_fmac_f32_e32 v11, v28, v45
	s_waitcnt vmcnt(3)
	v_fmac_f32_e32 v12, v29, v46
	v_fmac_f32_e32 v14, v30, v46
	v_fmac_f32_e32 v13, v31, v46
	v_fmac_f32_e32 v11, v32, v46
	;; [unrolled: 5-line block ×4, first 2 shown]
	s_andn2_b64 exec, exec, s[8:9]
	s_cbranch_execnz .LBB20_9
; %bb.10:
	s_or_b64 exec, exec, s[8:9]
.LBB20_11:
	s_or_b64 exec, exec, s[6:7]
	s_cbranch_execz .LBB20_13
	s_branch .LBB20_18
.LBB20_12:
                                        ; implicit-def: $vgpr12
                                        ; implicit-def: $vgpr11
                                        ; implicit-def: $vgpr13
                                        ; implicit-def: $vgpr14
.LBB20_13:
	v_mov_b32_e32 v12, 0
	v_mov_b32_e32 v11, 0
	;; [unrolled: 1-line block ×4, first 2 shown]
	s_and_saveexec_b64 s[6:7], s[0:1]
	s_cbranch_execz .LBB20_17
; %bb.14:
	v_mad_u64_u32 v[2:3], s[0:1], v0, 24, 23
	v_mov_b32_e32 v6, 0
	s_mov_b64 s[0:1], 0
	v_mov_b32_e32 v7, s11
	v_mov_b32_e32 v8, s13
	;; [unrolled: 1-line block ×7, first 2 shown]
.LBB20_15:                              ; =>This Inner Loop Header: Depth=1
	v_ashrrev_i32_e32 v1, 31, v0
	v_lshlrev_b64 v[20:21], 2, v[0:1]
	v_subrev_u32_e32 v5, 23, v2
	v_add_co_u32_e32 v20, vcc, s10, v20
	v_addc_co_u32_e32 v21, vcc, v7, v21, vcc
	global_load_dword v1, v[20:21], off
	v_lshlrev_b64 v[22:23], 2, v[5:6]
	v_add_u32_e32 v16, -11, v2
	v_mov_b32_e32 v17, v6
	v_lshlrev_b64 v[16:17], 2, v[16:17]
	v_add_co_u32_e32 v30, vcc, s12, v22
	v_add_u32_e32 v18, -5, v2
	v_mov_b32_e32 v19, v6
	v_addc_co_u32_e32 v31, vcc, v8, v23, vcc
	v_lshlrev_b64 v[18:19], 2, v[18:19]
	v_add_co_u32_e32 v34, vcc, s12, v16
	v_mov_b32_e32 v3, v6
	v_addc_co_u32_e32 v35, vcc, v8, v17, vcc
	v_lshlrev_b64 v[26:27], 2, v[2:3]
	v_add_co_u32_e32 v36, vcc, s12, v18
	v_add_u32_e32 v5, -10, v2
	v_addc_co_u32_e32 v37, vcc, v8, v19, vcc
	v_lshlrev_b64 v[28:29], 2, v[5:6]
	v_add_co_u32_e32 v26, vcc, s12, v26
	v_add_u32_e32 v5, -4, v2
	v_addc_co_u32_e32 v27, vcc, v8, v27, vcc
	v_lshlrev_b64 v[32:33], 2, v[5:6]
	v_add_co_u32_e32 v28, vcc, s12, v28
	v_addc_co_u32_e32 v29, vcc, v8, v29, vcc
	v_mov_b32_e32 v25, v6
	global_load_dword v3, v[34:35], off
	global_load_dword v40, v[36:37], off
	global_load_dwordx4 v[16:19], v[30:31], off
	global_load_dwordx4 v[20:23], v[30:31], off offset:16
	v_add_co_u32_e32 v30, vcc, s12, v32
	v_addc_co_u32_e32 v31, vcc, v8, v33, vcc
	global_load_dword v41, v[28:29], off
	global_load_dword v42, v[30:31], off
	v_add_u32_e32 v0, 4, v0
	s_waitcnt vmcnt(6)
	v_subrev_u32_e32 v1, s18, v1
	v_mul_lo_u32 v24, v1, 6
	v_lshlrev_b64 v[28:29], 2, v[24:25]
	v_add_u32_e32 v5, 2, v24
	v_lshlrev_b64 v[30:31], 2, v[5:6]
	v_add_co_u32_e32 v28, vcc, s14, v28
	v_add_u32_e32 v5, -15, v2
	v_addc_co_u32_e32 v29, vcc, v15, v29, vcc
	v_lshlrev_b64 v[32:33], 2, v[5:6]
	v_add_co_u32_e32 v30, vcc, s14, v30
	v_add_u32_e32 v5, -9, v2
	v_addc_co_u32_e32 v31, vcc, v15, v31, vcc
	v_lshlrev_b64 v[34:35], 2, v[5:6]
	v_add_co_u32_e32 v32, vcc, s12, v32
	v_add_u32_e32 v5, -3, v2
	v_addc_co_u32_e32 v33, vcc, v8, v33, vcc
	v_lshlrev_b64 v[36:37], 2, v[5:6]
	v_add_co_u32_e32 v34, vcc, s12, v34
	v_add_u32_e32 v5, -14, v2
	v_addc_co_u32_e32 v35, vcc, v8, v35, vcc
	v_lshlrev_b64 v[38:39], 2, v[5:6]
	global_load_dword v1, v[32:33], off
	global_load_dword v43, v[34:35], off
	v_add_co_u32_e32 v32, vcc, s12, v36
	v_add_u32_e32 v5, -8, v2
	v_addc_co_u32_e32 v33, vcc, v8, v37, vcc
	v_lshlrev_b64 v[36:37], 2, v[5:6]
	v_add_co_u32_e32 v34, vcc, s12, v38
	v_add_u32_e32 v5, -2, v2
	v_addc_co_u32_e32 v35, vcc, v8, v39, vcc
	v_lshlrev_b64 v[38:39], 2, v[5:6]
	v_add_u32_e32 v5, 4, v24
	v_add_co_u32_e32 v24, vcc, s12, v36
	v_addc_co_u32_e32 v25, vcc, v8, v37, vcc
	global_load_dword v44, v[32:33], off
	global_load_dword v45, v[34:35], off
	v_lshlrev_b64 v[32:33], 2, v[5:6]
	v_add_co_u32_e32 v34, vcc, s12, v38
	v_add_u32_e32 v5, -13, v2
	v_addc_co_u32_e32 v35, vcc, v8, v39, vcc
	global_load_dwordx2 v[28:29], v[28:29], off
	v_lshlrev_b64 v[36:37], 2, v[5:6]
	global_load_dwordx2 v[30:31], v[30:31], off
	s_nop 0
	global_load_dword v46, v[24:25], off
	global_load_dword v47, v[34:35], off
	v_add_co_u32_e32 v24, vcc, s14, v32
	v_add_u32_e32 v5, -7, v2
	v_addc_co_u32_e32 v25, vcc, v15, v33, vcc
	v_lshlrev_b64 v[32:33], 2, v[5:6]
	v_add_co_u32_e32 v34, vcc, s12, v36
	v_add_u32_e32 v5, -1, v2
	v_addc_co_u32_e32 v35, vcc, v8, v37, vcc
	v_lshlrev_b64 v[36:37], 2, v[5:6]
	v_add_co_u32_e32 v32, vcc, s12, v32
	v_add_u32_e32 v5, -12, v2
	v_addc_co_u32_e32 v33, vcc, v8, v33, vcc
	v_lshlrev_b64 v[38:39], 2, v[5:6]
	global_load_dword v48, v[34:35], off
	v_add_co_u32_e32 v34, vcc, s12, v36
	v_add_u32_e32 v5, -6, v2
	v_addc_co_u32_e32 v35, vcc, v8, v37, vcc
	v_lshlrev_b64 v[36:37], 2, v[5:6]
	global_load_dword v5, v[32:33], off
	v_add_co_u32_e32 v32, vcc, s12, v38
	v_addc_co_u32_e32 v33, vcc, v8, v39, vcc
	global_load_dwordx2 v[24:25], v[24:25], off
	v_add_u32_e32 v2, 0x60, v2
	global_load_dword v38, v[34:35], off
	v_add_co_u32_e32 v34, vcc, s12, v36
	v_addc_co_u32_e32 v35, vcc, v8, v37, vcc
	global_load_dword v36, v[32:33], off
	global_load_dword v37, v[34:35], off
	;; [unrolled: 1-line block ×3, first 2 shown]
	v_cmp_ge_i32_e32 vcc, v0, v10
	s_or_b64 s[0:1], vcc, s[0:1]
	s_waitcnt vmcnt(10)
	v_fmac_f32_e32 v12, v16, v28
	v_fmac_f32_e32 v13, v3, v28
	;; [unrolled: 1-line block ×8, first 2 shown]
	s_waitcnt vmcnt(9)
	v_fmac_f32_e32 v12, v18, v30
	v_fmac_f32_e32 v14, v1, v30
	;; [unrolled: 1-line block ×6, first 2 shown]
	s_waitcnt vmcnt(8)
	v_fmac_f32_e32 v13, v46, v31
	s_waitcnt vmcnt(7)
	v_fmac_f32_e32 v11, v47, v31
	;; [unrolled: 2-line block ×3, first 2 shown]
	v_fmac_f32_e32 v14, v48, v24
	v_fmac_f32_e32 v13, v5, v24
	s_waitcnt vmcnt(3)
	v_fmac_f32_e32 v11, v38, v24
	v_fmac_f32_e32 v12, v21, v25
	s_waitcnt vmcnt(2)
	v_fmac_f32_e32 v14, v36, v25
	s_waitcnt vmcnt(1)
	;; [unrolled: 2-line block ×3, first 2 shown]
	v_fmac_f32_e32 v11, v39, v25
	s_andn2_b64 exec, exec, s[0:1]
	s_cbranch_execnz .LBB20_15
; %bb.16:
	s_or_b64 exec, exec, s[0:1]
.LBB20_17:
	s_or_b64 exec, exec, s[6:7]
.LBB20_18:
	v_mov_b32_dpp v0, v12 row_shr:1 row_mask:0xf bank_mask:0xf
	v_mov_b32_dpp v2, v14 row_shr:1 row_mask:0xf bank_mask:0xf
	;; [unrolled: 1-line block ×4, first 2 shown]
	v_add_f32_e32 v0, v12, v0
	v_add_f32_e32 v2, v14, v2
	;; [unrolled: 1-line block ×4, first 2 shown]
	v_mov_b32_dpp v1, v0 row_shr:2 row_mask:0xf bank_mask:0xf
	v_mov_b32_dpp v3, v2 row_shr:2 row_mask:0xf bank_mask:0xf
	;; [unrolled: 1-line block ×4, first 2 shown]
	v_cmp_eq_u32_e32 vcc, 3, v9
	s_and_b64 exec, exec, vcc
	s_cbranch_execz .LBB20_22
; %bb.19:
	s_load_dwordx2 s[0:1], s[4:5], 0x38
	v_add_f32_e32 v0, v0, v1
	v_add_f32_e32 v1, v2, v3
	;; [unrolled: 1-line block ×4, first 2 shown]
	v_cmp_eq_f32_e64 s[4:5], s2, 0
	s_and_b64 vcc, exec, s[4:5]
	v_mul_f32_e32 v0, s16, v0
	v_mul_f32_e32 v1, s16, v1
	;; [unrolled: 1-line block ×4, first 2 shown]
	v_lshlrev_b32_e32 v4, 2, v4
	s_cbranch_vccz .LBB20_23
; %bb.20:
	v_ashrrev_i32_e32 v5, 31, v4
	v_lshlrev_b64 v[5:6], 2, v[4:5]
	s_waitcnt lgkmcnt(0)
	v_mov_b32_e32 v7, s1
	v_add_co_u32_e32 v5, vcc, s0, v5
	v_addc_co_u32_e32 v6, vcc, v7, v6, vcc
	global_store_dwordx4 v[5:6], v[0:3], off
	s_cbranch_execnz .LBB20_22
.LBB20_21:
	v_ashrrev_i32_e32 v5, 31, v4
	v_lshlrev_b64 v[4:5], 2, v[4:5]
	s_waitcnt lgkmcnt(0)
	v_mov_b32_e32 v6, s1
	v_add_co_u32_e32 v8, vcc, s0, v4
	v_addc_co_u32_e32 v9, vcc, v6, v5, vcc
	global_load_dwordx4 v[4:7], v[8:9], off
	s_waitcnt vmcnt(0)
	v_fmac_f32_e32 v0, s2, v4
	v_fmac_f32_e32 v1, s2, v5
	;; [unrolled: 1-line block ×4, first 2 shown]
	global_store_dwordx4 v[8:9], v[0:3], off
.LBB20_22:
	s_endpgm
.LBB20_23:
	s_branch .LBB20_21
	.section	.rodata,"a",@progbits
	.p2align	6, 0x0
	.amdhsa_kernel _ZN9rocsparseL19gebsrmvn_4xn_kernelILj128ELj6ELj4EfEEvi20rocsparse_direction_NS_24const_host_device_scalarIT2_EEPKiS6_PKS3_S8_S4_PS3_21rocsparse_index_base_b
		.amdhsa_group_segment_fixed_size 0
		.amdhsa_private_segment_fixed_size 0
		.amdhsa_kernarg_size 72
		.amdhsa_user_sgpr_count 6
		.amdhsa_user_sgpr_private_segment_buffer 1
		.amdhsa_user_sgpr_dispatch_ptr 0
		.amdhsa_user_sgpr_queue_ptr 0
		.amdhsa_user_sgpr_kernarg_segment_ptr 1
		.amdhsa_user_sgpr_dispatch_id 0
		.amdhsa_user_sgpr_flat_scratch_init 0
		.amdhsa_user_sgpr_private_segment_size 0
		.amdhsa_uses_dynamic_stack 0
		.amdhsa_system_sgpr_private_segment_wavefront_offset 0
		.amdhsa_system_sgpr_workgroup_id_x 1
		.amdhsa_system_sgpr_workgroup_id_y 0
		.amdhsa_system_sgpr_workgroup_id_z 0
		.amdhsa_system_sgpr_workgroup_info 0
		.amdhsa_system_vgpr_workitem_id 0
		.amdhsa_next_free_vgpr 51
		.amdhsa_next_free_sgpr 20
		.amdhsa_reserve_vcc 1
		.amdhsa_reserve_flat_scratch 0
		.amdhsa_float_round_mode_32 0
		.amdhsa_float_round_mode_16_64 0
		.amdhsa_float_denorm_mode_32 3
		.amdhsa_float_denorm_mode_16_64 3
		.amdhsa_dx10_clamp 1
		.amdhsa_ieee_mode 1
		.amdhsa_fp16_overflow 0
		.amdhsa_exception_fp_ieee_invalid_op 0
		.amdhsa_exception_fp_denorm_src 0
		.amdhsa_exception_fp_ieee_div_zero 0
		.amdhsa_exception_fp_ieee_overflow 0
		.amdhsa_exception_fp_ieee_underflow 0
		.amdhsa_exception_fp_ieee_inexact 0
		.amdhsa_exception_int_div_zero 0
	.end_amdhsa_kernel
	.section	.text._ZN9rocsparseL19gebsrmvn_4xn_kernelILj128ELj6ELj4EfEEvi20rocsparse_direction_NS_24const_host_device_scalarIT2_EEPKiS6_PKS3_S8_S4_PS3_21rocsparse_index_base_b,"axG",@progbits,_ZN9rocsparseL19gebsrmvn_4xn_kernelILj128ELj6ELj4EfEEvi20rocsparse_direction_NS_24const_host_device_scalarIT2_EEPKiS6_PKS3_S8_S4_PS3_21rocsparse_index_base_b,comdat
.Lfunc_end20:
	.size	_ZN9rocsparseL19gebsrmvn_4xn_kernelILj128ELj6ELj4EfEEvi20rocsparse_direction_NS_24const_host_device_scalarIT2_EEPKiS6_PKS3_S8_S4_PS3_21rocsparse_index_base_b, .Lfunc_end20-_ZN9rocsparseL19gebsrmvn_4xn_kernelILj128ELj6ELj4EfEEvi20rocsparse_direction_NS_24const_host_device_scalarIT2_EEPKiS6_PKS3_S8_S4_PS3_21rocsparse_index_base_b
                                        ; -- End function
	.set _ZN9rocsparseL19gebsrmvn_4xn_kernelILj128ELj6ELj4EfEEvi20rocsparse_direction_NS_24const_host_device_scalarIT2_EEPKiS6_PKS3_S8_S4_PS3_21rocsparse_index_base_b.num_vgpr, 51
	.set _ZN9rocsparseL19gebsrmvn_4xn_kernelILj128ELj6ELj4EfEEvi20rocsparse_direction_NS_24const_host_device_scalarIT2_EEPKiS6_PKS3_S8_S4_PS3_21rocsparse_index_base_b.num_agpr, 0
	.set _ZN9rocsparseL19gebsrmvn_4xn_kernelILj128ELj6ELj4EfEEvi20rocsparse_direction_NS_24const_host_device_scalarIT2_EEPKiS6_PKS3_S8_S4_PS3_21rocsparse_index_base_b.numbered_sgpr, 20
	.set _ZN9rocsparseL19gebsrmvn_4xn_kernelILj128ELj6ELj4EfEEvi20rocsparse_direction_NS_24const_host_device_scalarIT2_EEPKiS6_PKS3_S8_S4_PS3_21rocsparse_index_base_b.num_named_barrier, 0
	.set _ZN9rocsparseL19gebsrmvn_4xn_kernelILj128ELj6ELj4EfEEvi20rocsparse_direction_NS_24const_host_device_scalarIT2_EEPKiS6_PKS3_S8_S4_PS3_21rocsparse_index_base_b.private_seg_size, 0
	.set _ZN9rocsparseL19gebsrmvn_4xn_kernelILj128ELj6ELj4EfEEvi20rocsparse_direction_NS_24const_host_device_scalarIT2_EEPKiS6_PKS3_S8_S4_PS3_21rocsparse_index_base_b.uses_vcc, 1
	.set _ZN9rocsparseL19gebsrmvn_4xn_kernelILj128ELj6ELj4EfEEvi20rocsparse_direction_NS_24const_host_device_scalarIT2_EEPKiS6_PKS3_S8_S4_PS3_21rocsparse_index_base_b.uses_flat_scratch, 0
	.set _ZN9rocsparseL19gebsrmvn_4xn_kernelILj128ELj6ELj4EfEEvi20rocsparse_direction_NS_24const_host_device_scalarIT2_EEPKiS6_PKS3_S8_S4_PS3_21rocsparse_index_base_b.has_dyn_sized_stack, 0
	.set _ZN9rocsparseL19gebsrmvn_4xn_kernelILj128ELj6ELj4EfEEvi20rocsparse_direction_NS_24const_host_device_scalarIT2_EEPKiS6_PKS3_S8_S4_PS3_21rocsparse_index_base_b.has_recursion, 0
	.set _ZN9rocsparseL19gebsrmvn_4xn_kernelILj128ELj6ELj4EfEEvi20rocsparse_direction_NS_24const_host_device_scalarIT2_EEPKiS6_PKS3_S8_S4_PS3_21rocsparse_index_base_b.has_indirect_call, 0
	.section	.AMDGPU.csdata,"",@progbits
; Kernel info:
; codeLenInByte = 1852
; TotalNumSgprs: 24
; NumVgprs: 51
; ScratchSize: 0
; MemoryBound: 0
; FloatMode: 240
; IeeeMode: 1
; LDSByteSize: 0 bytes/workgroup (compile time only)
; SGPRBlocks: 2
; VGPRBlocks: 12
; NumSGPRsForWavesPerEU: 24
; NumVGPRsForWavesPerEU: 51
; Occupancy: 4
; WaveLimiterHint : 1
; COMPUTE_PGM_RSRC2:SCRATCH_EN: 0
; COMPUTE_PGM_RSRC2:USER_SGPR: 6
; COMPUTE_PGM_RSRC2:TRAP_HANDLER: 0
; COMPUTE_PGM_RSRC2:TGID_X_EN: 1
; COMPUTE_PGM_RSRC2:TGID_Y_EN: 0
; COMPUTE_PGM_RSRC2:TGID_Z_EN: 0
; COMPUTE_PGM_RSRC2:TIDIG_COMP_CNT: 0
	.section	.text._ZN9rocsparseL19gebsrmvn_4xn_kernelILj128ELj6ELj8EfEEvi20rocsparse_direction_NS_24const_host_device_scalarIT2_EEPKiS6_PKS3_S8_S4_PS3_21rocsparse_index_base_b,"axG",@progbits,_ZN9rocsparseL19gebsrmvn_4xn_kernelILj128ELj6ELj8EfEEvi20rocsparse_direction_NS_24const_host_device_scalarIT2_EEPKiS6_PKS3_S8_S4_PS3_21rocsparse_index_base_b,comdat
	.globl	_ZN9rocsparseL19gebsrmvn_4xn_kernelILj128ELj6ELj8EfEEvi20rocsparse_direction_NS_24const_host_device_scalarIT2_EEPKiS6_PKS3_S8_S4_PS3_21rocsparse_index_base_b ; -- Begin function _ZN9rocsparseL19gebsrmvn_4xn_kernelILj128ELj6ELj8EfEEvi20rocsparse_direction_NS_24const_host_device_scalarIT2_EEPKiS6_PKS3_S8_S4_PS3_21rocsparse_index_base_b
	.p2align	8
	.type	_ZN9rocsparseL19gebsrmvn_4xn_kernelILj128ELj6ELj8EfEEvi20rocsparse_direction_NS_24const_host_device_scalarIT2_EEPKiS6_PKS3_S8_S4_PS3_21rocsparse_index_base_b,@function
_ZN9rocsparseL19gebsrmvn_4xn_kernelILj128ELj6ELj8EfEEvi20rocsparse_direction_NS_24const_host_device_scalarIT2_EEPKiS6_PKS3_S8_S4_PS3_21rocsparse_index_base_b: ; @_ZN9rocsparseL19gebsrmvn_4xn_kernelILj128ELj6ELj8EfEEvi20rocsparse_direction_NS_24const_host_device_scalarIT2_EEPKiS6_PKS3_S8_S4_PS3_21rocsparse_index_base_b
; %bb.0:
	s_load_dwordx2 s[18:19], s[4:5], 0x40
	s_load_dwordx2 s[16:17], s[4:5], 0x8
	;; [unrolled: 1-line block ×3, first 2 shown]
	s_waitcnt lgkmcnt(0)
	s_bitcmp1_b32 s19, 0
	s_cselect_b64 s[8:9], -1, 0
	s_xor_b64 s[0:1], s[8:9], -1
	s_and_b64 vcc, exec, s[8:9]
	s_cbranch_vccnz .LBB21_2
; %bb.1:
	s_load_dword s16, s[16:17], 0x0
.LBB21_2:
	s_andn2_b64 vcc, exec, s[0:1]
	s_cbranch_vccnz .LBB21_4
; %bb.3:
	s_load_dword s2, s[2:3], 0x0
.LBB21_4:
	s_waitcnt lgkmcnt(0)
	v_cmp_eq_f32_e64 s[0:1], s16, 0
	v_cmp_eq_f32_e64 s[8:9], s2, 1.0
	s_and_b64 s[0:1], s[0:1], s[8:9]
	s_and_b64 vcc, exec, s[0:1]
	s_cbranch_vccnz .LBB21_22
; %bb.5:
	s_load_dwordx2 s[0:1], s[4:5], 0x0
	v_lshrrev_b32_e32 v1, 3, v0
	v_lshl_or_b32 v4, s6, 4, v1
	s_waitcnt lgkmcnt(0)
	v_cmp_gt_i32_e32 vcc, s0, v4
	s_and_saveexec_b64 s[6:7], vcc
	s_cbranch_execz .LBB21_22
; %bb.6:
	s_load_dwordx8 s[8:15], s[4:5], 0x10
	v_ashrrev_i32_e32 v5, 31, v4
	v_lshlrev_b64 v[1:2], 2, v[4:5]
	v_and_b32_e32 v9, 7, v0
	s_cmp_lg_u32 s1, 0
	s_waitcnt lgkmcnt(0)
	v_mov_b32_e32 v3, s9
	v_add_co_u32_e32 v1, vcc, s8, v1
	v_addc_co_u32_e32 v2, vcc, v3, v2, vcc
	global_load_dwordx2 v[1:2], v[1:2], off
	s_waitcnt vmcnt(0)
	v_subrev_u32_e32 v0, s18, v1
	v_subrev_u32_e32 v11, s18, v2
	v_add_u32_e32 v0, v0, v9
	v_cmp_lt_i32_e64 s[0:1], v0, v11
	s_cbranch_scc0 .LBB21_12
; %bb.7:
	v_mov_b32_e32 v12, 0
	v_mov_b32_e32 v10, 0
	;; [unrolled: 1-line block ×4, first 2 shown]
	s_and_saveexec_b64 s[6:7], s[0:1]
	s_cbranch_execz .LBB21_11
; %bb.8:
	v_mad_u64_u32 v[1:2], s[8:9], v0, 24, 20
	v_mov_b32_e32 v6, 0
	s_mov_b64 s[8:9], 0
	v_mov_b32_e32 v3, s11
	v_mov_b32_e32 v15, s13
	;; [unrolled: 1-line block ×8, first 2 shown]
.LBB21_9:                               ; =>This Inner Loop Header: Depth=1
	v_ashrrev_i32_e32 v8, 31, v7
	v_lshlrev_b64 v[17:18], 2, v[7:8]
	v_subrev_u32_e32 v5, 20, v1
	v_add_co_u32_e32 v17, vcc, s10, v17
	v_addc_co_u32_e32 v18, vcc, v3, v18, vcc
	global_load_dword v8, v[17:18], off
	v_mov_b32_e32 v2, v6
	v_lshlrev_b64 v[17:18], 2, v[5:6]
	v_lshlrev_b64 v[19:20], 2, v[1:2]
	v_add_co_u32_e32 v27, vcc, s12, v17
	v_add_u32_e32 v5, -12, v1
	v_addc_co_u32_e32 v28, vcc, v15, v18, vcc
	v_lshlrev_b64 v[25:26], 2, v[5:6]
	v_add_co_u32_e32 v41, vcc, s12, v19
	v_mov_b32_e32 v30, v6
	v_addc_co_u32_e32 v42, vcc, v15, v20, vcc
	v_add_co_u32_e32 v25, vcc, s12, v25
	v_addc_co_u32_e32 v26, vcc, v15, v26, vcc
	global_load_dwordx4 v[17:20], v[27:28], off offset:16
	global_load_dwordx4 v[21:24], v[27:28], off
	v_add_u32_e32 v7, 8, v7
	global_load_dwordx4 v[25:28], v[25:26], off
	s_waitcnt vmcnt(3)
	v_subrev_u32_e32 v2, s18, v8
	v_mul_lo_u32 v29, v2, 6
	v_lshlrev_b64 v[30:31], 2, v[29:30]
	v_add_u32_e32 v5, 2, v29
	v_lshlrev_b64 v[32:33], 2, v[5:6]
	v_add_co_u32_e32 v30, vcc, s14, v30
	v_add_u32_e32 v5, -8, v1
	v_addc_co_u32_e32 v31, vcc, v16, v31, vcc
	v_lshlrev_b64 v[34:35], 2, v[5:6]
	global_load_dwordx2 v[43:44], v[30:31], off
	v_add_co_u32_e32 v30, vcc, s14, v32
	v_add_u32_e32 v5, -4, v1
	v_addc_co_u32_e32 v31, vcc, v16, v33, vcc
	v_lshlrev_b64 v[32:33], 2, v[5:6]
	v_add_co_u32_e32 v37, vcc, s12, v34
	v_add_u32_e32 v5, 4, v29
	v_addc_co_u32_e32 v38, vcc, v15, v35, vcc
	v_lshlrev_b64 v[39:40], 2, v[5:6]
	v_add_co_u32_e32 v47, vcc, s12, v32
	global_load_dwordx2 v[45:46], v[30:31], off
	v_addc_co_u32_e32 v48, vcc, v15, v33, vcc
	global_load_dwordx4 v[29:32], v[37:38], off
	global_load_dwordx4 v[33:36], v[47:48], off
	v_add_co_u32_e32 v47, vcc, s14, v39
	v_addc_co_u32_e32 v48, vcc, v16, v40, vcc
	global_load_dwordx2 v[49:50], v[47:48], off
	global_load_dwordx4 v[37:40], v[41:42], off
	v_cmp_ge_i32_e32 vcc, v7, v11
	s_or_b64 s[8:9], vcc, s[8:9]
	v_add_u32_e32 v1, 0xc0, v1
	s_waitcnt vmcnt(5)
	v_fmac_f32_e32 v12, v21, v43
	v_fmac_f32_e32 v14, v22, v43
	;; [unrolled: 1-line block ×8, first 2 shown]
	s_waitcnt vmcnt(4)
	v_fmac_f32_e32 v12, v25, v45
	v_fmac_f32_e32 v14, v26, v45
	v_fmac_f32_e32 v13, v27, v45
	v_fmac_f32_e32 v10, v28, v45
	s_waitcnt vmcnt(3)
	v_fmac_f32_e32 v12, v29, v46
	v_fmac_f32_e32 v14, v30, v46
	v_fmac_f32_e32 v13, v31, v46
	v_fmac_f32_e32 v10, v32, v46
	;; [unrolled: 5-line block ×4, first 2 shown]
	s_andn2_b64 exec, exec, s[8:9]
	s_cbranch_execnz .LBB21_9
; %bb.10:
	s_or_b64 exec, exec, s[8:9]
.LBB21_11:
	s_or_b64 exec, exec, s[6:7]
	s_cbranch_execz .LBB21_13
	s_branch .LBB21_18
.LBB21_12:
                                        ; implicit-def: $vgpr12
                                        ; implicit-def: $vgpr10
                                        ; implicit-def: $vgpr13
                                        ; implicit-def: $vgpr14
.LBB21_13:
	v_mov_b32_e32 v12, 0
	v_mov_b32_e32 v10, 0
	;; [unrolled: 1-line block ×4, first 2 shown]
	s_and_saveexec_b64 s[6:7], s[0:1]
	s_cbranch_execz .LBB21_17
; %bb.14:
	v_mad_u64_u32 v[2:3], s[0:1], v0, 24, 23
	v_mov_b32_e32 v6, 0
	s_mov_b64 s[0:1], 0
	v_mov_b32_e32 v7, s11
	v_mov_b32_e32 v8, s13
	;; [unrolled: 1-line block ×7, first 2 shown]
.LBB21_15:                              ; =>This Inner Loop Header: Depth=1
	v_ashrrev_i32_e32 v1, 31, v0
	v_lshlrev_b64 v[20:21], 2, v[0:1]
	v_subrev_u32_e32 v5, 23, v2
	v_add_co_u32_e32 v20, vcc, s10, v20
	v_addc_co_u32_e32 v21, vcc, v7, v21, vcc
	global_load_dword v1, v[20:21], off
	v_lshlrev_b64 v[22:23], 2, v[5:6]
	v_add_u32_e32 v16, -11, v2
	v_mov_b32_e32 v17, v6
	v_lshlrev_b64 v[16:17], 2, v[16:17]
	v_add_co_u32_e32 v30, vcc, s12, v22
	v_add_u32_e32 v18, -5, v2
	v_mov_b32_e32 v19, v6
	v_addc_co_u32_e32 v31, vcc, v8, v23, vcc
	v_lshlrev_b64 v[18:19], 2, v[18:19]
	v_add_co_u32_e32 v34, vcc, s12, v16
	v_mov_b32_e32 v3, v6
	v_addc_co_u32_e32 v35, vcc, v8, v17, vcc
	v_lshlrev_b64 v[26:27], 2, v[2:3]
	v_add_co_u32_e32 v36, vcc, s12, v18
	v_add_u32_e32 v5, -10, v2
	v_addc_co_u32_e32 v37, vcc, v8, v19, vcc
	v_lshlrev_b64 v[28:29], 2, v[5:6]
	v_add_co_u32_e32 v26, vcc, s12, v26
	v_add_u32_e32 v5, -4, v2
	v_addc_co_u32_e32 v27, vcc, v8, v27, vcc
	v_lshlrev_b64 v[32:33], 2, v[5:6]
	v_add_co_u32_e32 v28, vcc, s12, v28
	v_addc_co_u32_e32 v29, vcc, v8, v29, vcc
	v_mov_b32_e32 v25, v6
	global_load_dword v3, v[34:35], off
	global_load_dword v40, v[36:37], off
	global_load_dwordx4 v[16:19], v[30:31], off
	global_load_dwordx4 v[20:23], v[30:31], off offset:16
	v_add_co_u32_e32 v30, vcc, s12, v32
	v_addc_co_u32_e32 v31, vcc, v8, v33, vcc
	global_load_dword v41, v[28:29], off
	global_load_dword v42, v[30:31], off
	v_add_u32_e32 v0, 8, v0
	s_waitcnt vmcnt(6)
	v_subrev_u32_e32 v1, s18, v1
	v_mul_lo_u32 v24, v1, 6
	v_lshlrev_b64 v[28:29], 2, v[24:25]
	v_add_u32_e32 v5, 2, v24
	v_lshlrev_b64 v[30:31], 2, v[5:6]
	v_add_co_u32_e32 v28, vcc, s14, v28
	v_add_u32_e32 v5, -15, v2
	v_addc_co_u32_e32 v29, vcc, v15, v29, vcc
	v_lshlrev_b64 v[32:33], 2, v[5:6]
	v_add_co_u32_e32 v30, vcc, s14, v30
	v_add_u32_e32 v5, -9, v2
	v_addc_co_u32_e32 v31, vcc, v15, v31, vcc
	;; [unrolled: 4-line block ×4, first 2 shown]
	v_lshlrev_b64 v[38:39], 2, v[5:6]
	global_load_dword v1, v[32:33], off
	global_load_dword v43, v[34:35], off
	v_add_co_u32_e32 v32, vcc, s12, v36
	v_add_u32_e32 v5, -8, v2
	v_addc_co_u32_e32 v33, vcc, v8, v37, vcc
	v_lshlrev_b64 v[36:37], 2, v[5:6]
	v_add_co_u32_e32 v34, vcc, s12, v38
	v_add_u32_e32 v5, -2, v2
	v_addc_co_u32_e32 v35, vcc, v8, v39, vcc
	v_lshlrev_b64 v[38:39], 2, v[5:6]
	v_add_u32_e32 v5, 4, v24
	v_add_co_u32_e32 v24, vcc, s12, v36
	v_addc_co_u32_e32 v25, vcc, v8, v37, vcc
	global_load_dword v44, v[32:33], off
	global_load_dword v45, v[34:35], off
	v_lshlrev_b64 v[32:33], 2, v[5:6]
	v_add_co_u32_e32 v34, vcc, s12, v38
	v_add_u32_e32 v5, -13, v2
	v_addc_co_u32_e32 v35, vcc, v8, v39, vcc
	global_load_dwordx2 v[28:29], v[28:29], off
	v_lshlrev_b64 v[36:37], 2, v[5:6]
	global_load_dwordx2 v[30:31], v[30:31], off
	s_nop 0
	global_load_dword v46, v[24:25], off
	global_load_dword v47, v[34:35], off
	v_add_co_u32_e32 v24, vcc, s14, v32
	v_add_u32_e32 v5, -7, v2
	v_addc_co_u32_e32 v25, vcc, v15, v33, vcc
	v_lshlrev_b64 v[32:33], 2, v[5:6]
	v_add_co_u32_e32 v34, vcc, s12, v36
	v_add_u32_e32 v5, -1, v2
	v_addc_co_u32_e32 v35, vcc, v8, v37, vcc
	v_lshlrev_b64 v[36:37], 2, v[5:6]
	;; [unrolled: 4-line block ×3, first 2 shown]
	global_load_dword v48, v[34:35], off
	v_add_co_u32_e32 v34, vcc, s12, v36
	v_add_u32_e32 v5, -6, v2
	v_addc_co_u32_e32 v35, vcc, v8, v37, vcc
	v_lshlrev_b64 v[36:37], 2, v[5:6]
	global_load_dword v5, v[32:33], off
	v_add_co_u32_e32 v32, vcc, s12, v38
	v_addc_co_u32_e32 v33, vcc, v8, v39, vcc
	global_load_dwordx2 v[24:25], v[24:25], off
	v_add_u32_e32 v2, 0xc0, v2
	global_load_dword v38, v[34:35], off
	v_add_co_u32_e32 v34, vcc, s12, v36
	v_addc_co_u32_e32 v35, vcc, v8, v37, vcc
	global_load_dword v36, v[32:33], off
	global_load_dword v37, v[34:35], off
	;; [unrolled: 1-line block ×3, first 2 shown]
	v_cmp_ge_i32_e32 vcc, v0, v11
	s_or_b64 s[0:1], vcc, s[0:1]
	s_waitcnt vmcnt(10)
	v_fmac_f32_e32 v12, v16, v28
	v_fmac_f32_e32 v13, v3, v28
	;; [unrolled: 1-line block ×8, first 2 shown]
	s_waitcnt vmcnt(9)
	v_fmac_f32_e32 v12, v18, v30
	v_fmac_f32_e32 v14, v1, v30
	;; [unrolled: 1-line block ×6, first 2 shown]
	s_waitcnt vmcnt(8)
	v_fmac_f32_e32 v13, v46, v31
	s_waitcnt vmcnt(7)
	v_fmac_f32_e32 v10, v47, v31
	;; [unrolled: 2-line block ×3, first 2 shown]
	v_fmac_f32_e32 v14, v48, v24
	v_fmac_f32_e32 v13, v5, v24
	s_waitcnt vmcnt(3)
	v_fmac_f32_e32 v10, v38, v24
	v_fmac_f32_e32 v12, v21, v25
	s_waitcnt vmcnt(2)
	v_fmac_f32_e32 v14, v36, v25
	s_waitcnt vmcnt(1)
	;; [unrolled: 2-line block ×3, first 2 shown]
	v_fmac_f32_e32 v10, v39, v25
	s_andn2_b64 exec, exec, s[0:1]
	s_cbranch_execnz .LBB21_15
; %bb.16:
	s_or_b64 exec, exec, s[0:1]
.LBB21_17:
	s_or_b64 exec, exec, s[6:7]
.LBB21_18:
	v_mov_b32_dpp v0, v12 row_shr:1 row_mask:0xf bank_mask:0xf
	v_mov_b32_dpp v2, v14 row_shr:1 row_mask:0xf bank_mask:0xf
	;; [unrolled: 1-line block ×4, first 2 shown]
	v_add_f32_e32 v0, v12, v0
	v_add_f32_e32 v2, v14, v2
	;; [unrolled: 1-line block ×4, first 2 shown]
	v_mov_b32_dpp v1, v0 row_shr:2 row_mask:0xf bank_mask:0xf
	v_mov_b32_dpp v3, v2 row_shr:2 row_mask:0xf bank_mask:0xf
	;; [unrolled: 1-line block ×4, first 2 shown]
	v_add_f32_e32 v0, v0, v1
	v_add_f32_e32 v2, v2, v3
	;; [unrolled: 1-line block ×4, first 2 shown]
	v_mov_b32_dpp v1, v0 row_shr:4 row_mask:0xf bank_mask:0xe
	v_mov_b32_dpp v3, v2 row_shr:4 row_mask:0xf bank_mask:0xe
	;; [unrolled: 1-line block ×4, first 2 shown]
	v_cmp_eq_u32_e32 vcc, 7, v9
	s_and_b64 exec, exec, vcc
	s_cbranch_execz .LBB21_22
; %bb.19:
	s_load_dwordx2 s[0:1], s[4:5], 0x38
	v_add_f32_e32 v0, v0, v1
	v_add_f32_e32 v1, v2, v3
	;; [unrolled: 1-line block ×4, first 2 shown]
	v_cmp_eq_f32_e64 s[4:5], s2, 0
	s_and_b64 vcc, exec, s[4:5]
	v_mul_f32_e32 v0, s16, v0
	v_mul_f32_e32 v1, s16, v1
	;; [unrolled: 1-line block ×4, first 2 shown]
	v_lshlrev_b32_e32 v4, 2, v4
	s_cbranch_vccz .LBB21_23
; %bb.20:
	v_ashrrev_i32_e32 v5, 31, v4
	v_lshlrev_b64 v[5:6], 2, v[4:5]
	s_waitcnt lgkmcnt(0)
	v_mov_b32_e32 v7, s1
	v_add_co_u32_e32 v5, vcc, s0, v5
	v_addc_co_u32_e32 v6, vcc, v7, v6, vcc
	global_store_dwordx4 v[5:6], v[0:3], off
	s_cbranch_execnz .LBB21_22
.LBB21_21:
	v_ashrrev_i32_e32 v5, 31, v4
	v_lshlrev_b64 v[4:5], 2, v[4:5]
	s_waitcnt lgkmcnt(0)
	v_mov_b32_e32 v6, s1
	v_add_co_u32_e32 v8, vcc, s0, v4
	v_addc_co_u32_e32 v9, vcc, v6, v5, vcc
	global_load_dwordx4 v[4:7], v[8:9], off
	s_waitcnt vmcnt(0)
	v_fmac_f32_e32 v0, s2, v4
	v_fmac_f32_e32 v1, s2, v5
	;; [unrolled: 1-line block ×4, first 2 shown]
	global_store_dwordx4 v[8:9], v[0:3], off
.LBB21_22:
	s_endpgm
.LBB21_23:
	s_branch .LBB21_21
	.section	.rodata,"a",@progbits
	.p2align	6, 0x0
	.amdhsa_kernel _ZN9rocsparseL19gebsrmvn_4xn_kernelILj128ELj6ELj8EfEEvi20rocsparse_direction_NS_24const_host_device_scalarIT2_EEPKiS6_PKS3_S8_S4_PS3_21rocsparse_index_base_b
		.amdhsa_group_segment_fixed_size 0
		.amdhsa_private_segment_fixed_size 0
		.amdhsa_kernarg_size 72
		.amdhsa_user_sgpr_count 6
		.amdhsa_user_sgpr_private_segment_buffer 1
		.amdhsa_user_sgpr_dispatch_ptr 0
		.amdhsa_user_sgpr_queue_ptr 0
		.amdhsa_user_sgpr_kernarg_segment_ptr 1
		.amdhsa_user_sgpr_dispatch_id 0
		.amdhsa_user_sgpr_flat_scratch_init 0
		.amdhsa_user_sgpr_private_segment_size 0
		.amdhsa_uses_dynamic_stack 0
		.amdhsa_system_sgpr_private_segment_wavefront_offset 0
		.amdhsa_system_sgpr_workgroup_id_x 1
		.amdhsa_system_sgpr_workgroup_id_y 0
		.amdhsa_system_sgpr_workgroup_id_z 0
		.amdhsa_system_sgpr_workgroup_info 0
		.amdhsa_system_vgpr_workitem_id 0
		.amdhsa_next_free_vgpr 51
		.amdhsa_next_free_sgpr 20
		.amdhsa_reserve_vcc 1
		.amdhsa_reserve_flat_scratch 0
		.amdhsa_float_round_mode_32 0
		.amdhsa_float_round_mode_16_64 0
		.amdhsa_float_denorm_mode_32 3
		.amdhsa_float_denorm_mode_16_64 3
		.amdhsa_dx10_clamp 1
		.amdhsa_ieee_mode 1
		.amdhsa_fp16_overflow 0
		.amdhsa_exception_fp_ieee_invalid_op 0
		.amdhsa_exception_fp_denorm_src 0
		.amdhsa_exception_fp_ieee_div_zero 0
		.amdhsa_exception_fp_ieee_overflow 0
		.amdhsa_exception_fp_ieee_underflow 0
		.amdhsa_exception_fp_ieee_inexact 0
		.amdhsa_exception_int_div_zero 0
	.end_amdhsa_kernel
	.section	.text._ZN9rocsparseL19gebsrmvn_4xn_kernelILj128ELj6ELj8EfEEvi20rocsparse_direction_NS_24const_host_device_scalarIT2_EEPKiS6_PKS3_S8_S4_PS3_21rocsparse_index_base_b,"axG",@progbits,_ZN9rocsparseL19gebsrmvn_4xn_kernelILj128ELj6ELj8EfEEvi20rocsparse_direction_NS_24const_host_device_scalarIT2_EEPKiS6_PKS3_S8_S4_PS3_21rocsparse_index_base_b,comdat
.Lfunc_end21:
	.size	_ZN9rocsparseL19gebsrmvn_4xn_kernelILj128ELj6ELj8EfEEvi20rocsparse_direction_NS_24const_host_device_scalarIT2_EEPKiS6_PKS3_S8_S4_PS3_21rocsparse_index_base_b, .Lfunc_end21-_ZN9rocsparseL19gebsrmvn_4xn_kernelILj128ELj6ELj8EfEEvi20rocsparse_direction_NS_24const_host_device_scalarIT2_EEPKiS6_PKS3_S8_S4_PS3_21rocsparse_index_base_b
                                        ; -- End function
	.set _ZN9rocsparseL19gebsrmvn_4xn_kernelILj128ELj6ELj8EfEEvi20rocsparse_direction_NS_24const_host_device_scalarIT2_EEPKiS6_PKS3_S8_S4_PS3_21rocsparse_index_base_b.num_vgpr, 51
	.set _ZN9rocsparseL19gebsrmvn_4xn_kernelILj128ELj6ELj8EfEEvi20rocsparse_direction_NS_24const_host_device_scalarIT2_EEPKiS6_PKS3_S8_S4_PS3_21rocsparse_index_base_b.num_agpr, 0
	.set _ZN9rocsparseL19gebsrmvn_4xn_kernelILj128ELj6ELj8EfEEvi20rocsparse_direction_NS_24const_host_device_scalarIT2_EEPKiS6_PKS3_S8_S4_PS3_21rocsparse_index_base_b.numbered_sgpr, 20
	.set _ZN9rocsparseL19gebsrmvn_4xn_kernelILj128ELj6ELj8EfEEvi20rocsparse_direction_NS_24const_host_device_scalarIT2_EEPKiS6_PKS3_S8_S4_PS3_21rocsparse_index_base_b.num_named_barrier, 0
	.set _ZN9rocsparseL19gebsrmvn_4xn_kernelILj128ELj6ELj8EfEEvi20rocsparse_direction_NS_24const_host_device_scalarIT2_EEPKiS6_PKS3_S8_S4_PS3_21rocsparse_index_base_b.private_seg_size, 0
	.set _ZN9rocsparseL19gebsrmvn_4xn_kernelILj128ELj6ELj8EfEEvi20rocsparse_direction_NS_24const_host_device_scalarIT2_EEPKiS6_PKS3_S8_S4_PS3_21rocsparse_index_base_b.uses_vcc, 1
	.set _ZN9rocsparseL19gebsrmvn_4xn_kernelILj128ELj6ELj8EfEEvi20rocsparse_direction_NS_24const_host_device_scalarIT2_EEPKiS6_PKS3_S8_S4_PS3_21rocsparse_index_base_b.uses_flat_scratch, 0
	.set _ZN9rocsparseL19gebsrmvn_4xn_kernelILj128ELj6ELj8EfEEvi20rocsparse_direction_NS_24const_host_device_scalarIT2_EEPKiS6_PKS3_S8_S4_PS3_21rocsparse_index_base_b.has_dyn_sized_stack, 0
	.set _ZN9rocsparseL19gebsrmvn_4xn_kernelILj128ELj6ELj8EfEEvi20rocsparse_direction_NS_24const_host_device_scalarIT2_EEPKiS6_PKS3_S8_S4_PS3_21rocsparse_index_base_b.has_recursion, 0
	.set _ZN9rocsparseL19gebsrmvn_4xn_kernelILj128ELj6ELj8EfEEvi20rocsparse_direction_NS_24const_host_device_scalarIT2_EEPKiS6_PKS3_S8_S4_PS3_21rocsparse_index_base_b.has_indirect_call, 0
	.section	.AMDGPU.csdata,"",@progbits
; Kernel info:
; codeLenInByte = 1900
; TotalNumSgprs: 24
; NumVgprs: 51
; ScratchSize: 0
; MemoryBound: 0
; FloatMode: 240
; IeeeMode: 1
; LDSByteSize: 0 bytes/workgroup (compile time only)
; SGPRBlocks: 2
; VGPRBlocks: 12
; NumSGPRsForWavesPerEU: 24
; NumVGPRsForWavesPerEU: 51
; Occupancy: 4
; WaveLimiterHint : 1
; COMPUTE_PGM_RSRC2:SCRATCH_EN: 0
; COMPUTE_PGM_RSRC2:USER_SGPR: 6
; COMPUTE_PGM_RSRC2:TRAP_HANDLER: 0
; COMPUTE_PGM_RSRC2:TGID_X_EN: 1
; COMPUTE_PGM_RSRC2:TGID_Y_EN: 0
; COMPUTE_PGM_RSRC2:TGID_Z_EN: 0
; COMPUTE_PGM_RSRC2:TIDIG_COMP_CNT: 0
	.section	.text._ZN9rocsparseL19gebsrmvn_4xn_kernelILj128ELj6ELj16EfEEvi20rocsparse_direction_NS_24const_host_device_scalarIT2_EEPKiS6_PKS3_S8_S4_PS3_21rocsparse_index_base_b,"axG",@progbits,_ZN9rocsparseL19gebsrmvn_4xn_kernelILj128ELj6ELj16EfEEvi20rocsparse_direction_NS_24const_host_device_scalarIT2_EEPKiS6_PKS3_S8_S4_PS3_21rocsparse_index_base_b,comdat
	.globl	_ZN9rocsparseL19gebsrmvn_4xn_kernelILj128ELj6ELj16EfEEvi20rocsparse_direction_NS_24const_host_device_scalarIT2_EEPKiS6_PKS3_S8_S4_PS3_21rocsparse_index_base_b ; -- Begin function _ZN9rocsparseL19gebsrmvn_4xn_kernelILj128ELj6ELj16EfEEvi20rocsparse_direction_NS_24const_host_device_scalarIT2_EEPKiS6_PKS3_S8_S4_PS3_21rocsparse_index_base_b
	.p2align	8
	.type	_ZN9rocsparseL19gebsrmvn_4xn_kernelILj128ELj6ELj16EfEEvi20rocsparse_direction_NS_24const_host_device_scalarIT2_EEPKiS6_PKS3_S8_S4_PS3_21rocsparse_index_base_b,@function
_ZN9rocsparseL19gebsrmvn_4xn_kernelILj128ELj6ELj16EfEEvi20rocsparse_direction_NS_24const_host_device_scalarIT2_EEPKiS6_PKS3_S8_S4_PS3_21rocsparse_index_base_b: ; @_ZN9rocsparseL19gebsrmvn_4xn_kernelILj128ELj6ELj16EfEEvi20rocsparse_direction_NS_24const_host_device_scalarIT2_EEPKiS6_PKS3_S8_S4_PS3_21rocsparse_index_base_b
; %bb.0:
	s_load_dwordx2 s[18:19], s[4:5], 0x40
	s_load_dwordx2 s[16:17], s[4:5], 0x8
	;; [unrolled: 1-line block ×3, first 2 shown]
	s_waitcnt lgkmcnt(0)
	s_bitcmp1_b32 s19, 0
	s_cselect_b64 s[8:9], -1, 0
	s_xor_b64 s[0:1], s[8:9], -1
	s_and_b64 vcc, exec, s[8:9]
	s_cbranch_vccnz .LBB22_2
; %bb.1:
	s_load_dword s16, s[16:17], 0x0
.LBB22_2:
	s_andn2_b64 vcc, exec, s[0:1]
	s_cbranch_vccnz .LBB22_4
; %bb.3:
	s_load_dword s2, s[2:3], 0x0
.LBB22_4:
	s_waitcnt lgkmcnt(0)
	v_cmp_eq_f32_e64 s[0:1], s16, 0
	v_cmp_eq_f32_e64 s[8:9], s2, 1.0
	s_and_b64 s[0:1], s[0:1], s[8:9]
	s_and_b64 vcc, exec, s[0:1]
	s_cbranch_vccnz .LBB22_22
; %bb.5:
	s_load_dwordx2 s[0:1], s[4:5], 0x0
	v_lshrrev_b32_e32 v1, 4, v0
	v_lshl_or_b32 v4, s6, 3, v1
	s_waitcnt lgkmcnt(0)
	v_cmp_gt_i32_e32 vcc, s0, v4
	s_and_saveexec_b64 s[6:7], vcc
	s_cbranch_execz .LBB22_22
; %bb.6:
	s_load_dwordx8 s[8:15], s[4:5], 0x10
	v_ashrrev_i32_e32 v5, 31, v4
	v_lshlrev_b64 v[1:2], 2, v[4:5]
	v_and_b32_e32 v9, 15, v0
	s_cmp_lg_u32 s1, 0
	s_waitcnt lgkmcnt(0)
	v_mov_b32_e32 v3, s9
	v_add_co_u32_e32 v1, vcc, s8, v1
	v_addc_co_u32_e32 v2, vcc, v3, v2, vcc
	global_load_dwordx2 v[1:2], v[1:2], off
	s_waitcnt vmcnt(0)
	v_subrev_u32_e32 v0, s18, v1
	v_subrev_u32_e32 v11, s18, v2
	v_add_u32_e32 v0, v0, v9
	v_cmp_lt_i32_e64 s[0:1], v0, v11
	s_cbranch_scc0 .LBB22_12
; %bb.7:
	v_mov_b32_e32 v13, 0
	v_mov_b32_e32 v10, 0
	;; [unrolled: 1-line block ×4, first 2 shown]
	s_and_saveexec_b64 s[6:7], s[0:1]
	s_cbranch_execz .LBB22_11
; %bb.8:
	v_mad_u64_u32 v[1:2], s[8:9], v0, 24, 20
	v_mov_b32_e32 v6, 0
	s_mov_b64 s[8:9], 0
	v_mov_b32_e32 v3, s11
	v_mov_b32_e32 v15, s13
	;; [unrolled: 1-line block ×8, first 2 shown]
.LBB22_9:                               ; =>This Inner Loop Header: Depth=1
	v_ashrrev_i32_e32 v8, 31, v7
	v_lshlrev_b64 v[17:18], 2, v[7:8]
	v_subrev_u32_e32 v5, 20, v1
	v_add_co_u32_e32 v17, vcc, s10, v17
	v_addc_co_u32_e32 v18, vcc, v3, v18, vcc
	global_load_dword v8, v[17:18], off
	v_mov_b32_e32 v2, v6
	v_lshlrev_b64 v[17:18], 2, v[5:6]
	v_lshlrev_b64 v[19:20], 2, v[1:2]
	v_add_co_u32_e32 v27, vcc, s12, v17
	v_add_u32_e32 v5, -12, v1
	v_addc_co_u32_e32 v28, vcc, v15, v18, vcc
	v_lshlrev_b64 v[25:26], 2, v[5:6]
	v_add_co_u32_e32 v41, vcc, s12, v19
	v_mov_b32_e32 v30, v6
	v_addc_co_u32_e32 v42, vcc, v15, v20, vcc
	v_add_co_u32_e32 v25, vcc, s12, v25
	v_addc_co_u32_e32 v26, vcc, v15, v26, vcc
	global_load_dwordx4 v[17:20], v[27:28], off offset:16
	global_load_dwordx4 v[21:24], v[27:28], off
	v_add_u32_e32 v7, 16, v7
	global_load_dwordx4 v[25:28], v[25:26], off
	s_waitcnt vmcnt(3)
	v_subrev_u32_e32 v2, s18, v8
	v_mul_lo_u32 v29, v2, 6
	v_lshlrev_b64 v[30:31], 2, v[29:30]
	v_add_u32_e32 v5, 2, v29
	v_lshlrev_b64 v[32:33], 2, v[5:6]
	v_add_co_u32_e32 v30, vcc, s14, v30
	v_add_u32_e32 v5, -8, v1
	v_addc_co_u32_e32 v31, vcc, v16, v31, vcc
	v_lshlrev_b64 v[34:35], 2, v[5:6]
	global_load_dwordx2 v[43:44], v[30:31], off
	v_add_co_u32_e32 v30, vcc, s14, v32
	v_add_u32_e32 v5, -4, v1
	v_addc_co_u32_e32 v31, vcc, v16, v33, vcc
	v_lshlrev_b64 v[32:33], 2, v[5:6]
	v_add_co_u32_e32 v37, vcc, s12, v34
	v_add_u32_e32 v5, 4, v29
	v_addc_co_u32_e32 v38, vcc, v15, v35, vcc
	v_lshlrev_b64 v[39:40], 2, v[5:6]
	v_add_co_u32_e32 v47, vcc, s12, v32
	global_load_dwordx2 v[45:46], v[30:31], off
	v_addc_co_u32_e32 v48, vcc, v15, v33, vcc
	global_load_dwordx4 v[29:32], v[37:38], off
	global_load_dwordx4 v[33:36], v[47:48], off
	v_add_co_u32_e32 v47, vcc, s14, v39
	v_addc_co_u32_e32 v48, vcc, v16, v40, vcc
	global_load_dwordx2 v[49:50], v[47:48], off
	global_load_dwordx4 v[37:40], v[41:42], off
	v_cmp_ge_i32_e32 vcc, v7, v11
	s_or_b64 s[8:9], vcc, s[8:9]
	v_add_u32_e32 v1, 0x180, v1
	s_waitcnt vmcnt(5)
	v_fmac_f32_e32 v13, v21, v43
	v_fmac_f32_e32 v14, v22, v43
	v_fmac_f32_e32 v12, v23, v43
	v_fmac_f32_e32 v10, v24, v43
	v_fmac_f32_e32 v13, v17, v44
	v_fmac_f32_e32 v14, v18, v44
	v_fmac_f32_e32 v12, v19, v44
	v_fmac_f32_e32 v10, v20, v44
	s_waitcnt vmcnt(4)
	v_fmac_f32_e32 v13, v25, v45
	v_fmac_f32_e32 v14, v26, v45
	v_fmac_f32_e32 v12, v27, v45
	v_fmac_f32_e32 v10, v28, v45
	s_waitcnt vmcnt(3)
	v_fmac_f32_e32 v13, v29, v46
	v_fmac_f32_e32 v14, v30, v46
	v_fmac_f32_e32 v12, v31, v46
	v_fmac_f32_e32 v10, v32, v46
	;; [unrolled: 5-line block ×4, first 2 shown]
	s_andn2_b64 exec, exec, s[8:9]
	s_cbranch_execnz .LBB22_9
; %bb.10:
	s_or_b64 exec, exec, s[8:9]
.LBB22_11:
	s_or_b64 exec, exec, s[6:7]
	s_cbranch_execz .LBB22_13
	s_branch .LBB22_18
.LBB22_12:
                                        ; implicit-def: $vgpr13
                                        ; implicit-def: $vgpr10
                                        ; implicit-def: $vgpr12
                                        ; implicit-def: $vgpr14
.LBB22_13:
	v_mov_b32_e32 v13, 0
	v_mov_b32_e32 v10, 0
	;; [unrolled: 1-line block ×4, first 2 shown]
	s_and_saveexec_b64 s[6:7], s[0:1]
	s_cbranch_execz .LBB22_17
; %bb.14:
	v_mad_u64_u32 v[2:3], s[0:1], v0, 24, 23
	v_mov_b32_e32 v6, 0
	s_mov_b64 s[0:1], 0
	v_mov_b32_e32 v7, s11
	v_mov_b32_e32 v8, s13
	;; [unrolled: 1-line block ×7, first 2 shown]
.LBB22_15:                              ; =>This Inner Loop Header: Depth=1
	v_ashrrev_i32_e32 v1, 31, v0
	v_lshlrev_b64 v[20:21], 2, v[0:1]
	v_subrev_u32_e32 v5, 23, v2
	v_add_co_u32_e32 v20, vcc, s10, v20
	v_addc_co_u32_e32 v21, vcc, v7, v21, vcc
	global_load_dword v1, v[20:21], off
	v_lshlrev_b64 v[22:23], 2, v[5:6]
	v_add_u32_e32 v16, -11, v2
	v_mov_b32_e32 v17, v6
	v_lshlrev_b64 v[16:17], 2, v[16:17]
	v_add_co_u32_e32 v30, vcc, s12, v22
	v_add_u32_e32 v18, -5, v2
	v_mov_b32_e32 v19, v6
	v_addc_co_u32_e32 v31, vcc, v8, v23, vcc
	v_lshlrev_b64 v[18:19], 2, v[18:19]
	v_add_co_u32_e32 v34, vcc, s12, v16
	v_mov_b32_e32 v3, v6
	v_addc_co_u32_e32 v35, vcc, v8, v17, vcc
	v_lshlrev_b64 v[26:27], 2, v[2:3]
	v_add_co_u32_e32 v36, vcc, s12, v18
	v_add_u32_e32 v5, -10, v2
	v_addc_co_u32_e32 v37, vcc, v8, v19, vcc
	v_lshlrev_b64 v[28:29], 2, v[5:6]
	v_add_co_u32_e32 v26, vcc, s12, v26
	v_add_u32_e32 v5, -4, v2
	v_addc_co_u32_e32 v27, vcc, v8, v27, vcc
	v_lshlrev_b64 v[32:33], 2, v[5:6]
	v_add_co_u32_e32 v28, vcc, s12, v28
	v_addc_co_u32_e32 v29, vcc, v8, v29, vcc
	v_mov_b32_e32 v25, v6
	global_load_dword v3, v[34:35], off
	global_load_dword v40, v[36:37], off
	global_load_dwordx4 v[16:19], v[30:31], off
	global_load_dwordx4 v[20:23], v[30:31], off offset:16
	v_add_co_u32_e32 v30, vcc, s12, v32
	v_addc_co_u32_e32 v31, vcc, v8, v33, vcc
	global_load_dword v41, v[28:29], off
	global_load_dword v42, v[30:31], off
	v_add_u32_e32 v0, 16, v0
	s_waitcnt vmcnt(6)
	v_subrev_u32_e32 v1, s18, v1
	v_mul_lo_u32 v24, v1, 6
	v_lshlrev_b64 v[28:29], 2, v[24:25]
	v_add_u32_e32 v5, 2, v24
	v_lshlrev_b64 v[30:31], 2, v[5:6]
	v_add_co_u32_e32 v28, vcc, s14, v28
	v_add_u32_e32 v5, -15, v2
	v_addc_co_u32_e32 v29, vcc, v15, v29, vcc
	v_lshlrev_b64 v[32:33], 2, v[5:6]
	v_add_co_u32_e32 v30, vcc, s14, v30
	v_add_u32_e32 v5, -9, v2
	v_addc_co_u32_e32 v31, vcc, v15, v31, vcc
	;; [unrolled: 4-line block ×4, first 2 shown]
	v_lshlrev_b64 v[38:39], 2, v[5:6]
	global_load_dword v1, v[32:33], off
	global_load_dword v43, v[34:35], off
	v_add_co_u32_e32 v32, vcc, s12, v36
	v_add_u32_e32 v5, -8, v2
	v_addc_co_u32_e32 v33, vcc, v8, v37, vcc
	v_lshlrev_b64 v[36:37], 2, v[5:6]
	v_add_co_u32_e32 v34, vcc, s12, v38
	v_add_u32_e32 v5, -2, v2
	v_addc_co_u32_e32 v35, vcc, v8, v39, vcc
	v_lshlrev_b64 v[38:39], 2, v[5:6]
	v_add_u32_e32 v5, 4, v24
	v_add_co_u32_e32 v24, vcc, s12, v36
	v_addc_co_u32_e32 v25, vcc, v8, v37, vcc
	global_load_dword v44, v[32:33], off
	global_load_dword v45, v[34:35], off
	v_lshlrev_b64 v[32:33], 2, v[5:6]
	v_add_co_u32_e32 v34, vcc, s12, v38
	v_add_u32_e32 v5, -13, v2
	v_addc_co_u32_e32 v35, vcc, v8, v39, vcc
	global_load_dwordx2 v[28:29], v[28:29], off
	v_lshlrev_b64 v[36:37], 2, v[5:6]
	global_load_dwordx2 v[30:31], v[30:31], off
	s_nop 0
	global_load_dword v46, v[24:25], off
	global_load_dword v47, v[34:35], off
	v_add_co_u32_e32 v24, vcc, s14, v32
	v_add_u32_e32 v5, -7, v2
	v_addc_co_u32_e32 v25, vcc, v15, v33, vcc
	v_lshlrev_b64 v[32:33], 2, v[5:6]
	v_add_co_u32_e32 v34, vcc, s12, v36
	v_add_u32_e32 v5, -1, v2
	v_addc_co_u32_e32 v35, vcc, v8, v37, vcc
	v_lshlrev_b64 v[36:37], 2, v[5:6]
	;; [unrolled: 4-line block ×3, first 2 shown]
	global_load_dword v48, v[34:35], off
	v_add_co_u32_e32 v34, vcc, s12, v36
	v_add_u32_e32 v5, -6, v2
	v_addc_co_u32_e32 v35, vcc, v8, v37, vcc
	v_lshlrev_b64 v[36:37], 2, v[5:6]
	global_load_dword v5, v[32:33], off
	v_add_co_u32_e32 v32, vcc, s12, v38
	v_addc_co_u32_e32 v33, vcc, v8, v39, vcc
	global_load_dwordx2 v[24:25], v[24:25], off
	v_add_u32_e32 v2, 0x180, v2
	global_load_dword v38, v[34:35], off
	v_add_co_u32_e32 v34, vcc, s12, v36
	v_addc_co_u32_e32 v35, vcc, v8, v37, vcc
	global_load_dword v36, v[32:33], off
	global_load_dword v37, v[34:35], off
	global_load_dword v39, v[26:27], off
	v_cmp_ge_i32_e32 vcc, v0, v11
	s_or_b64 s[0:1], vcc, s[0:1]
	s_waitcnt vmcnt(10)
	v_fmac_f32_e32 v13, v16, v28
	v_fmac_f32_e32 v12, v3, v28
	;; [unrolled: 1-line block ×8, first 2 shown]
	s_waitcnt vmcnt(9)
	v_fmac_f32_e32 v13, v18, v30
	v_fmac_f32_e32 v14, v1, v30
	;; [unrolled: 1-line block ×6, first 2 shown]
	s_waitcnt vmcnt(8)
	v_fmac_f32_e32 v12, v46, v31
	s_waitcnt vmcnt(7)
	v_fmac_f32_e32 v10, v47, v31
	s_waitcnt vmcnt(4)
	v_fmac_f32_e32 v13, v20, v24
	v_fmac_f32_e32 v14, v48, v24
	v_fmac_f32_e32 v12, v5, v24
	s_waitcnt vmcnt(3)
	v_fmac_f32_e32 v10, v38, v24
	v_fmac_f32_e32 v13, v21, v25
	s_waitcnt vmcnt(2)
	v_fmac_f32_e32 v14, v36, v25
	s_waitcnt vmcnt(1)
	;; [unrolled: 2-line block ×3, first 2 shown]
	v_fmac_f32_e32 v10, v39, v25
	s_andn2_b64 exec, exec, s[0:1]
	s_cbranch_execnz .LBB22_15
; %bb.16:
	s_or_b64 exec, exec, s[0:1]
.LBB22_17:
	s_or_b64 exec, exec, s[6:7]
.LBB22_18:
	v_mov_b32_dpp v0, v13 row_shr:1 row_mask:0xf bank_mask:0xf
	v_mov_b32_dpp v2, v14 row_shr:1 row_mask:0xf bank_mask:0xf
	v_mov_b32_dpp v5, v12 row_shr:1 row_mask:0xf bank_mask:0xf
	v_mov_b32_dpp v7, v10 row_shr:1 row_mask:0xf bank_mask:0xf
	v_add_f32_e32 v0, v13, v0
	v_add_f32_e32 v2, v14, v2
	v_add_f32_e32 v5, v12, v5
	v_add_f32_e32 v7, v10, v7
	v_mov_b32_dpp v1, v0 row_shr:2 row_mask:0xf bank_mask:0xf
	v_mov_b32_dpp v3, v2 row_shr:2 row_mask:0xf bank_mask:0xf
	v_mov_b32_dpp v6, v5 row_shr:2 row_mask:0xf bank_mask:0xf
	v_mov_b32_dpp v8, v7 row_shr:2 row_mask:0xf bank_mask:0xf
	v_add_f32_e32 v0, v0, v1
	v_add_f32_e32 v2, v2, v3
	v_add_f32_e32 v5, v5, v6
	v_add_f32_e32 v7, v7, v8
	;; [unrolled: 8-line block ×3, first 2 shown]
	v_mov_b32_dpp v1, v0 row_shr:8 row_mask:0xf bank_mask:0xc
	v_mov_b32_dpp v3, v2 row_shr:8 row_mask:0xf bank_mask:0xc
	;; [unrolled: 1-line block ×4, first 2 shown]
	v_cmp_eq_u32_e32 vcc, 15, v9
	s_and_b64 exec, exec, vcc
	s_cbranch_execz .LBB22_22
; %bb.19:
	s_load_dwordx2 s[0:1], s[4:5], 0x38
	v_add_f32_e32 v0, v0, v1
	v_add_f32_e32 v1, v2, v3
	;; [unrolled: 1-line block ×4, first 2 shown]
	v_cmp_eq_f32_e64 s[4:5], s2, 0
	s_and_b64 vcc, exec, s[4:5]
	v_mul_f32_e32 v0, s16, v0
	v_mul_f32_e32 v1, s16, v1
	v_mul_f32_e32 v2, s16, v2
	v_mul_f32_e32 v3, s16, v3
	v_lshlrev_b32_e32 v4, 2, v4
	s_cbranch_vccz .LBB22_23
; %bb.20:
	v_ashrrev_i32_e32 v5, 31, v4
	v_lshlrev_b64 v[5:6], 2, v[4:5]
	s_waitcnt lgkmcnt(0)
	v_mov_b32_e32 v7, s1
	v_add_co_u32_e32 v5, vcc, s0, v5
	v_addc_co_u32_e32 v6, vcc, v7, v6, vcc
	global_store_dwordx4 v[5:6], v[0:3], off
	s_cbranch_execnz .LBB22_22
.LBB22_21:
	v_ashrrev_i32_e32 v5, 31, v4
	v_lshlrev_b64 v[4:5], 2, v[4:5]
	s_waitcnt lgkmcnt(0)
	v_mov_b32_e32 v6, s1
	v_add_co_u32_e32 v8, vcc, s0, v4
	v_addc_co_u32_e32 v9, vcc, v6, v5, vcc
	global_load_dwordx4 v[4:7], v[8:9], off
	s_waitcnt vmcnt(0)
	v_fmac_f32_e32 v0, s2, v4
	v_fmac_f32_e32 v1, s2, v5
	;; [unrolled: 1-line block ×4, first 2 shown]
	global_store_dwordx4 v[8:9], v[0:3], off
.LBB22_22:
	s_endpgm
.LBB22_23:
	s_branch .LBB22_21
	.section	.rodata,"a",@progbits
	.p2align	6, 0x0
	.amdhsa_kernel _ZN9rocsparseL19gebsrmvn_4xn_kernelILj128ELj6ELj16EfEEvi20rocsparse_direction_NS_24const_host_device_scalarIT2_EEPKiS6_PKS3_S8_S4_PS3_21rocsparse_index_base_b
		.amdhsa_group_segment_fixed_size 0
		.amdhsa_private_segment_fixed_size 0
		.amdhsa_kernarg_size 72
		.amdhsa_user_sgpr_count 6
		.amdhsa_user_sgpr_private_segment_buffer 1
		.amdhsa_user_sgpr_dispatch_ptr 0
		.amdhsa_user_sgpr_queue_ptr 0
		.amdhsa_user_sgpr_kernarg_segment_ptr 1
		.amdhsa_user_sgpr_dispatch_id 0
		.amdhsa_user_sgpr_flat_scratch_init 0
		.amdhsa_user_sgpr_private_segment_size 0
		.amdhsa_uses_dynamic_stack 0
		.amdhsa_system_sgpr_private_segment_wavefront_offset 0
		.amdhsa_system_sgpr_workgroup_id_x 1
		.amdhsa_system_sgpr_workgroup_id_y 0
		.amdhsa_system_sgpr_workgroup_id_z 0
		.amdhsa_system_sgpr_workgroup_info 0
		.amdhsa_system_vgpr_workitem_id 0
		.amdhsa_next_free_vgpr 51
		.amdhsa_next_free_sgpr 20
		.amdhsa_reserve_vcc 1
		.amdhsa_reserve_flat_scratch 0
		.amdhsa_float_round_mode_32 0
		.amdhsa_float_round_mode_16_64 0
		.amdhsa_float_denorm_mode_32 3
		.amdhsa_float_denorm_mode_16_64 3
		.amdhsa_dx10_clamp 1
		.amdhsa_ieee_mode 1
		.amdhsa_fp16_overflow 0
		.amdhsa_exception_fp_ieee_invalid_op 0
		.amdhsa_exception_fp_denorm_src 0
		.amdhsa_exception_fp_ieee_div_zero 0
		.amdhsa_exception_fp_ieee_overflow 0
		.amdhsa_exception_fp_ieee_underflow 0
		.amdhsa_exception_fp_ieee_inexact 0
		.amdhsa_exception_int_div_zero 0
	.end_amdhsa_kernel
	.section	.text._ZN9rocsparseL19gebsrmvn_4xn_kernelILj128ELj6ELj16EfEEvi20rocsparse_direction_NS_24const_host_device_scalarIT2_EEPKiS6_PKS3_S8_S4_PS3_21rocsparse_index_base_b,"axG",@progbits,_ZN9rocsparseL19gebsrmvn_4xn_kernelILj128ELj6ELj16EfEEvi20rocsparse_direction_NS_24const_host_device_scalarIT2_EEPKiS6_PKS3_S8_S4_PS3_21rocsparse_index_base_b,comdat
.Lfunc_end22:
	.size	_ZN9rocsparseL19gebsrmvn_4xn_kernelILj128ELj6ELj16EfEEvi20rocsparse_direction_NS_24const_host_device_scalarIT2_EEPKiS6_PKS3_S8_S4_PS3_21rocsparse_index_base_b, .Lfunc_end22-_ZN9rocsparseL19gebsrmvn_4xn_kernelILj128ELj6ELj16EfEEvi20rocsparse_direction_NS_24const_host_device_scalarIT2_EEPKiS6_PKS3_S8_S4_PS3_21rocsparse_index_base_b
                                        ; -- End function
	.set _ZN9rocsparseL19gebsrmvn_4xn_kernelILj128ELj6ELj16EfEEvi20rocsparse_direction_NS_24const_host_device_scalarIT2_EEPKiS6_PKS3_S8_S4_PS3_21rocsparse_index_base_b.num_vgpr, 51
	.set _ZN9rocsparseL19gebsrmvn_4xn_kernelILj128ELj6ELj16EfEEvi20rocsparse_direction_NS_24const_host_device_scalarIT2_EEPKiS6_PKS3_S8_S4_PS3_21rocsparse_index_base_b.num_agpr, 0
	.set _ZN9rocsparseL19gebsrmvn_4xn_kernelILj128ELj6ELj16EfEEvi20rocsparse_direction_NS_24const_host_device_scalarIT2_EEPKiS6_PKS3_S8_S4_PS3_21rocsparse_index_base_b.numbered_sgpr, 20
	.set _ZN9rocsparseL19gebsrmvn_4xn_kernelILj128ELj6ELj16EfEEvi20rocsparse_direction_NS_24const_host_device_scalarIT2_EEPKiS6_PKS3_S8_S4_PS3_21rocsparse_index_base_b.num_named_barrier, 0
	.set _ZN9rocsparseL19gebsrmvn_4xn_kernelILj128ELj6ELj16EfEEvi20rocsparse_direction_NS_24const_host_device_scalarIT2_EEPKiS6_PKS3_S8_S4_PS3_21rocsparse_index_base_b.private_seg_size, 0
	.set _ZN9rocsparseL19gebsrmvn_4xn_kernelILj128ELj6ELj16EfEEvi20rocsparse_direction_NS_24const_host_device_scalarIT2_EEPKiS6_PKS3_S8_S4_PS3_21rocsparse_index_base_b.uses_vcc, 1
	.set _ZN9rocsparseL19gebsrmvn_4xn_kernelILj128ELj6ELj16EfEEvi20rocsparse_direction_NS_24const_host_device_scalarIT2_EEPKiS6_PKS3_S8_S4_PS3_21rocsparse_index_base_b.uses_flat_scratch, 0
	.set _ZN9rocsparseL19gebsrmvn_4xn_kernelILj128ELj6ELj16EfEEvi20rocsparse_direction_NS_24const_host_device_scalarIT2_EEPKiS6_PKS3_S8_S4_PS3_21rocsparse_index_base_b.has_dyn_sized_stack, 0
	.set _ZN9rocsparseL19gebsrmvn_4xn_kernelILj128ELj6ELj16EfEEvi20rocsparse_direction_NS_24const_host_device_scalarIT2_EEPKiS6_PKS3_S8_S4_PS3_21rocsparse_index_base_b.has_recursion, 0
	.set _ZN9rocsparseL19gebsrmvn_4xn_kernelILj128ELj6ELj16EfEEvi20rocsparse_direction_NS_24const_host_device_scalarIT2_EEPKiS6_PKS3_S8_S4_PS3_21rocsparse_index_base_b.has_indirect_call, 0
	.section	.AMDGPU.csdata,"",@progbits
; Kernel info:
; codeLenInByte = 1948
; TotalNumSgprs: 24
; NumVgprs: 51
; ScratchSize: 0
; MemoryBound: 0
; FloatMode: 240
; IeeeMode: 1
; LDSByteSize: 0 bytes/workgroup (compile time only)
; SGPRBlocks: 2
; VGPRBlocks: 12
; NumSGPRsForWavesPerEU: 24
; NumVGPRsForWavesPerEU: 51
; Occupancy: 4
; WaveLimiterHint : 1
; COMPUTE_PGM_RSRC2:SCRATCH_EN: 0
; COMPUTE_PGM_RSRC2:USER_SGPR: 6
; COMPUTE_PGM_RSRC2:TRAP_HANDLER: 0
; COMPUTE_PGM_RSRC2:TGID_X_EN: 1
; COMPUTE_PGM_RSRC2:TGID_Y_EN: 0
; COMPUTE_PGM_RSRC2:TGID_Z_EN: 0
; COMPUTE_PGM_RSRC2:TIDIG_COMP_CNT: 0
	.section	.text._ZN9rocsparseL19gebsrmvn_4xn_kernelILj128ELj6ELj32EfEEvi20rocsparse_direction_NS_24const_host_device_scalarIT2_EEPKiS6_PKS3_S8_S4_PS3_21rocsparse_index_base_b,"axG",@progbits,_ZN9rocsparseL19gebsrmvn_4xn_kernelILj128ELj6ELj32EfEEvi20rocsparse_direction_NS_24const_host_device_scalarIT2_EEPKiS6_PKS3_S8_S4_PS3_21rocsparse_index_base_b,comdat
	.globl	_ZN9rocsparseL19gebsrmvn_4xn_kernelILj128ELj6ELj32EfEEvi20rocsparse_direction_NS_24const_host_device_scalarIT2_EEPKiS6_PKS3_S8_S4_PS3_21rocsparse_index_base_b ; -- Begin function _ZN9rocsparseL19gebsrmvn_4xn_kernelILj128ELj6ELj32EfEEvi20rocsparse_direction_NS_24const_host_device_scalarIT2_EEPKiS6_PKS3_S8_S4_PS3_21rocsparse_index_base_b
	.p2align	8
	.type	_ZN9rocsparseL19gebsrmvn_4xn_kernelILj128ELj6ELj32EfEEvi20rocsparse_direction_NS_24const_host_device_scalarIT2_EEPKiS6_PKS3_S8_S4_PS3_21rocsparse_index_base_b,@function
_ZN9rocsparseL19gebsrmvn_4xn_kernelILj128ELj6ELj32EfEEvi20rocsparse_direction_NS_24const_host_device_scalarIT2_EEPKiS6_PKS3_S8_S4_PS3_21rocsparse_index_base_b: ; @_ZN9rocsparseL19gebsrmvn_4xn_kernelILj128ELj6ELj32EfEEvi20rocsparse_direction_NS_24const_host_device_scalarIT2_EEPKiS6_PKS3_S8_S4_PS3_21rocsparse_index_base_b
; %bb.0:
	s_load_dwordx2 s[18:19], s[4:5], 0x40
	s_load_dwordx2 s[16:17], s[4:5], 0x8
	;; [unrolled: 1-line block ×3, first 2 shown]
	s_waitcnt lgkmcnt(0)
	s_bitcmp1_b32 s19, 0
	s_cselect_b64 s[8:9], -1, 0
	s_xor_b64 s[0:1], s[8:9], -1
	s_and_b64 vcc, exec, s[8:9]
	s_cbranch_vccnz .LBB23_2
; %bb.1:
	s_load_dword s16, s[16:17], 0x0
.LBB23_2:
	s_andn2_b64 vcc, exec, s[0:1]
	s_cbranch_vccnz .LBB23_4
; %bb.3:
	s_load_dword s2, s[2:3], 0x0
.LBB23_4:
	s_waitcnt lgkmcnt(0)
	v_cmp_eq_f32_e64 s[0:1], s16, 0
	v_cmp_eq_f32_e64 s[8:9], s2, 1.0
	s_and_b64 s[0:1], s[0:1], s[8:9]
	s_and_b64 vcc, exec, s[0:1]
	s_cbranch_vccnz .LBB23_22
; %bb.5:
	s_load_dwordx2 s[0:1], s[4:5], 0x0
	v_lshrrev_b32_e32 v1, 5, v0
	v_lshl_or_b32 v4, s6, 2, v1
	s_waitcnt lgkmcnt(0)
	v_cmp_gt_i32_e32 vcc, s0, v4
	s_and_saveexec_b64 s[6:7], vcc
	s_cbranch_execz .LBB23_22
; %bb.6:
	s_load_dwordx8 s[8:15], s[4:5], 0x10
	v_ashrrev_i32_e32 v5, 31, v4
	v_lshlrev_b64 v[1:2], 2, v[4:5]
	v_and_b32_e32 v9, 31, v0
	s_cmp_lg_u32 s1, 0
	s_waitcnt lgkmcnt(0)
	v_mov_b32_e32 v3, s9
	v_add_co_u32_e32 v1, vcc, s8, v1
	v_addc_co_u32_e32 v2, vcc, v3, v2, vcc
	global_load_dwordx2 v[1:2], v[1:2], off
	s_waitcnt vmcnt(0)
	v_subrev_u32_e32 v0, s18, v1
	v_subrev_u32_e32 v11, s18, v2
	v_add_u32_e32 v0, v0, v9
	v_cmp_lt_i32_e64 s[0:1], v0, v11
	s_cbranch_scc0 .LBB23_12
; %bb.7:
	v_mov_b32_e32 v13, 0
	v_mov_b32_e32 v10, 0
	;; [unrolled: 1-line block ×4, first 2 shown]
	s_and_saveexec_b64 s[6:7], s[0:1]
	s_cbranch_execz .LBB23_11
; %bb.8:
	v_mad_u64_u32 v[1:2], s[8:9], v0, 24, 20
	v_mov_b32_e32 v6, 0
	s_mov_b64 s[8:9], 0
	v_mov_b32_e32 v3, s11
	v_mov_b32_e32 v15, s13
	;; [unrolled: 1-line block ×8, first 2 shown]
.LBB23_9:                               ; =>This Inner Loop Header: Depth=1
	v_ashrrev_i32_e32 v8, 31, v7
	v_lshlrev_b64 v[17:18], 2, v[7:8]
	v_subrev_u32_e32 v5, 20, v1
	v_add_co_u32_e32 v17, vcc, s10, v17
	v_addc_co_u32_e32 v18, vcc, v3, v18, vcc
	global_load_dword v8, v[17:18], off
	v_mov_b32_e32 v2, v6
	v_lshlrev_b64 v[17:18], 2, v[5:6]
	v_lshlrev_b64 v[19:20], 2, v[1:2]
	v_add_co_u32_e32 v27, vcc, s12, v17
	v_add_u32_e32 v5, -12, v1
	v_addc_co_u32_e32 v28, vcc, v15, v18, vcc
	v_lshlrev_b64 v[25:26], 2, v[5:6]
	v_add_co_u32_e32 v41, vcc, s12, v19
	v_mov_b32_e32 v30, v6
	v_addc_co_u32_e32 v42, vcc, v15, v20, vcc
	v_add_co_u32_e32 v25, vcc, s12, v25
	v_addc_co_u32_e32 v26, vcc, v15, v26, vcc
	global_load_dwordx4 v[17:20], v[27:28], off offset:16
	global_load_dwordx4 v[21:24], v[27:28], off
	v_add_u32_e32 v7, 32, v7
	global_load_dwordx4 v[25:28], v[25:26], off
	s_waitcnt vmcnt(3)
	v_subrev_u32_e32 v2, s18, v8
	v_mul_lo_u32 v29, v2, 6
	v_lshlrev_b64 v[30:31], 2, v[29:30]
	v_add_u32_e32 v5, 2, v29
	v_lshlrev_b64 v[32:33], 2, v[5:6]
	v_add_co_u32_e32 v30, vcc, s14, v30
	v_add_u32_e32 v5, -8, v1
	v_addc_co_u32_e32 v31, vcc, v16, v31, vcc
	v_lshlrev_b64 v[34:35], 2, v[5:6]
	global_load_dwordx2 v[43:44], v[30:31], off
	v_add_co_u32_e32 v30, vcc, s14, v32
	v_add_u32_e32 v5, -4, v1
	v_addc_co_u32_e32 v31, vcc, v16, v33, vcc
	v_lshlrev_b64 v[32:33], 2, v[5:6]
	v_add_co_u32_e32 v37, vcc, s12, v34
	v_add_u32_e32 v5, 4, v29
	v_addc_co_u32_e32 v38, vcc, v15, v35, vcc
	v_lshlrev_b64 v[39:40], 2, v[5:6]
	v_add_co_u32_e32 v47, vcc, s12, v32
	global_load_dwordx2 v[45:46], v[30:31], off
	v_addc_co_u32_e32 v48, vcc, v15, v33, vcc
	global_load_dwordx4 v[29:32], v[37:38], off
	global_load_dwordx4 v[33:36], v[47:48], off
	v_add_co_u32_e32 v47, vcc, s14, v39
	v_addc_co_u32_e32 v48, vcc, v16, v40, vcc
	global_load_dwordx2 v[49:50], v[47:48], off
	global_load_dwordx4 v[37:40], v[41:42], off
	v_cmp_ge_i32_e32 vcc, v7, v11
	s_or_b64 s[8:9], vcc, s[8:9]
	v_add_u32_e32 v1, 0x300, v1
	s_waitcnt vmcnt(5)
	v_fmac_f32_e32 v13, v21, v43
	v_fmac_f32_e32 v14, v22, v43
	;; [unrolled: 1-line block ×8, first 2 shown]
	s_waitcnt vmcnt(4)
	v_fmac_f32_e32 v13, v25, v45
	v_fmac_f32_e32 v14, v26, v45
	v_fmac_f32_e32 v12, v27, v45
	v_fmac_f32_e32 v10, v28, v45
	s_waitcnt vmcnt(3)
	v_fmac_f32_e32 v13, v29, v46
	v_fmac_f32_e32 v14, v30, v46
	v_fmac_f32_e32 v12, v31, v46
	v_fmac_f32_e32 v10, v32, v46
	;; [unrolled: 5-line block ×4, first 2 shown]
	s_andn2_b64 exec, exec, s[8:9]
	s_cbranch_execnz .LBB23_9
; %bb.10:
	s_or_b64 exec, exec, s[8:9]
.LBB23_11:
	s_or_b64 exec, exec, s[6:7]
	s_cbranch_execz .LBB23_13
	s_branch .LBB23_18
.LBB23_12:
                                        ; implicit-def: $vgpr13
                                        ; implicit-def: $vgpr10
                                        ; implicit-def: $vgpr12
                                        ; implicit-def: $vgpr14
.LBB23_13:
	v_mov_b32_e32 v13, 0
	v_mov_b32_e32 v10, 0
	;; [unrolled: 1-line block ×4, first 2 shown]
	s_and_saveexec_b64 s[6:7], s[0:1]
	s_cbranch_execz .LBB23_17
; %bb.14:
	v_mad_u64_u32 v[2:3], s[0:1], v0, 24, 23
	v_mov_b32_e32 v6, 0
	s_mov_b64 s[0:1], 0
	v_mov_b32_e32 v7, s11
	v_mov_b32_e32 v8, s13
	;; [unrolled: 1-line block ×7, first 2 shown]
.LBB23_15:                              ; =>This Inner Loop Header: Depth=1
	v_ashrrev_i32_e32 v1, 31, v0
	v_lshlrev_b64 v[20:21], 2, v[0:1]
	v_subrev_u32_e32 v5, 23, v2
	v_add_co_u32_e32 v20, vcc, s10, v20
	v_addc_co_u32_e32 v21, vcc, v7, v21, vcc
	global_load_dword v1, v[20:21], off
	v_lshlrev_b64 v[22:23], 2, v[5:6]
	v_add_u32_e32 v16, -11, v2
	v_mov_b32_e32 v17, v6
	v_lshlrev_b64 v[16:17], 2, v[16:17]
	v_add_co_u32_e32 v30, vcc, s12, v22
	v_add_u32_e32 v18, -5, v2
	v_mov_b32_e32 v19, v6
	v_addc_co_u32_e32 v31, vcc, v8, v23, vcc
	v_lshlrev_b64 v[18:19], 2, v[18:19]
	v_add_co_u32_e32 v34, vcc, s12, v16
	v_mov_b32_e32 v3, v6
	v_addc_co_u32_e32 v35, vcc, v8, v17, vcc
	v_lshlrev_b64 v[26:27], 2, v[2:3]
	v_add_co_u32_e32 v36, vcc, s12, v18
	v_add_u32_e32 v5, -10, v2
	v_addc_co_u32_e32 v37, vcc, v8, v19, vcc
	v_lshlrev_b64 v[28:29], 2, v[5:6]
	v_add_co_u32_e32 v26, vcc, s12, v26
	v_add_u32_e32 v5, -4, v2
	v_addc_co_u32_e32 v27, vcc, v8, v27, vcc
	v_lshlrev_b64 v[32:33], 2, v[5:6]
	v_add_co_u32_e32 v28, vcc, s12, v28
	v_addc_co_u32_e32 v29, vcc, v8, v29, vcc
	v_mov_b32_e32 v25, v6
	global_load_dword v3, v[34:35], off
	global_load_dword v40, v[36:37], off
	global_load_dwordx4 v[16:19], v[30:31], off
	global_load_dwordx4 v[20:23], v[30:31], off offset:16
	v_add_co_u32_e32 v30, vcc, s12, v32
	v_addc_co_u32_e32 v31, vcc, v8, v33, vcc
	global_load_dword v41, v[28:29], off
	global_load_dword v42, v[30:31], off
	v_add_u32_e32 v0, 32, v0
	s_waitcnt vmcnt(6)
	v_subrev_u32_e32 v1, s18, v1
	v_mul_lo_u32 v24, v1, 6
	v_lshlrev_b64 v[28:29], 2, v[24:25]
	v_add_u32_e32 v5, 2, v24
	v_lshlrev_b64 v[30:31], 2, v[5:6]
	v_add_co_u32_e32 v28, vcc, s14, v28
	v_add_u32_e32 v5, -15, v2
	v_addc_co_u32_e32 v29, vcc, v15, v29, vcc
	v_lshlrev_b64 v[32:33], 2, v[5:6]
	v_add_co_u32_e32 v30, vcc, s14, v30
	v_add_u32_e32 v5, -9, v2
	v_addc_co_u32_e32 v31, vcc, v15, v31, vcc
	;; [unrolled: 4-line block ×4, first 2 shown]
	v_lshlrev_b64 v[38:39], 2, v[5:6]
	global_load_dword v1, v[32:33], off
	global_load_dword v43, v[34:35], off
	v_add_co_u32_e32 v32, vcc, s12, v36
	v_add_u32_e32 v5, -8, v2
	v_addc_co_u32_e32 v33, vcc, v8, v37, vcc
	v_lshlrev_b64 v[36:37], 2, v[5:6]
	v_add_co_u32_e32 v34, vcc, s12, v38
	v_add_u32_e32 v5, -2, v2
	v_addc_co_u32_e32 v35, vcc, v8, v39, vcc
	v_lshlrev_b64 v[38:39], 2, v[5:6]
	v_add_u32_e32 v5, 4, v24
	v_add_co_u32_e32 v24, vcc, s12, v36
	v_addc_co_u32_e32 v25, vcc, v8, v37, vcc
	global_load_dword v44, v[32:33], off
	global_load_dword v45, v[34:35], off
	v_lshlrev_b64 v[32:33], 2, v[5:6]
	v_add_co_u32_e32 v34, vcc, s12, v38
	v_add_u32_e32 v5, -13, v2
	v_addc_co_u32_e32 v35, vcc, v8, v39, vcc
	global_load_dwordx2 v[28:29], v[28:29], off
	v_lshlrev_b64 v[36:37], 2, v[5:6]
	global_load_dwordx2 v[30:31], v[30:31], off
	s_nop 0
	global_load_dword v46, v[24:25], off
	global_load_dword v47, v[34:35], off
	v_add_co_u32_e32 v24, vcc, s14, v32
	v_add_u32_e32 v5, -7, v2
	v_addc_co_u32_e32 v25, vcc, v15, v33, vcc
	v_lshlrev_b64 v[32:33], 2, v[5:6]
	v_add_co_u32_e32 v34, vcc, s12, v36
	v_add_u32_e32 v5, -1, v2
	v_addc_co_u32_e32 v35, vcc, v8, v37, vcc
	v_lshlrev_b64 v[36:37], 2, v[5:6]
	;; [unrolled: 4-line block ×3, first 2 shown]
	global_load_dword v48, v[34:35], off
	v_add_co_u32_e32 v34, vcc, s12, v36
	v_add_u32_e32 v5, -6, v2
	v_addc_co_u32_e32 v35, vcc, v8, v37, vcc
	v_lshlrev_b64 v[36:37], 2, v[5:6]
	global_load_dword v5, v[32:33], off
	v_add_co_u32_e32 v32, vcc, s12, v38
	v_addc_co_u32_e32 v33, vcc, v8, v39, vcc
	global_load_dwordx2 v[24:25], v[24:25], off
	v_add_u32_e32 v2, 0x300, v2
	global_load_dword v38, v[34:35], off
	v_add_co_u32_e32 v34, vcc, s12, v36
	v_addc_co_u32_e32 v35, vcc, v8, v37, vcc
	global_load_dword v36, v[32:33], off
	global_load_dword v37, v[34:35], off
	;; [unrolled: 1-line block ×3, first 2 shown]
	v_cmp_ge_i32_e32 vcc, v0, v11
	s_or_b64 s[0:1], vcc, s[0:1]
	s_waitcnt vmcnt(10)
	v_fmac_f32_e32 v13, v16, v28
	v_fmac_f32_e32 v12, v3, v28
	;; [unrolled: 1-line block ×8, first 2 shown]
	s_waitcnt vmcnt(9)
	v_fmac_f32_e32 v13, v18, v30
	v_fmac_f32_e32 v14, v1, v30
	;; [unrolled: 1-line block ×6, first 2 shown]
	s_waitcnt vmcnt(8)
	v_fmac_f32_e32 v12, v46, v31
	s_waitcnt vmcnt(7)
	v_fmac_f32_e32 v10, v47, v31
	;; [unrolled: 2-line block ×3, first 2 shown]
	v_fmac_f32_e32 v14, v48, v24
	v_fmac_f32_e32 v12, v5, v24
	s_waitcnt vmcnt(3)
	v_fmac_f32_e32 v10, v38, v24
	v_fmac_f32_e32 v13, v21, v25
	s_waitcnt vmcnt(2)
	v_fmac_f32_e32 v14, v36, v25
	s_waitcnt vmcnt(1)
	v_fmac_f32_e32 v12, v37, v25
	s_waitcnt vmcnt(0)
	v_fmac_f32_e32 v10, v39, v25
	s_andn2_b64 exec, exec, s[0:1]
	s_cbranch_execnz .LBB23_15
; %bb.16:
	s_or_b64 exec, exec, s[0:1]
.LBB23_17:
	s_or_b64 exec, exec, s[6:7]
.LBB23_18:
	v_mov_b32_dpp v0, v13 row_shr:1 row_mask:0xf bank_mask:0xf
	v_mov_b32_dpp v2, v14 row_shr:1 row_mask:0xf bank_mask:0xf
	v_mov_b32_dpp v5, v12 row_shr:1 row_mask:0xf bank_mask:0xf
	v_mov_b32_dpp v7, v10 row_shr:1 row_mask:0xf bank_mask:0xf
	v_add_f32_e32 v0, v13, v0
	v_add_f32_e32 v2, v14, v2
	v_add_f32_e32 v5, v12, v5
	v_add_f32_e32 v7, v10, v7
	v_mov_b32_dpp v1, v0 row_shr:2 row_mask:0xf bank_mask:0xf
	v_mov_b32_dpp v3, v2 row_shr:2 row_mask:0xf bank_mask:0xf
	v_mov_b32_dpp v6, v5 row_shr:2 row_mask:0xf bank_mask:0xf
	v_mov_b32_dpp v8, v7 row_shr:2 row_mask:0xf bank_mask:0xf
	v_add_f32_e32 v0, v0, v1
	v_add_f32_e32 v2, v2, v3
	v_add_f32_e32 v5, v5, v6
	v_add_f32_e32 v7, v7, v8
	;; [unrolled: 8-line block ×4, first 2 shown]
	v_mov_b32_dpp v1, v0 row_bcast:15 row_mask:0xa bank_mask:0xf
	v_mov_b32_dpp v3, v2 row_bcast:15 row_mask:0xa bank_mask:0xf
	;; [unrolled: 1-line block ×4, first 2 shown]
	v_cmp_eq_u32_e32 vcc, 31, v9
	s_and_b64 exec, exec, vcc
	s_cbranch_execz .LBB23_22
; %bb.19:
	s_load_dwordx2 s[0:1], s[4:5], 0x38
	v_add_f32_e32 v0, v0, v1
	v_add_f32_e32 v1, v2, v3
	;; [unrolled: 1-line block ×4, first 2 shown]
	v_cmp_eq_f32_e64 s[4:5], s2, 0
	s_and_b64 vcc, exec, s[4:5]
	v_mul_f32_e32 v0, s16, v0
	v_mul_f32_e32 v1, s16, v1
	;; [unrolled: 1-line block ×4, first 2 shown]
	v_lshlrev_b32_e32 v4, 2, v4
	s_cbranch_vccz .LBB23_23
; %bb.20:
	v_ashrrev_i32_e32 v5, 31, v4
	v_lshlrev_b64 v[5:6], 2, v[4:5]
	s_waitcnt lgkmcnt(0)
	v_mov_b32_e32 v7, s1
	v_add_co_u32_e32 v5, vcc, s0, v5
	v_addc_co_u32_e32 v6, vcc, v7, v6, vcc
	global_store_dwordx4 v[5:6], v[0:3], off
	s_cbranch_execnz .LBB23_22
.LBB23_21:
	v_ashrrev_i32_e32 v5, 31, v4
	v_lshlrev_b64 v[4:5], 2, v[4:5]
	s_waitcnt lgkmcnt(0)
	v_mov_b32_e32 v6, s1
	v_add_co_u32_e32 v8, vcc, s0, v4
	v_addc_co_u32_e32 v9, vcc, v6, v5, vcc
	global_load_dwordx4 v[4:7], v[8:9], off
	s_waitcnt vmcnt(0)
	v_fmac_f32_e32 v0, s2, v4
	v_fmac_f32_e32 v1, s2, v5
	;; [unrolled: 1-line block ×4, first 2 shown]
	global_store_dwordx4 v[8:9], v[0:3], off
.LBB23_22:
	s_endpgm
.LBB23_23:
	s_branch .LBB23_21
	.section	.rodata,"a",@progbits
	.p2align	6, 0x0
	.amdhsa_kernel _ZN9rocsparseL19gebsrmvn_4xn_kernelILj128ELj6ELj32EfEEvi20rocsparse_direction_NS_24const_host_device_scalarIT2_EEPKiS6_PKS3_S8_S4_PS3_21rocsparse_index_base_b
		.amdhsa_group_segment_fixed_size 0
		.amdhsa_private_segment_fixed_size 0
		.amdhsa_kernarg_size 72
		.amdhsa_user_sgpr_count 6
		.amdhsa_user_sgpr_private_segment_buffer 1
		.amdhsa_user_sgpr_dispatch_ptr 0
		.amdhsa_user_sgpr_queue_ptr 0
		.amdhsa_user_sgpr_kernarg_segment_ptr 1
		.amdhsa_user_sgpr_dispatch_id 0
		.amdhsa_user_sgpr_flat_scratch_init 0
		.amdhsa_user_sgpr_private_segment_size 0
		.amdhsa_uses_dynamic_stack 0
		.amdhsa_system_sgpr_private_segment_wavefront_offset 0
		.amdhsa_system_sgpr_workgroup_id_x 1
		.amdhsa_system_sgpr_workgroup_id_y 0
		.amdhsa_system_sgpr_workgroup_id_z 0
		.amdhsa_system_sgpr_workgroup_info 0
		.amdhsa_system_vgpr_workitem_id 0
		.amdhsa_next_free_vgpr 51
		.amdhsa_next_free_sgpr 20
		.amdhsa_reserve_vcc 1
		.amdhsa_reserve_flat_scratch 0
		.amdhsa_float_round_mode_32 0
		.amdhsa_float_round_mode_16_64 0
		.amdhsa_float_denorm_mode_32 3
		.amdhsa_float_denorm_mode_16_64 3
		.amdhsa_dx10_clamp 1
		.amdhsa_ieee_mode 1
		.amdhsa_fp16_overflow 0
		.amdhsa_exception_fp_ieee_invalid_op 0
		.amdhsa_exception_fp_denorm_src 0
		.amdhsa_exception_fp_ieee_div_zero 0
		.amdhsa_exception_fp_ieee_overflow 0
		.amdhsa_exception_fp_ieee_underflow 0
		.amdhsa_exception_fp_ieee_inexact 0
		.amdhsa_exception_int_div_zero 0
	.end_amdhsa_kernel
	.section	.text._ZN9rocsparseL19gebsrmvn_4xn_kernelILj128ELj6ELj32EfEEvi20rocsparse_direction_NS_24const_host_device_scalarIT2_EEPKiS6_PKS3_S8_S4_PS3_21rocsparse_index_base_b,"axG",@progbits,_ZN9rocsparseL19gebsrmvn_4xn_kernelILj128ELj6ELj32EfEEvi20rocsparse_direction_NS_24const_host_device_scalarIT2_EEPKiS6_PKS3_S8_S4_PS3_21rocsparse_index_base_b,comdat
.Lfunc_end23:
	.size	_ZN9rocsparseL19gebsrmvn_4xn_kernelILj128ELj6ELj32EfEEvi20rocsparse_direction_NS_24const_host_device_scalarIT2_EEPKiS6_PKS3_S8_S4_PS3_21rocsparse_index_base_b, .Lfunc_end23-_ZN9rocsparseL19gebsrmvn_4xn_kernelILj128ELj6ELj32EfEEvi20rocsparse_direction_NS_24const_host_device_scalarIT2_EEPKiS6_PKS3_S8_S4_PS3_21rocsparse_index_base_b
                                        ; -- End function
	.set _ZN9rocsparseL19gebsrmvn_4xn_kernelILj128ELj6ELj32EfEEvi20rocsparse_direction_NS_24const_host_device_scalarIT2_EEPKiS6_PKS3_S8_S4_PS3_21rocsparse_index_base_b.num_vgpr, 51
	.set _ZN9rocsparseL19gebsrmvn_4xn_kernelILj128ELj6ELj32EfEEvi20rocsparse_direction_NS_24const_host_device_scalarIT2_EEPKiS6_PKS3_S8_S4_PS3_21rocsparse_index_base_b.num_agpr, 0
	.set _ZN9rocsparseL19gebsrmvn_4xn_kernelILj128ELj6ELj32EfEEvi20rocsparse_direction_NS_24const_host_device_scalarIT2_EEPKiS6_PKS3_S8_S4_PS3_21rocsparse_index_base_b.numbered_sgpr, 20
	.set _ZN9rocsparseL19gebsrmvn_4xn_kernelILj128ELj6ELj32EfEEvi20rocsparse_direction_NS_24const_host_device_scalarIT2_EEPKiS6_PKS3_S8_S4_PS3_21rocsparse_index_base_b.num_named_barrier, 0
	.set _ZN9rocsparseL19gebsrmvn_4xn_kernelILj128ELj6ELj32EfEEvi20rocsparse_direction_NS_24const_host_device_scalarIT2_EEPKiS6_PKS3_S8_S4_PS3_21rocsparse_index_base_b.private_seg_size, 0
	.set _ZN9rocsparseL19gebsrmvn_4xn_kernelILj128ELj6ELj32EfEEvi20rocsparse_direction_NS_24const_host_device_scalarIT2_EEPKiS6_PKS3_S8_S4_PS3_21rocsparse_index_base_b.uses_vcc, 1
	.set _ZN9rocsparseL19gebsrmvn_4xn_kernelILj128ELj6ELj32EfEEvi20rocsparse_direction_NS_24const_host_device_scalarIT2_EEPKiS6_PKS3_S8_S4_PS3_21rocsparse_index_base_b.uses_flat_scratch, 0
	.set _ZN9rocsparseL19gebsrmvn_4xn_kernelILj128ELj6ELj32EfEEvi20rocsparse_direction_NS_24const_host_device_scalarIT2_EEPKiS6_PKS3_S8_S4_PS3_21rocsparse_index_base_b.has_dyn_sized_stack, 0
	.set _ZN9rocsparseL19gebsrmvn_4xn_kernelILj128ELj6ELj32EfEEvi20rocsparse_direction_NS_24const_host_device_scalarIT2_EEPKiS6_PKS3_S8_S4_PS3_21rocsparse_index_base_b.has_recursion, 0
	.set _ZN9rocsparseL19gebsrmvn_4xn_kernelILj128ELj6ELj32EfEEvi20rocsparse_direction_NS_24const_host_device_scalarIT2_EEPKiS6_PKS3_S8_S4_PS3_21rocsparse_index_base_b.has_indirect_call, 0
	.section	.AMDGPU.csdata,"",@progbits
; Kernel info:
; codeLenInByte = 1996
; TotalNumSgprs: 24
; NumVgprs: 51
; ScratchSize: 0
; MemoryBound: 0
; FloatMode: 240
; IeeeMode: 1
; LDSByteSize: 0 bytes/workgroup (compile time only)
; SGPRBlocks: 2
; VGPRBlocks: 12
; NumSGPRsForWavesPerEU: 24
; NumVGPRsForWavesPerEU: 51
; Occupancy: 4
; WaveLimiterHint : 1
; COMPUTE_PGM_RSRC2:SCRATCH_EN: 0
; COMPUTE_PGM_RSRC2:USER_SGPR: 6
; COMPUTE_PGM_RSRC2:TRAP_HANDLER: 0
; COMPUTE_PGM_RSRC2:TGID_X_EN: 1
; COMPUTE_PGM_RSRC2:TGID_Y_EN: 0
; COMPUTE_PGM_RSRC2:TGID_Z_EN: 0
; COMPUTE_PGM_RSRC2:TIDIG_COMP_CNT: 0
	.section	.text._ZN9rocsparseL19gebsrmvn_4xn_kernelILj128ELj6ELj64EfEEvi20rocsparse_direction_NS_24const_host_device_scalarIT2_EEPKiS6_PKS3_S8_S4_PS3_21rocsparse_index_base_b,"axG",@progbits,_ZN9rocsparseL19gebsrmvn_4xn_kernelILj128ELj6ELj64EfEEvi20rocsparse_direction_NS_24const_host_device_scalarIT2_EEPKiS6_PKS3_S8_S4_PS3_21rocsparse_index_base_b,comdat
	.globl	_ZN9rocsparseL19gebsrmvn_4xn_kernelILj128ELj6ELj64EfEEvi20rocsparse_direction_NS_24const_host_device_scalarIT2_EEPKiS6_PKS3_S8_S4_PS3_21rocsparse_index_base_b ; -- Begin function _ZN9rocsparseL19gebsrmvn_4xn_kernelILj128ELj6ELj64EfEEvi20rocsparse_direction_NS_24const_host_device_scalarIT2_EEPKiS6_PKS3_S8_S4_PS3_21rocsparse_index_base_b
	.p2align	8
	.type	_ZN9rocsparseL19gebsrmvn_4xn_kernelILj128ELj6ELj64EfEEvi20rocsparse_direction_NS_24const_host_device_scalarIT2_EEPKiS6_PKS3_S8_S4_PS3_21rocsparse_index_base_b,@function
_ZN9rocsparseL19gebsrmvn_4xn_kernelILj128ELj6ELj64EfEEvi20rocsparse_direction_NS_24const_host_device_scalarIT2_EEPKiS6_PKS3_S8_S4_PS3_21rocsparse_index_base_b: ; @_ZN9rocsparseL19gebsrmvn_4xn_kernelILj128ELj6ELj64EfEEvi20rocsparse_direction_NS_24const_host_device_scalarIT2_EEPKiS6_PKS3_S8_S4_PS3_21rocsparse_index_base_b
; %bb.0:
	s_load_dwordx2 s[18:19], s[4:5], 0x40
	s_load_dwordx2 s[16:17], s[4:5], 0x8
	;; [unrolled: 1-line block ×3, first 2 shown]
	s_waitcnt lgkmcnt(0)
	s_bitcmp1_b32 s19, 0
	s_cselect_b64 s[8:9], -1, 0
	s_xor_b64 s[0:1], s[8:9], -1
	s_and_b64 vcc, exec, s[8:9]
	s_cbranch_vccnz .LBB24_2
; %bb.1:
	s_load_dword s16, s[16:17], 0x0
.LBB24_2:
	s_andn2_b64 vcc, exec, s[0:1]
	s_cbranch_vccnz .LBB24_4
; %bb.3:
	s_load_dword s2, s[2:3], 0x0
.LBB24_4:
	s_waitcnt lgkmcnt(0)
	v_cmp_eq_f32_e64 s[0:1], s16, 0
	v_cmp_eq_f32_e64 s[8:9], s2, 1.0
	s_and_b64 s[0:1], s[0:1], s[8:9]
	s_and_b64 vcc, exec, s[0:1]
	s_cbranch_vccnz .LBB24_22
; %bb.5:
	s_load_dwordx2 s[0:1], s[4:5], 0x0
	v_lshrrev_b32_e32 v1, 6, v0
	v_lshl_or_b32 v4, s6, 1, v1
	s_waitcnt lgkmcnt(0)
	v_cmp_gt_i32_e32 vcc, s0, v4
	s_and_saveexec_b64 s[6:7], vcc
	s_cbranch_execz .LBB24_22
; %bb.6:
	s_load_dwordx8 s[8:15], s[4:5], 0x10
	v_ashrrev_i32_e32 v5, 31, v4
	v_lshlrev_b64 v[1:2], 2, v[4:5]
	v_and_b32_e32 v9, 63, v0
	s_cmp_lg_u32 s1, 0
	s_waitcnt lgkmcnt(0)
	v_mov_b32_e32 v3, s9
	v_add_co_u32_e32 v1, vcc, s8, v1
	v_addc_co_u32_e32 v2, vcc, v3, v2, vcc
	global_load_dwordx2 v[1:2], v[1:2], off
	s_waitcnt vmcnt(0)
	v_subrev_u32_e32 v0, s18, v1
	v_subrev_u32_e32 v12, s18, v2
	v_add_u32_e32 v0, v0, v9
	v_cmp_lt_i32_e64 s[0:1], v0, v12
	s_cbranch_scc0 .LBB24_12
; %bb.7:
	v_mov_b32_e32 v13, 0
	v_mov_b32_e32 v10, 0
	;; [unrolled: 1-line block ×4, first 2 shown]
	s_and_saveexec_b64 s[6:7], s[0:1]
	s_cbranch_execz .LBB24_11
; %bb.8:
	v_mad_u64_u32 v[1:2], s[8:9], v0, 24, 20
	v_mov_b32_e32 v6, 0
	s_mov_b64 s[8:9], 0
	v_mov_b32_e32 v3, s11
	v_mov_b32_e32 v15, s13
	;; [unrolled: 1-line block ×8, first 2 shown]
.LBB24_9:                               ; =>This Inner Loop Header: Depth=1
	v_ashrrev_i32_e32 v8, 31, v7
	v_lshlrev_b64 v[17:18], 2, v[7:8]
	v_subrev_u32_e32 v5, 20, v1
	v_add_co_u32_e32 v17, vcc, s10, v17
	v_addc_co_u32_e32 v18, vcc, v3, v18, vcc
	global_load_dword v8, v[17:18], off
	v_mov_b32_e32 v2, v6
	v_lshlrev_b64 v[17:18], 2, v[5:6]
	v_lshlrev_b64 v[19:20], 2, v[1:2]
	v_add_co_u32_e32 v27, vcc, s12, v17
	v_add_u32_e32 v5, -12, v1
	v_addc_co_u32_e32 v28, vcc, v15, v18, vcc
	v_lshlrev_b64 v[25:26], 2, v[5:6]
	v_add_co_u32_e32 v41, vcc, s12, v19
	v_mov_b32_e32 v30, v6
	v_addc_co_u32_e32 v42, vcc, v15, v20, vcc
	v_add_co_u32_e32 v25, vcc, s12, v25
	v_addc_co_u32_e32 v26, vcc, v15, v26, vcc
	global_load_dwordx4 v[17:20], v[27:28], off offset:16
	global_load_dwordx4 v[21:24], v[27:28], off
	v_add_u32_e32 v7, 64, v7
	global_load_dwordx4 v[25:28], v[25:26], off
	s_waitcnt vmcnt(3)
	v_subrev_u32_e32 v2, s18, v8
	v_mul_lo_u32 v29, v2, 6
	v_lshlrev_b64 v[30:31], 2, v[29:30]
	v_add_u32_e32 v5, 2, v29
	v_lshlrev_b64 v[32:33], 2, v[5:6]
	v_add_co_u32_e32 v30, vcc, s14, v30
	v_add_u32_e32 v5, -8, v1
	v_addc_co_u32_e32 v31, vcc, v16, v31, vcc
	v_lshlrev_b64 v[34:35], 2, v[5:6]
	global_load_dwordx2 v[43:44], v[30:31], off
	v_add_co_u32_e32 v30, vcc, s14, v32
	v_add_u32_e32 v5, -4, v1
	v_addc_co_u32_e32 v31, vcc, v16, v33, vcc
	v_lshlrev_b64 v[32:33], 2, v[5:6]
	v_add_co_u32_e32 v37, vcc, s12, v34
	v_add_u32_e32 v5, 4, v29
	v_addc_co_u32_e32 v38, vcc, v15, v35, vcc
	v_lshlrev_b64 v[39:40], 2, v[5:6]
	v_add_co_u32_e32 v47, vcc, s12, v32
	global_load_dwordx2 v[45:46], v[30:31], off
	v_addc_co_u32_e32 v48, vcc, v15, v33, vcc
	global_load_dwordx4 v[29:32], v[37:38], off
	global_load_dwordx4 v[33:36], v[47:48], off
	v_add_co_u32_e32 v47, vcc, s14, v39
	v_addc_co_u32_e32 v48, vcc, v16, v40, vcc
	global_load_dwordx2 v[49:50], v[47:48], off
	global_load_dwordx4 v[37:40], v[41:42], off
	v_cmp_ge_i32_e32 vcc, v7, v12
	s_or_b64 s[8:9], vcc, s[8:9]
	v_add_u32_e32 v1, 0x600, v1
	s_waitcnt vmcnt(5)
	v_fmac_f32_e32 v13, v21, v43
	v_fmac_f32_e32 v14, v22, v43
	;; [unrolled: 1-line block ×8, first 2 shown]
	s_waitcnt vmcnt(4)
	v_fmac_f32_e32 v13, v25, v45
	v_fmac_f32_e32 v14, v26, v45
	v_fmac_f32_e32 v11, v27, v45
	v_fmac_f32_e32 v10, v28, v45
	s_waitcnt vmcnt(3)
	v_fmac_f32_e32 v13, v29, v46
	v_fmac_f32_e32 v14, v30, v46
	v_fmac_f32_e32 v11, v31, v46
	v_fmac_f32_e32 v10, v32, v46
	s_waitcnt vmcnt(1)
	v_fmac_f32_e32 v13, v33, v49
	v_fmac_f32_e32 v14, v34, v49
	v_fmac_f32_e32 v11, v35, v49
	v_fmac_f32_e32 v10, v36, v49
	s_waitcnt vmcnt(0)
	v_fmac_f32_e32 v13, v37, v50
	v_fmac_f32_e32 v14, v38, v50
	v_fmac_f32_e32 v11, v39, v50
	v_fmac_f32_e32 v10, v40, v50
	s_andn2_b64 exec, exec, s[8:9]
	s_cbranch_execnz .LBB24_9
; %bb.10:
	s_or_b64 exec, exec, s[8:9]
.LBB24_11:
	s_or_b64 exec, exec, s[6:7]
	s_cbranch_execz .LBB24_13
	s_branch .LBB24_18
.LBB24_12:
                                        ; implicit-def: $vgpr13
                                        ; implicit-def: $vgpr10
                                        ; implicit-def: $vgpr11
                                        ; implicit-def: $vgpr14
.LBB24_13:
	v_mov_b32_e32 v13, 0
	v_mov_b32_e32 v10, 0
	;; [unrolled: 1-line block ×4, first 2 shown]
	s_and_saveexec_b64 s[6:7], s[0:1]
	s_cbranch_execz .LBB24_17
; %bb.14:
	v_mad_u64_u32 v[2:3], s[0:1], v0, 24, 23
	v_mov_b32_e32 v6, 0
	s_mov_b64 s[0:1], 0
	v_mov_b32_e32 v7, s11
	v_mov_b32_e32 v8, s13
	v_mov_b32_e32 v15, s15
	v_mov_b32_e32 v13, 0
	v_mov_b32_e32 v10, 0
	v_mov_b32_e32 v11, 0
	v_mov_b32_e32 v14, 0
.LBB24_15:                              ; =>This Inner Loop Header: Depth=1
	v_ashrrev_i32_e32 v1, 31, v0
	v_lshlrev_b64 v[20:21], 2, v[0:1]
	v_subrev_u32_e32 v5, 23, v2
	v_add_co_u32_e32 v20, vcc, s10, v20
	v_addc_co_u32_e32 v21, vcc, v7, v21, vcc
	global_load_dword v1, v[20:21], off
	v_lshlrev_b64 v[22:23], 2, v[5:6]
	v_add_u32_e32 v16, -11, v2
	v_mov_b32_e32 v17, v6
	v_lshlrev_b64 v[16:17], 2, v[16:17]
	v_add_co_u32_e32 v30, vcc, s12, v22
	v_add_u32_e32 v18, -5, v2
	v_mov_b32_e32 v19, v6
	v_addc_co_u32_e32 v31, vcc, v8, v23, vcc
	v_lshlrev_b64 v[18:19], 2, v[18:19]
	v_add_co_u32_e32 v34, vcc, s12, v16
	v_mov_b32_e32 v3, v6
	v_addc_co_u32_e32 v35, vcc, v8, v17, vcc
	v_lshlrev_b64 v[26:27], 2, v[2:3]
	v_add_co_u32_e32 v36, vcc, s12, v18
	v_add_u32_e32 v5, -10, v2
	v_addc_co_u32_e32 v37, vcc, v8, v19, vcc
	v_lshlrev_b64 v[28:29], 2, v[5:6]
	v_add_co_u32_e32 v26, vcc, s12, v26
	v_add_u32_e32 v5, -4, v2
	v_addc_co_u32_e32 v27, vcc, v8, v27, vcc
	v_lshlrev_b64 v[32:33], 2, v[5:6]
	v_add_co_u32_e32 v28, vcc, s12, v28
	v_addc_co_u32_e32 v29, vcc, v8, v29, vcc
	v_mov_b32_e32 v25, v6
	global_load_dword v3, v[34:35], off
	global_load_dword v40, v[36:37], off
	global_load_dwordx4 v[16:19], v[30:31], off
	global_load_dwordx4 v[20:23], v[30:31], off offset:16
	v_add_co_u32_e32 v30, vcc, s12, v32
	v_addc_co_u32_e32 v31, vcc, v8, v33, vcc
	global_load_dword v41, v[28:29], off
	global_load_dword v42, v[30:31], off
	v_add_u32_e32 v0, 64, v0
	s_waitcnt vmcnt(6)
	v_subrev_u32_e32 v1, s18, v1
	v_mul_lo_u32 v24, v1, 6
	v_lshlrev_b64 v[28:29], 2, v[24:25]
	v_add_u32_e32 v5, 2, v24
	v_lshlrev_b64 v[30:31], 2, v[5:6]
	v_add_co_u32_e32 v28, vcc, s14, v28
	v_add_u32_e32 v5, -15, v2
	v_addc_co_u32_e32 v29, vcc, v15, v29, vcc
	v_lshlrev_b64 v[32:33], 2, v[5:6]
	v_add_co_u32_e32 v30, vcc, s14, v30
	v_add_u32_e32 v5, -9, v2
	v_addc_co_u32_e32 v31, vcc, v15, v31, vcc
	;; [unrolled: 4-line block ×4, first 2 shown]
	v_lshlrev_b64 v[38:39], 2, v[5:6]
	global_load_dword v1, v[32:33], off
	global_load_dword v43, v[34:35], off
	v_add_co_u32_e32 v32, vcc, s12, v36
	v_add_u32_e32 v5, -8, v2
	v_addc_co_u32_e32 v33, vcc, v8, v37, vcc
	v_lshlrev_b64 v[36:37], 2, v[5:6]
	v_add_co_u32_e32 v34, vcc, s12, v38
	v_add_u32_e32 v5, -2, v2
	v_addc_co_u32_e32 v35, vcc, v8, v39, vcc
	v_lshlrev_b64 v[38:39], 2, v[5:6]
	v_add_u32_e32 v5, 4, v24
	v_add_co_u32_e32 v24, vcc, s12, v36
	v_addc_co_u32_e32 v25, vcc, v8, v37, vcc
	global_load_dword v44, v[32:33], off
	global_load_dword v45, v[34:35], off
	v_lshlrev_b64 v[32:33], 2, v[5:6]
	v_add_co_u32_e32 v34, vcc, s12, v38
	v_add_u32_e32 v5, -13, v2
	v_addc_co_u32_e32 v35, vcc, v8, v39, vcc
	global_load_dwordx2 v[28:29], v[28:29], off
	v_lshlrev_b64 v[36:37], 2, v[5:6]
	global_load_dwordx2 v[30:31], v[30:31], off
	s_nop 0
	global_load_dword v46, v[24:25], off
	global_load_dword v47, v[34:35], off
	v_add_co_u32_e32 v24, vcc, s14, v32
	v_add_u32_e32 v5, -7, v2
	v_addc_co_u32_e32 v25, vcc, v15, v33, vcc
	v_lshlrev_b64 v[32:33], 2, v[5:6]
	v_add_co_u32_e32 v34, vcc, s12, v36
	v_add_u32_e32 v5, -1, v2
	v_addc_co_u32_e32 v35, vcc, v8, v37, vcc
	v_lshlrev_b64 v[36:37], 2, v[5:6]
	v_add_co_u32_e32 v32, vcc, s12, v32
	v_add_u32_e32 v5, -12, v2
	v_addc_co_u32_e32 v33, vcc, v8, v33, vcc
	v_lshlrev_b64 v[38:39], 2, v[5:6]
	global_load_dword v48, v[34:35], off
	v_add_co_u32_e32 v34, vcc, s12, v36
	v_add_u32_e32 v5, -6, v2
	v_addc_co_u32_e32 v35, vcc, v8, v37, vcc
	v_lshlrev_b64 v[36:37], 2, v[5:6]
	global_load_dword v5, v[32:33], off
	v_add_co_u32_e32 v32, vcc, s12, v38
	v_addc_co_u32_e32 v33, vcc, v8, v39, vcc
	global_load_dwordx2 v[24:25], v[24:25], off
	v_add_u32_e32 v2, 0x600, v2
	global_load_dword v38, v[34:35], off
	v_add_co_u32_e32 v34, vcc, s12, v36
	v_addc_co_u32_e32 v35, vcc, v8, v37, vcc
	global_load_dword v36, v[32:33], off
	global_load_dword v37, v[34:35], off
	;; [unrolled: 1-line block ×3, first 2 shown]
	v_cmp_ge_i32_e32 vcc, v0, v12
	s_or_b64 s[0:1], vcc, s[0:1]
	s_waitcnt vmcnt(10)
	v_fmac_f32_e32 v13, v16, v28
	v_fmac_f32_e32 v11, v3, v28
	;; [unrolled: 1-line block ×8, first 2 shown]
	s_waitcnt vmcnt(9)
	v_fmac_f32_e32 v13, v18, v30
	v_fmac_f32_e32 v14, v1, v30
	;; [unrolled: 1-line block ×6, first 2 shown]
	s_waitcnt vmcnt(8)
	v_fmac_f32_e32 v11, v46, v31
	s_waitcnt vmcnt(7)
	v_fmac_f32_e32 v10, v47, v31
	;; [unrolled: 2-line block ×3, first 2 shown]
	v_fmac_f32_e32 v14, v48, v24
	v_fmac_f32_e32 v11, v5, v24
	s_waitcnt vmcnt(3)
	v_fmac_f32_e32 v10, v38, v24
	v_fmac_f32_e32 v13, v21, v25
	s_waitcnt vmcnt(2)
	v_fmac_f32_e32 v14, v36, v25
	s_waitcnt vmcnt(1)
	;; [unrolled: 2-line block ×3, first 2 shown]
	v_fmac_f32_e32 v10, v39, v25
	s_andn2_b64 exec, exec, s[0:1]
	s_cbranch_execnz .LBB24_15
; %bb.16:
	s_or_b64 exec, exec, s[0:1]
.LBB24_17:
	s_or_b64 exec, exec, s[6:7]
.LBB24_18:
	v_mov_b32_dpp v0, v13 row_shr:1 row_mask:0xf bank_mask:0xf
	v_mov_b32_dpp v2, v14 row_shr:1 row_mask:0xf bank_mask:0xf
	v_mov_b32_dpp v5, v11 row_shr:1 row_mask:0xf bank_mask:0xf
	v_mov_b32_dpp v7, v10 row_shr:1 row_mask:0xf bank_mask:0xf
	v_add_f32_e32 v0, v13, v0
	v_add_f32_e32 v2, v14, v2
	v_add_f32_e32 v5, v11, v5
	v_add_f32_e32 v7, v10, v7
	v_mov_b32_dpp v1, v0 row_shr:2 row_mask:0xf bank_mask:0xf
	v_mov_b32_dpp v3, v2 row_shr:2 row_mask:0xf bank_mask:0xf
	v_mov_b32_dpp v6, v5 row_shr:2 row_mask:0xf bank_mask:0xf
	v_mov_b32_dpp v8, v7 row_shr:2 row_mask:0xf bank_mask:0xf
	v_add_f32_e32 v0, v0, v1
	v_add_f32_e32 v2, v2, v3
	v_add_f32_e32 v5, v5, v6
	v_add_f32_e32 v7, v7, v8
	v_mov_b32_dpp v1, v0 row_shr:4 row_mask:0xf bank_mask:0xe
	v_mov_b32_dpp v3, v2 row_shr:4 row_mask:0xf bank_mask:0xe
	v_mov_b32_dpp v6, v5 row_shr:4 row_mask:0xf bank_mask:0xe
	v_mov_b32_dpp v8, v7 row_shr:4 row_mask:0xf bank_mask:0xe
	v_add_f32_e32 v0, v0, v1
	v_add_f32_e32 v2, v2, v3
	v_add_f32_e32 v5, v5, v6
	v_add_f32_e32 v7, v7, v8
	v_mov_b32_dpp v1, v0 row_shr:8 row_mask:0xf bank_mask:0xc
	v_mov_b32_dpp v3, v2 row_shr:8 row_mask:0xf bank_mask:0xc
	v_mov_b32_dpp v6, v5 row_shr:8 row_mask:0xf bank_mask:0xc
	v_mov_b32_dpp v8, v7 row_shr:8 row_mask:0xf bank_mask:0xc
	v_add_f32_e32 v0, v0, v1
	v_add_f32_e32 v2, v2, v3
	v_add_f32_e32 v5, v5, v6
	v_add_f32_e32 v7, v7, v8
	v_mov_b32_dpp v1, v0 row_bcast:15 row_mask:0xa bank_mask:0xf
	v_mov_b32_dpp v3, v2 row_bcast:15 row_mask:0xa bank_mask:0xf
	;; [unrolled: 1-line block ×4, first 2 shown]
	v_add_f32_e32 v0, v0, v1
	v_add_f32_e32 v2, v2, v3
	;; [unrolled: 1-line block ×4, first 2 shown]
	v_mov_b32_dpp v1, v0 row_bcast:31 row_mask:0xc bank_mask:0xf
	v_mov_b32_dpp v3, v2 row_bcast:31 row_mask:0xc bank_mask:0xf
	;; [unrolled: 1-line block ×4, first 2 shown]
	v_cmp_eq_u32_e32 vcc, 63, v9
	s_and_b64 exec, exec, vcc
	s_cbranch_execz .LBB24_22
; %bb.19:
	s_load_dwordx2 s[0:1], s[4:5], 0x38
	v_add_f32_e32 v0, v0, v1
	v_add_f32_e32 v1, v2, v3
	;; [unrolled: 1-line block ×4, first 2 shown]
	v_cmp_eq_f32_e64 s[4:5], s2, 0
	s_and_b64 vcc, exec, s[4:5]
	v_mul_f32_e32 v0, s16, v0
	v_mul_f32_e32 v1, s16, v1
	;; [unrolled: 1-line block ×4, first 2 shown]
	v_lshlrev_b32_e32 v4, 2, v4
	s_cbranch_vccz .LBB24_23
; %bb.20:
	v_ashrrev_i32_e32 v5, 31, v4
	v_lshlrev_b64 v[5:6], 2, v[4:5]
	s_waitcnt lgkmcnt(0)
	v_mov_b32_e32 v7, s1
	v_add_co_u32_e32 v5, vcc, s0, v5
	v_addc_co_u32_e32 v6, vcc, v7, v6, vcc
	global_store_dwordx4 v[5:6], v[0:3], off
	s_cbranch_execnz .LBB24_22
.LBB24_21:
	v_ashrrev_i32_e32 v5, 31, v4
	v_lshlrev_b64 v[4:5], 2, v[4:5]
	s_waitcnt lgkmcnt(0)
	v_mov_b32_e32 v6, s1
	v_add_co_u32_e32 v8, vcc, s0, v4
	v_addc_co_u32_e32 v9, vcc, v6, v5, vcc
	global_load_dwordx4 v[4:7], v[8:9], off
	s_waitcnt vmcnt(0)
	v_fmac_f32_e32 v0, s2, v4
	v_fmac_f32_e32 v1, s2, v5
	;; [unrolled: 1-line block ×4, first 2 shown]
	global_store_dwordx4 v[8:9], v[0:3], off
.LBB24_22:
	s_endpgm
.LBB24_23:
	s_branch .LBB24_21
	.section	.rodata,"a",@progbits
	.p2align	6, 0x0
	.amdhsa_kernel _ZN9rocsparseL19gebsrmvn_4xn_kernelILj128ELj6ELj64EfEEvi20rocsparse_direction_NS_24const_host_device_scalarIT2_EEPKiS6_PKS3_S8_S4_PS3_21rocsparse_index_base_b
		.amdhsa_group_segment_fixed_size 0
		.amdhsa_private_segment_fixed_size 0
		.amdhsa_kernarg_size 72
		.amdhsa_user_sgpr_count 6
		.amdhsa_user_sgpr_private_segment_buffer 1
		.amdhsa_user_sgpr_dispatch_ptr 0
		.amdhsa_user_sgpr_queue_ptr 0
		.amdhsa_user_sgpr_kernarg_segment_ptr 1
		.amdhsa_user_sgpr_dispatch_id 0
		.amdhsa_user_sgpr_flat_scratch_init 0
		.amdhsa_user_sgpr_private_segment_size 0
		.amdhsa_uses_dynamic_stack 0
		.amdhsa_system_sgpr_private_segment_wavefront_offset 0
		.amdhsa_system_sgpr_workgroup_id_x 1
		.amdhsa_system_sgpr_workgroup_id_y 0
		.amdhsa_system_sgpr_workgroup_id_z 0
		.amdhsa_system_sgpr_workgroup_info 0
		.amdhsa_system_vgpr_workitem_id 0
		.amdhsa_next_free_vgpr 51
		.amdhsa_next_free_sgpr 20
		.amdhsa_reserve_vcc 1
		.amdhsa_reserve_flat_scratch 0
		.amdhsa_float_round_mode_32 0
		.amdhsa_float_round_mode_16_64 0
		.amdhsa_float_denorm_mode_32 3
		.amdhsa_float_denorm_mode_16_64 3
		.amdhsa_dx10_clamp 1
		.amdhsa_ieee_mode 1
		.amdhsa_fp16_overflow 0
		.amdhsa_exception_fp_ieee_invalid_op 0
		.amdhsa_exception_fp_denorm_src 0
		.amdhsa_exception_fp_ieee_div_zero 0
		.amdhsa_exception_fp_ieee_overflow 0
		.amdhsa_exception_fp_ieee_underflow 0
		.amdhsa_exception_fp_ieee_inexact 0
		.amdhsa_exception_int_div_zero 0
	.end_amdhsa_kernel
	.section	.text._ZN9rocsparseL19gebsrmvn_4xn_kernelILj128ELj6ELj64EfEEvi20rocsparse_direction_NS_24const_host_device_scalarIT2_EEPKiS6_PKS3_S8_S4_PS3_21rocsparse_index_base_b,"axG",@progbits,_ZN9rocsparseL19gebsrmvn_4xn_kernelILj128ELj6ELj64EfEEvi20rocsparse_direction_NS_24const_host_device_scalarIT2_EEPKiS6_PKS3_S8_S4_PS3_21rocsparse_index_base_b,comdat
.Lfunc_end24:
	.size	_ZN9rocsparseL19gebsrmvn_4xn_kernelILj128ELj6ELj64EfEEvi20rocsparse_direction_NS_24const_host_device_scalarIT2_EEPKiS6_PKS3_S8_S4_PS3_21rocsparse_index_base_b, .Lfunc_end24-_ZN9rocsparseL19gebsrmvn_4xn_kernelILj128ELj6ELj64EfEEvi20rocsparse_direction_NS_24const_host_device_scalarIT2_EEPKiS6_PKS3_S8_S4_PS3_21rocsparse_index_base_b
                                        ; -- End function
	.set _ZN9rocsparseL19gebsrmvn_4xn_kernelILj128ELj6ELj64EfEEvi20rocsparse_direction_NS_24const_host_device_scalarIT2_EEPKiS6_PKS3_S8_S4_PS3_21rocsparse_index_base_b.num_vgpr, 51
	.set _ZN9rocsparseL19gebsrmvn_4xn_kernelILj128ELj6ELj64EfEEvi20rocsparse_direction_NS_24const_host_device_scalarIT2_EEPKiS6_PKS3_S8_S4_PS3_21rocsparse_index_base_b.num_agpr, 0
	.set _ZN9rocsparseL19gebsrmvn_4xn_kernelILj128ELj6ELj64EfEEvi20rocsparse_direction_NS_24const_host_device_scalarIT2_EEPKiS6_PKS3_S8_S4_PS3_21rocsparse_index_base_b.numbered_sgpr, 20
	.set _ZN9rocsparseL19gebsrmvn_4xn_kernelILj128ELj6ELj64EfEEvi20rocsparse_direction_NS_24const_host_device_scalarIT2_EEPKiS6_PKS3_S8_S4_PS3_21rocsparse_index_base_b.num_named_barrier, 0
	.set _ZN9rocsparseL19gebsrmvn_4xn_kernelILj128ELj6ELj64EfEEvi20rocsparse_direction_NS_24const_host_device_scalarIT2_EEPKiS6_PKS3_S8_S4_PS3_21rocsparse_index_base_b.private_seg_size, 0
	.set _ZN9rocsparseL19gebsrmvn_4xn_kernelILj128ELj6ELj64EfEEvi20rocsparse_direction_NS_24const_host_device_scalarIT2_EEPKiS6_PKS3_S8_S4_PS3_21rocsparse_index_base_b.uses_vcc, 1
	.set _ZN9rocsparseL19gebsrmvn_4xn_kernelILj128ELj6ELj64EfEEvi20rocsparse_direction_NS_24const_host_device_scalarIT2_EEPKiS6_PKS3_S8_S4_PS3_21rocsparse_index_base_b.uses_flat_scratch, 0
	.set _ZN9rocsparseL19gebsrmvn_4xn_kernelILj128ELj6ELj64EfEEvi20rocsparse_direction_NS_24const_host_device_scalarIT2_EEPKiS6_PKS3_S8_S4_PS3_21rocsparse_index_base_b.has_dyn_sized_stack, 0
	.set _ZN9rocsparseL19gebsrmvn_4xn_kernelILj128ELj6ELj64EfEEvi20rocsparse_direction_NS_24const_host_device_scalarIT2_EEPKiS6_PKS3_S8_S4_PS3_21rocsparse_index_base_b.has_recursion, 0
	.set _ZN9rocsparseL19gebsrmvn_4xn_kernelILj128ELj6ELj64EfEEvi20rocsparse_direction_NS_24const_host_device_scalarIT2_EEPKiS6_PKS3_S8_S4_PS3_21rocsparse_index_base_b.has_indirect_call, 0
	.section	.AMDGPU.csdata,"",@progbits
; Kernel info:
; codeLenInByte = 2044
; TotalNumSgprs: 24
; NumVgprs: 51
; ScratchSize: 0
; MemoryBound: 0
; FloatMode: 240
; IeeeMode: 1
; LDSByteSize: 0 bytes/workgroup (compile time only)
; SGPRBlocks: 2
; VGPRBlocks: 12
; NumSGPRsForWavesPerEU: 24
; NumVGPRsForWavesPerEU: 51
; Occupancy: 4
; WaveLimiterHint : 1
; COMPUTE_PGM_RSRC2:SCRATCH_EN: 0
; COMPUTE_PGM_RSRC2:USER_SGPR: 6
; COMPUTE_PGM_RSRC2:TRAP_HANDLER: 0
; COMPUTE_PGM_RSRC2:TGID_X_EN: 1
; COMPUTE_PGM_RSRC2:TGID_Y_EN: 0
; COMPUTE_PGM_RSRC2:TGID_Z_EN: 0
; COMPUTE_PGM_RSRC2:TIDIG_COMP_CNT: 0
	.section	.text._ZN9rocsparseL19gebsrmvn_4xn_kernelILj128ELj7ELj4EfEEvi20rocsparse_direction_NS_24const_host_device_scalarIT2_EEPKiS6_PKS3_S8_S4_PS3_21rocsparse_index_base_b,"axG",@progbits,_ZN9rocsparseL19gebsrmvn_4xn_kernelILj128ELj7ELj4EfEEvi20rocsparse_direction_NS_24const_host_device_scalarIT2_EEPKiS6_PKS3_S8_S4_PS3_21rocsparse_index_base_b,comdat
	.globl	_ZN9rocsparseL19gebsrmvn_4xn_kernelILj128ELj7ELj4EfEEvi20rocsparse_direction_NS_24const_host_device_scalarIT2_EEPKiS6_PKS3_S8_S4_PS3_21rocsparse_index_base_b ; -- Begin function _ZN9rocsparseL19gebsrmvn_4xn_kernelILj128ELj7ELj4EfEEvi20rocsparse_direction_NS_24const_host_device_scalarIT2_EEPKiS6_PKS3_S8_S4_PS3_21rocsparse_index_base_b
	.p2align	8
	.type	_ZN9rocsparseL19gebsrmvn_4xn_kernelILj128ELj7ELj4EfEEvi20rocsparse_direction_NS_24const_host_device_scalarIT2_EEPKiS6_PKS3_S8_S4_PS3_21rocsparse_index_base_b,@function
_ZN9rocsparseL19gebsrmvn_4xn_kernelILj128ELj7ELj4EfEEvi20rocsparse_direction_NS_24const_host_device_scalarIT2_EEPKiS6_PKS3_S8_S4_PS3_21rocsparse_index_base_b: ; @_ZN9rocsparseL19gebsrmvn_4xn_kernelILj128ELj7ELj4EfEEvi20rocsparse_direction_NS_24const_host_device_scalarIT2_EEPKiS6_PKS3_S8_S4_PS3_21rocsparse_index_base_b
; %bb.0:
	s_load_dwordx2 s[18:19], s[4:5], 0x40
	s_load_dwordx2 s[16:17], s[4:5], 0x8
	;; [unrolled: 1-line block ×3, first 2 shown]
	s_waitcnt lgkmcnt(0)
	s_bitcmp1_b32 s19, 0
	s_cselect_b64 s[8:9], -1, 0
	s_xor_b64 s[0:1], s[8:9], -1
	s_and_b64 vcc, exec, s[8:9]
	s_cbranch_vccnz .LBB25_2
; %bb.1:
	s_load_dword s16, s[16:17], 0x0
.LBB25_2:
	s_andn2_b64 vcc, exec, s[0:1]
	s_cbranch_vccnz .LBB25_4
; %bb.3:
	s_load_dword s2, s[2:3], 0x0
.LBB25_4:
	s_waitcnt lgkmcnt(0)
	v_cmp_eq_f32_e64 s[0:1], s16, 0
	v_cmp_eq_f32_e64 s[8:9], s2, 1.0
	s_and_b64 s[0:1], s[0:1], s[8:9]
	s_and_b64 vcc, exec, s[0:1]
	s_cbranch_vccnz .LBB25_22
; %bb.5:
	s_load_dwordx2 s[0:1], s[4:5], 0x0
	v_lshrrev_b32_e32 v1, 2, v0
	v_lshl_or_b32 v4, s6, 5, v1
	s_waitcnt lgkmcnt(0)
	v_cmp_gt_i32_e32 vcc, s0, v4
	s_and_saveexec_b64 s[6:7], vcc
	s_cbranch_execz .LBB25_22
; %bb.6:
	s_load_dwordx8 s[8:15], s[4:5], 0x10
	v_ashrrev_i32_e32 v5, 31, v4
	v_lshlrev_b64 v[1:2], 2, v[4:5]
	v_and_b32_e32 v7, 3, v0
	s_cmp_lg_u32 s1, 0
	s_waitcnt lgkmcnt(0)
	v_mov_b32_e32 v3, s9
	v_add_co_u32_e32 v1, vcc, s8, v1
	v_addc_co_u32_e32 v2, vcc, v3, v2, vcc
	global_load_dwordx2 v[1:2], v[1:2], off
	s_waitcnt vmcnt(0)
	v_subrev_u32_e32 v0, s18, v1
	v_subrev_u32_e32 v8, s18, v2
	v_add_u32_e32 v0, v0, v7
	v_cmp_lt_i32_e64 s[0:1], v0, v8
	s_cbranch_scc0 .LBB25_12
; %bb.7:
	v_mov_b32_e32 v10, 0
	v_mov_b32_e32 v9, 0
	;; [unrolled: 1-line block ×4, first 2 shown]
	s_and_saveexec_b64 s[6:7], s[0:1]
	s_cbranch_execz .LBB25_11
; %bb.8:
	v_mad_u64_u32 v[1:2], s[8:9], v0, 28, 24
	v_mov_b32_e32 v3, 0
	s_mov_b64 s[8:9], 0
	v_mov_b32_e32 v13, s11
	v_mov_b32_e32 v14, s13
	;; [unrolled: 1-line block ×8, first 2 shown]
.LBB25_9:                               ; =>This Inner Loop Header: Depth=1
	v_ashrrev_i32_e32 v6, 31, v5
	v_lshlrev_b64 v[16:17], 2, v[5:6]
	v_subrev_u32_e32 v2, 24, v1
	v_add_co_u32_e32 v16, vcc, s10, v16
	v_addc_co_u32_e32 v17, vcc, v13, v17, vcc
	v_lshlrev_b64 v[18:19], 2, v[2:3]
	global_load_dword v2, v[16:17], off
	v_mov_b32_e32 v23, v3
	v_add_co_u32_e32 v20, vcc, s12, v18
	v_addc_co_u32_e32 v21, vcc, v14, v19, vcc
	v_add_u32_e32 v5, 4, v5
	s_waitcnt vmcnt(0)
	v_subrev_u32_e32 v2, s18, v2
	v_mul_lo_u32 v22, v2, 7
	v_lshlrev_b64 v[16:17], 2, v[22:23]
	v_add_co_u32_e32 v23, vcc, s14, v16
	v_addc_co_u32_e32 v24, vcc, v15, v17, vcc
	global_load_dword v2, v[23:24], off
	global_load_dwordx4 v[16:19], v[20:21], off
	s_waitcnt vmcnt(0)
	v_fmac_f32_e32 v10, v16, v2
	v_fmac_f32_e32 v12, v17, v2
	;; [unrolled: 1-line block ×4, first 2 shown]
	v_subrev_u32_e32 v2, 20, v1
	v_lshlrev_b64 v[16:17], 2, v[2:3]
	v_add_u32_e32 v2, 1, v22
	v_add_co_u32_e32 v20, vcc, s12, v16
	v_addc_co_u32_e32 v21, vcc, v14, v17, vcc
	v_lshlrev_b64 v[16:17], 2, v[2:3]
	v_add_co_u32_e32 v23, vcc, s14, v16
	v_addc_co_u32_e32 v24, vcc, v15, v17, vcc
	global_load_dword v2, v[23:24], off
	global_load_dwordx4 v[16:19], v[20:21], off
	s_waitcnt vmcnt(0)
	v_fmac_f32_e32 v10, v16, v2
	v_fmac_f32_e32 v12, v17, v2
	v_fmac_f32_e32 v11, v18, v2
	v_fmac_f32_e32 v9, v19, v2
	v_add_u32_e32 v2, -16, v1
	v_lshlrev_b64 v[16:17], 2, v[2:3]
	v_add_u32_e32 v2, 2, v22
	v_add_co_u32_e32 v20, vcc, s12, v16
	v_addc_co_u32_e32 v21, vcc, v14, v17, vcc
	v_lshlrev_b64 v[16:17], 2, v[2:3]
	v_add_co_u32_e32 v23, vcc, s14, v16
	v_addc_co_u32_e32 v24, vcc, v15, v17, vcc
	global_load_dword v2, v[23:24], off
	global_load_dwordx4 v[16:19], v[20:21], off
	s_waitcnt vmcnt(0)
	v_fmac_f32_e32 v10, v16, v2
	v_fmac_f32_e32 v12, v17, v2
	v_fmac_f32_e32 v11, v18, v2
	v_fmac_f32_e32 v9, v19, v2
	v_add_u32_e32 v2, -12, v1
	v_lshlrev_b64 v[16:17], 2, v[2:3]
	v_add_u32_e32 v2, 3, v22
	v_add_co_u32_e32 v20, vcc, s12, v16
	v_addc_co_u32_e32 v21, vcc, v14, v17, vcc
	v_lshlrev_b64 v[16:17], 2, v[2:3]
	v_add_co_u32_e32 v23, vcc, s14, v16
	v_addc_co_u32_e32 v24, vcc, v15, v17, vcc
	global_load_dword v2, v[23:24], off
	global_load_dwordx4 v[16:19], v[20:21], off
	s_waitcnt vmcnt(0)
	v_fmac_f32_e32 v10, v16, v2
	v_fmac_f32_e32 v12, v17, v2
	v_fmac_f32_e32 v11, v18, v2
	v_fmac_f32_e32 v9, v19, v2
	v_add_u32_e32 v2, -8, v1
	v_lshlrev_b64 v[16:17], 2, v[2:3]
	v_add_u32_e32 v2, 4, v22
	v_add_co_u32_e32 v20, vcc, s12, v16
	v_addc_co_u32_e32 v21, vcc, v14, v17, vcc
	v_lshlrev_b64 v[16:17], 2, v[2:3]
	v_add_co_u32_e32 v23, vcc, s14, v16
	v_addc_co_u32_e32 v24, vcc, v15, v17, vcc
	global_load_dword v2, v[23:24], off
	global_load_dwordx4 v[16:19], v[20:21], off
	s_waitcnt vmcnt(0)
	v_fmac_f32_e32 v10, v16, v2
	v_fmac_f32_e32 v12, v17, v2
	v_fmac_f32_e32 v11, v18, v2
	v_fmac_f32_e32 v9, v19, v2
	v_add_u32_e32 v2, -4, v1
	v_lshlrev_b64 v[16:17], 2, v[2:3]
	v_add_u32_e32 v2, 5, v22
	v_add_co_u32_e32 v20, vcc, s12, v16
	v_addc_co_u32_e32 v21, vcc, v14, v17, vcc
	v_lshlrev_b64 v[16:17], 2, v[2:3]
	v_add_co_u32_e32 v23, vcc, s14, v16
	v_addc_co_u32_e32 v24, vcc, v15, v17, vcc
	global_load_dword v2, v[23:24], off
	global_load_dwordx4 v[16:19], v[20:21], off
	s_waitcnt vmcnt(0)
	v_fmac_f32_e32 v10, v16, v2
	v_fmac_f32_e32 v12, v17, v2
	;; [unrolled: 1-line block ×4, first 2 shown]
	v_mov_b32_e32 v2, v3
	v_lshlrev_b64 v[16:17], 2, v[1:2]
	v_add_u32_e32 v2, 6, v22
	v_add_co_u32_e32 v20, vcc, s12, v16
	v_addc_co_u32_e32 v21, vcc, v14, v17, vcc
	v_lshlrev_b64 v[16:17], 2, v[2:3]
	v_add_u32_e32 v1, 0x70, v1
	v_add_co_u32_e32 v22, vcc, s14, v16
	v_addc_co_u32_e32 v23, vcc, v15, v17, vcc
	global_load_dwordx4 v[16:19], v[20:21], off
	global_load_dword v2, v[22:23], off
	v_cmp_ge_i32_e32 vcc, v5, v8
	s_or_b64 s[8:9], vcc, s[8:9]
	s_waitcnt vmcnt(0)
	v_fmac_f32_e32 v10, v16, v2
	v_fmac_f32_e32 v12, v17, v2
	;; [unrolled: 1-line block ×4, first 2 shown]
	s_andn2_b64 exec, exec, s[8:9]
	s_cbranch_execnz .LBB25_9
; %bb.10:
	s_or_b64 exec, exec, s[8:9]
.LBB25_11:
	s_or_b64 exec, exec, s[6:7]
	s_cbranch_execz .LBB25_13
	s_branch .LBB25_18
.LBB25_12:
                                        ; implicit-def: $vgpr10
                                        ; implicit-def: $vgpr9
                                        ; implicit-def: $vgpr11
                                        ; implicit-def: $vgpr12
.LBB25_13:
	v_mov_b32_e32 v10, 0
	v_mov_b32_e32 v9, 0
	;; [unrolled: 1-line block ×4, first 2 shown]
	s_and_saveexec_b64 s[6:7], s[0:1]
	s_cbranch_execz .LBB25_17
; %bb.14:
	v_mad_u64_u32 v[2:3], s[0:1], v0, 28, 27
	v_mov_b32_e32 v6, 0
	s_mov_b64 s[0:1], 0
	v_mov_b32_e32 v13, s11
	v_mov_b32_e32 v14, s13
	;; [unrolled: 1-line block ×7, first 2 shown]
.LBB25_15:                              ; =>This Inner Loop Header: Depth=1
	v_ashrrev_i32_e32 v1, 31, v0
	v_lshlrev_b64 v[16:17], 2, v[0:1]
	v_subrev_u32_e32 v5, 27, v2
	v_add_co_u32_e32 v16, vcc, s10, v16
	v_addc_co_u32_e32 v17, vcc, v13, v17, vcc
	global_load_dword v1, v[16:17], off
	v_lshlrev_b64 v[16:17], 2, v[5:6]
	v_mov_b32_e32 v21, v6
	v_add_co_u32_e32 v16, vcc, s12, v16
	v_subrev_u32_e32 v22, 20, v2
	v_addc_co_u32_e32 v17, vcc, v14, v17, vcc
	v_mov_b32_e32 v23, v6
	global_load_dwordx4 v[16:19], v[16:17], off
	v_add_u32_e32 v24, -13, v2
	v_mov_b32_e32 v25, v6
	v_add_u32_e32 v26, -6, v2
	v_add_u32_e32 v0, 4, v0
	s_waitcnt vmcnt(1)
	v_subrev_u32_e32 v1, s18, v1
	v_mul_lo_u32 v20, v1, 7
	v_lshlrev_b64 v[27:28], 2, v[20:21]
	v_lshlrev_b64 v[21:22], 2, v[22:23]
	v_add_co_u32_e32 v27, vcc, s14, v27
	v_addc_co_u32_e32 v28, vcc, v15, v28, vcc
	v_add_co_u32_e32 v21, vcc, s12, v21
	v_addc_co_u32_e32 v22, vcc, v14, v22, vcc
	global_load_dword v1, v[27:28], off
	global_load_dword v3, v[21:22], off
	v_lshlrev_b64 v[21:22], 2, v[24:25]
	v_mov_b32_e32 v27, v6
	v_add_co_u32_e32 v21, vcc, s12, v21
	v_addc_co_u32_e32 v22, vcc, v14, v22, vcc
	v_add_u32_e32 v5, 1, v20
	s_waitcnt vmcnt(1)
	v_fmac_f32_e32 v10, v16, v1
	s_waitcnt vmcnt(0)
	v_fmac_f32_e32 v12, v3, v1
	global_load_dword v3, v[21:22], off
	v_lshlrev_b64 v[21:22], 2, v[26:27]
	v_add_co_u32_e32 v21, vcc, s12, v21
	v_addc_co_u32_e32 v22, vcc, v14, v22, vcc
	s_waitcnt vmcnt(0)
	v_fmac_f32_e32 v11, v3, v1
	global_load_dword v3, v[21:22], off
	v_lshlrev_b64 v[21:22], 2, v[5:6]
	v_subrev_u32_e32 v5, 19, v2
	v_add_co_u32_e32 v21, vcc, s14, v21
	v_addc_co_u32_e32 v22, vcc, v15, v22, vcc
	s_waitcnt vmcnt(0)
	v_fmac_f32_e32 v9, v3, v1
	global_load_dword v1, v[21:22], off
	s_waitcnt vmcnt(0)
	v_fmac_f32_e32 v10, v17, v1
	v_lshlrev_b64 v[16:17], 2, v[5:6]
	v_add_u32_e32 v5, -12, v2
	v_add_co_u32_e32 v16, vcc, s12, v16
	v_addc_co_u32_e32 v17, vcc, v14, v17, vcc
	global_load_dword v3, v[16:17], off
	v_lshlrev_b64 v[16:17], 2, v[5:6]
	v_add_u32_e32 v5, -5, v2
	v_add_co_u32_e32 v16, vcc, s12, v16
	v_addc_co_u32_e32 v17, vcc, v14, v17, vcc
	s_waitcnt vmcnt(0)
	v_fmac_f32_e32 v12, v3, v1
	global_load_dword v3, v[16:17], off
	v_lshlrev_b64 v[16:17], 2, v[5:6]
	v_add_u32_e32 v5, 2, v20
	v_add_co_u32_e32 v16, vcc, s12, v16
	v_addc_co_u32_e32 v17, vcc, v14, v17, vcc
	s_waitcnt vmcnt(0)
	v_fmac_f32_e32 v11, v3, v1
	global_load_dword v3, v[16:17], off
	v_lshlrev_b64 v[16:17], 2, v[5:6]
	v_subrev_u32_e32 v5, 18, v2
	v_add_co_u32_e32 v16, vcc, s14, v16
	v_addc_co_u32_e32 v17, vcc, v15, v17, vcc
	s_waitcnt vmcnt(0)
	v_fmac_f32_e32 v9, v3, v1
	global_load_dword v1, v[16:17], off
	v_lshlrev_b64 v[16:17], 2, v[5:6]
	v_add_u32_e32 v5, -11, v2
	v_add_co_u32_e32 v16, vcc, s12, v16
	v_addc_co_u32_e32 v17, vcc, v14, v17, vcc
	global_load_dword v3, v[16:17], off
	v_lshlrev_b64 v[16:17], 2, v[5:6]
	v_add_u32_e32 v5, -4, v2
	v_add_co_u32_e32 v16, vcc, s12, v16
	v_addc_co_u32_e32 v17, vcc, v14, v17, vcc
	s_waitcnt vmcnt(1)
	v_fmac_f32_e32 v10, v18, v1
	s_waitcnt vmcnt(0)
	v_fmac_f32_e32 v12, v3, v1
	global_load_dword v3, v[16:17], off
	v_lshlrev_b64 v[16:17], 2, v[5:6]
	v_add_u32_e32 v5, 3, v20
	v_add_co_u32_e32 v16, vcc, s12, v16
	v_addc_co_u32_e32 v17, vcc, v14, v17, vcc
	s_waitcnt vmcnt(0)
	v_fmac_f32_e32 v11, v3, v1
	global_load_dword v3, v[16:17], off
	v_lshlrev_b64 v[16:17], 2, v[5:6]
	v_subrev_u32_e32 v5, 17, v2
	v_add_co_u32_e32 v16, vcc, s14, v16
	v_addc_co_u32_e32 v17, vcc, v15, v17, vcc
	s_waitcnt vmcnt(0)
	v_fmac_f32_e32 v9, v3, v1
	global_load_dword v1, v[16:17], off
	v_lshlrev_b64 v[16:17], 2, v[5:6]
	v_add_u32_e32 v5, -10, v2
	v_add_co_u32_e32 v16, vcc, s12, v16
	v_addc_co_u32_e32 v17, vcc, v14, v17, vcc
	global_load_dword v3, v[16:17], off
	v_lshlrev_b64 v[16:17], 2, v[5:6]
	v_add_u32_e32 v5, -3, v2
	v_add_co_u32_e32 v16, vcc, s12, v16
	v_addc_co_u32_e32 v17, vcc, v14, v17, vcc
	s_waitcnt vmcnt(1)
	v_fmac_f32_e32 v10, v19, v1
	s_waitcnt vmcnt(0)
	v_fmac_f32_e32 v12, v3, v1
	global_load_dword v3, v[16:17], off
	v_lshlrev_b64 v[16:17], 2, v[5:6]
	v_subrev_u32_e32 v5, 23, v2
	v_add_co_u32_e32 v16, vcc, s12, v16
	v_addc_co_u32_e32 v17, vcc, v14, v17, vcc
	s_waitcnt vmcnt(0)
	v_fmac_f32_e32 v11, v3, v1
	global_load_dword v3, v[16:17], off
	v_lshlrev_b64 v[16:17], 2, v[5:6]
	v_add_u32_e32 v5, 4, v20
	v_add_co_u32_e32 v16, vcc, s12, v16
	v_addc_co_u32_e32 v17, vcc, v14, v17, vcc
	s_waitcnt vmcnt(0)
	v_fmac_f32_e32 v9, v3, v1
	global_load_dword v1, v[16:17], off
	v_lshlrev_b64 v[16:17], 2, v[5:6]
	v_add_u32_e32 v5, -16, v2
	v_add_co_u32_e32 v16, vcc, s14, v16
	v_addc_co_u32_e32 v17, vcc, v15, v17, vcc
	global_load_dword v3, v[16:17], off
	v_lshlrev_b64 v[16:17], 2, v[5:6]
	v_add_u32_e32 v5, -9, v2
	v_add_co_u32_e32 v16, vcc, s12, v16
	v_addc_co_u32_e32 v17, vcc, v14, v17, vcc
	s_waitcnt vmcnt(0)
	v_fmac_f32_e32 v10, v1, v3
	global_load_dword v1, v[16:17], off
	v_lshlrev_b64 v[16:17], 2, v[5:6]
	v_add_u32_e32 v5, -2, v2
	v_add_co_u32_e32 v16, vcc, s12, v16
	v_addc_co_u32_e32 v17, vcc, v14, v17, vcc
	s_waitcnt vmcnt(0)
	v_fmac_f32_e32 v12, v1, v3
	global_load_dword v1, v[16:17], off
	v_lshlrev_b64 v[16:17], 2, v[5:6]
	v_subrev_u32_e32 v5, 22, v2
	v_add_co_u32_e32 v16, vcc, s12, v16
	v_addc_co_u32_e32 v17, vcc, v14, v17, vcc
	s_waitcnt vmcnt(0)
	v_fmac_f32_e32 v11, v1, v3
	global_load_dword v1, v[16:17], off
	v_lshlrev_b64 v[16:17], 2, v[5:6]
	v_add_u32_e32 v5, 5, v20
	v_add_co_u32_e32 v16, vcc, s12, v16
	v_addc_co_u32_e32 v17, vcc, v14, v17, vcc
	s_waitcnt vmcnt(0)
	v_fmac_f32_e32 v9, v1, v3
	global_load_dword v1, v[16:17], off
	v_lshlrev_b64 v[16:17], 2, v[5:6]
	v_add_u32_e32 v5, -15, v2
	v_add_co_u32_e32 v16, vcc, s14, v16
	v_addc_co_u32_e32 v17, vcc, v15, v17, vcc
	global_load_dword v3, v[16:17], off
	v_lshlrev_b64 v[16:17], 2, v[5:6]
	v_add_u32_e32 v5, -8, v2
	v_add_co_u32_e32 v16, vcc, s12, v16
	v_addc_co_u32_e32 v17, vcc, v14, v17, vcc
	s_waitcnt vmcnt(0)
	v_fmac_f32_e32 v10, v1, v3
	global_load_dword v1, v[16:17], off
	v_lshlrev_b64 v[16:17], 2, v[5:6]
	v_add_u32_e32 v5, -1, v2
	v_add_co_u32_e32 v16, vcc, s12, v16
	v_addc_co_u32_e32 v17, vcc, v14, v17, vcc
	s_waitcnt vmcnt(0)
	v_fmac_f32_e32 v12, v1, v3
	global_load_dword v1, v[16:17], off
	v_lshlrev_b64 v[16:17], 2, v[5:6]
	v_subrev_u32_e32 v5, 21, v2
	v_add_co_u32_e32 v16, vcc, s12, v16
	v_addc_co_u32_e32 v17, vcc, v14, v17, vcc
	s_waitcnt vmcnt(0)
	v_fmac_f32_e32 v11, v1, v3
	global_load_dword v1, v[16:17], off
	v_lshlrev_b64 v[16:17], 2, v[5:6]
	v_add_u32_e32 v5, 6, v20
	v_add_co_u32_e32 v16, vcc, s12, v16
	v_addc_co_u32_e32 v17, vcc, v14, v17, vcc
	s_waitcnt vmcnt(0)
	v_fmac_f32_e32 v9, v1, v3
	global_load_dword v1, v[16:17], off
	v_lshlrev_b64 v[16:17], 2, v[5:6]
	v_add_u32_e32 v5, -14, v2
	v_add_co_u32_e32 v16, vcc, s14, v16
	v_addc_co_u32_e32 v17, vcc, v15, v17, vcc
	global_load_dword v18, v[16:17], off
	v_lshlrev_b64 v[16:17], 2, v[5:6]
	v_add_u32_e32 v5, -7, v2
	v_add_co_u32_e32 v16, vcc, s12, v16
	v_addc_co_u32_e32 v17, vcc, v14, v17, vcc
	v_mov_b32_e32 v3, v6
	s_waitcnt vmcnt(0)
	v_fmac_f32_e32 v10, v1, v18
	global_load_dword v1, v[16:17], off
	v_lshlrev_b64 v[16:17], 2, v[5:6]
	v_add_co_u32_e32 v16, vcc, s12, v16
	v_addc_co_u32_e32 v17, vcc, v14, v17, vcc
	s_waitcnt vmcnt(0)
	v_fmac_f32_e32 v12, v1, v18
	global_load_dword v1, v[16:17], off
	v_lshlrev_b64 v[16:17], 2, v[2:3]
	v_add_u32_e32 v2, 0x70, v2
	v_add_co_u32_e32 v16, vcc, s12, v16
	v_addc_co_u32_e32 v17, vcc, v14, v17, vcc
	v_cmp_ge_i32_e32 vcc, v0, v8
	s_or_b64 s[0:1], vcc, s[0:1]
	s_waitcnt vmcnt(0)
	v_fmac_f32_e32 v11, v1, v18
	global_load_dword v1, v[16:17], off
	s_waitcnt vmcnt(0)
	v_fmac_f32_e32 v9, v1, v18
	s_andn2_b64 exec, exec, s[0:1]
	s_cbranch_execnz .LBB25_15
; %bb.16:
	s_or_b64 exec, exec, s[0:1]
.LBB25_17:
	s_or_b64 exec, exec, s[6:7]
.LBB25_18:
	v_mov_b32_dpp v0, v10 row_shr:1 row_mask:0xf bank_mask:0xf
	v_mov_b32_dpp v2, v12 row_shr:1 row_mask:0xf bank_mask:0xf
	;; [unrolled: 1-line block ×4, first 2 shown]
	v_add_f32_e32 v0, v10, v0
	v_add_f32_e32 v2, v12, v2
	;; [unrolled: 1-line block ×4, first 2 shown]
	v_mov_b32_dpp v1, v0 row_shr:2 row_mask:0xf bank_mask:0xf
	v_mov_b32_dpp v3, v2 row_shr:2 row_mask:0xf bank_mask:0xf
	;; [unrolled: 1-line block ×4, first 2 shown]
	v_cmp_eq_u32_e32 vcc, 3, v7
	s_and_b64 exec, exec, vcc
	s_cbranch_execz .LBB25_22
; %bb.19:
	s_load_dwordx2 s[0:1], s[4:5], 0x38
	v_add_f32_e32 v0, v0, v1
	v_add_f32_e32 v1, v2, v3
	;; [unrolled: 1-line block ×4, first 2 shown]
	v_cmp_eq_f32_e64 s[4:5], s2, 0
	s_and_b64 vcc, exec, s[4:5]
	v_mul_f32_e32 v0, s16, v0
	v_mul_f32_e32 v1, s16, v1
	;; [unrolled: 1-line block ×4, first 2 shown]
	v_lshlrev_b32_e32 v4, 2, v4
	s_cbranch_vccz .LBB25_23
; %bb.20:
	v_ashrrev_i32_e32 v5, 31, v4
	v_lshlrev_b64 v[5:6], 2, v[4:5]
	s_waitcnt lgkmcnt(0)
	v_mov_b32_e32 v7, s1
	v_add_co_u32_e32 v5, vcc, s0, v5
	v_addc_co_u32_e32 v6, vcc, v7, v6, vcc
	global_store_dwordx4 v[5:6], v[0:3], off
	s_cbranch_execnz .LBB25_22
.LBB25_21:
	v_ashrrev_i32_e32 v5, 31, v4
	v_lshlrev_b64 v[4:5], 2, v[4:5]
	s_waitcnt lgkmcnt(0)
	v_mov_b32_e32 v6, s1
	v_add_co_u32_e32 v8, vcc, s0, v4
	v_addc_co_u32_e32 v9, vcc, v6, v5, vcc
	global_load_dwordx4 v[4:7], v[8:9], off
	s_waitcnt vmcnt(0)
	v_fmac_f32_e32 v0, s2, v4
	v_fmac_f32_e32 v1, s2, v5
	;; [unrolled: 1-line block ×4, first 2 shown]
	global_store_dwordx4 v[8:9], v[0:3], off
.LBB25_22:
	s_endpgm
.LBB25_23:
	s_branch .LBB25_21
	.section	.rodata,"a",@progbits
	.p2align	6, 0x0
	.amdhsa_kernel _ZN9rocsparseL19gebsrmvn_4xn_kernelILj128ELj7ELj4EfEEvi20rocsparse_direction_NS_24const_host_device_scalarIT2_EEPKiS6_PKS3_S8_S4_PS3_21rocsparse_index_base_b
		.amdhsa_group_segment_fixed_size 0
		.amdhsa_private_segment_fixed_size 0
		.amdhsa_kernarg_size 72
		.amdhsa_user_sgpr_count 6
		.amdhsa_user_sgpr_private_segment_buffer 1
		.amdhsa_user_sgpr_dispatch_ptr 0
		.amdhsa_user_sgpr_queue_ptr 0
		.amdhsa_user_sgpr_kernarg_segment_ptr 1
		.amdhsa_user_sgpr_dispatch_id 0
		.amdhsa_user_sgpr_flat_scratch_init 0
		.amdhsa_user_sgpr_private_segment_size 0
		.amdhsa_uses_dynamic_stack 0
		.amdhsa_system_sgpr_private_segment_wavefront_offset 0
		.amdhsa_system_sgpr_workgroup_id_x 1
		.amdhsa_system_sgpr_workgroup_id_y 0
		.amdhsa_system_sgpr_workgroup_id_z 0
		.amdhsa_system_sgpr_workgroup_info 0
		.amdhsa_system_vgpr_workitem_id 0
		.amdhsa_next_free_vgpr 29
		.amdhsa_next_free_sgpr 20
		.amdhsa_reserve_vcc 1
		.amdhsa_reserve_flat_scratch 0
		.amdhsa_float_round_mode_32 0
		.amdhsa_float_round_mode_16_64 0
		.amdhsa_float_denorm_mode_32 3
		.amdhsa_float_denorm_mode_16_64 3
		.amdhsa_dx10_clamp 1
		.amdhsa_ieee_mode 1
		.amdhsa_fp16_overflow 0
		.amdhsa_exception_fp_ieee_invalid_op 0
		.amdhsa_exception_fp_denorm_src 0
		.amdhsa_exception_fp_ieee_div_zero 0
		.amdhsa_exception_fp_ieee_overflow 0
		.amdhsa_exception_fp_ieee_underflow 0
		.amdhsa_exception_fp_ieee_inexact 0
		.amdhsa_exception_int_div_zero 0
	.end_amdhsa_kernel
	.section	.text._ZN9rocsparseL19gebsrmvn_4xn_kernelILj128ELj7ELj4EfEEvi20rocsparse_direction_NS_24const_host_device_scalarIT2_EEPKiS6_PKS3_S8_S4_PS3_21rocsparse_index_base_b,"axG",@progbits,_ZN9rocsparseL19gebsrmvn_4xn_kernelILj128ELj7ELj4EfEEvi20rocsparse_direction_NS_24const_host_device_scalarIT2_EEPKiS6_PKS3_S8_S4_PS3_21rocsparse_index_base_b,comdat
.Lfunc_end25:
	.size	_ZN9rocsparseL19gebsrmvn_4xn_kernelILj128ELj7ELj4EfEEvi20rocsparse_direction_NS_24const_host_device_scalarIT2_EEPKiS6_PKS3_S8_S4_PS3_21rocsparse_index_base_b, .Lfunc_end25-_ZN9rocsparseL19gebsrmvn_4xn_kernelILj128ELj7ELj4EfEEvi20rocsparse_direction_NS_24const_host_device_scalarIT2_EEPKiS6_PKS3_S8_S4_PS3_21rocsparse_index_base_b
                                        ; -- End function
	.set _ZN9rocsparseL19gebsrmvn_4xn_kernelILj128ELj7ELj4EfEEvi20rocsparse_direction_NS_24const_host_device_scalarIT2_EEPKiS6_PKS3_S8_S4_PS3_21rocsparse_index_base_b.num_vgpr, 29
	.set _ZN9rocsparseL19gebsrmvn_4xn_kernelILj128ELj7ELj4EfEEvi20rocsparse_direction_NS_24const_host_device_scalarIT2_EEPKiS6_PKS3_S8_S4_PS3_21rocsparse_index_base_b.num_agpr, 0
	.set _ZN9rocsparseL19gebsrmvn_4xn_kernelILj128ELj7ELj4EfEEvi20rocsparse_direction_NS_24const_host_device_scalarIT2_EEPKiS6_PKS3_S8_S4_PS3_21rocsparse_index_base_b.numbered_sgpr, 20
	.set _ZN9rocsparseL19gebsrmvn_4xn_kernelILj128ELj7ELj4EfEEvi20rocsparse_direction_NS_24const_host_device_scalarIT2_EEPKiS6_PKS3_S8_S4_PS3_21rocsparse_index_base_b.num_named_barrier, 0
	.set _ZN9rocsparseL19gebsrmvn_4xn_kernelILj128ELj7ELj4EfEEvi20rocsparse_direction_NS_24const_host_device_scalarIT2_EEPKiS6_PKS3_S8_S4_PS3_21rocsparse_index_base_b.private_seg_size, 0
	.set _ZN9rocsparseL19gebsrmvn_4xn_kernelILj128ELj7ELj4EfEEvi20rocsparse_direction_NS_24const_host_device_scalarIT2_EEPKiS6_PKS3_S8_S4_PS3_21rocsparse_index_base_b.uses_vcc, 1
	.set _ZN9rocsparseL19gebsrmvn_4xn_kernelILj128ELj7ELj4EfEEvi20rocsparse_direction_NS_24const_host_device_scalarIT2_EEPKiS6_PKS3_S8_S4_PS3_21rocsparse_index_base_b.uses_flat_scratch, 0
	.set _ZN9rocsparseL19gebsrmvn_4xn_kernelILj128ELj7ELj4EfEEvi20rocsparse_direction_NS_24const_host_device_scalarIT2_EEPKiS6_PKS3_S8_S4_PS3_21rocsparse_index_base_b.has_dyn_sized_stack, 0
	.set _ZN9rocsparseL19gebsrmvn_4xn_kernelILj128ELj7ELj4EfEEvi20rocsparse_direction_NS_24const_host_device_scalarIT2_EEPKiS6_PKS3_S8_S4_PS3_21rocsparse_index_base_b.has_recursion, 0
	.set _ZN9rocsparseL19gebsrmvn_4xn_kernelILj128ELj7ELj4EfEEvi20rocsparse_direction_NS_24const_host_device_scalarIT2_EEPKiS6_PKS3_S8_S4_PS3_21rocsparse_index_base_b.has_indirect_call, 0
	.section	.AMDGPU.csdata,"",@progbits
; Kernel info:
; codeLenInByte = 2456
; TotalNumSgprs: 24
; NumVgprs: 29
; ScratchSize: 0
; MemoryBound: 0
; FloatMode: 240
; IeeeMode: 1
; LDSByteSize: 0 bytes/workgroup (compile time only)
; SGPRBlocks: 2
; VGPRBlocks: 7
; NumSGPRsForWavesPerEU: 24
; NumVGPRsForWavesPerEU: 29
; Occupancy: 8
; WaveLimiterHint : 1
; COMPUTE_PGM_RSRC2:SCRATCH_EN: 0
; COMPUTE_PGM_RSRC2:USER_SGPR: 6
; COMPUTE_PGM_RSRC2:TRAP_HANDLER: 0
; COMPUTE_PGM_RSRC2:TGID_X_EN: 1
; COMPUTE_PGM_RSRC2:TGID_Y_EN: 0
; COMPUTE_PGM_RSRC2:TGID_Z_EN: 0
; COMPUTE_PGM_RSRC2:TIDIG_COMP_CNT: 0
	.section	.text._ZN9rocsparseL19gebsrmvn_4xn_kernelILj128ELj7ELj8EfEEvi20rocsparse_direction_NS_24const_host_device_scalarIT2_EEPKiS6_PKS3_S8_S4_PS3_21rocsparse_index_base_b,"axG",@progbits,_ZN9rocsparseL19gebsrmvn_4xn_kernelILj128ELj7ELj8EfEEvi20rocsparse_direction_NS_24const_host_device_scalarIT2_EEPKiS6_PKS3_S8_S4_PS3_21rocsparse_index_base_b,comdat
	.globl	_ZN9rocsparseL19gebsrmvn_4xn_kernelILj128ELj7ELj8EfEEvi20rocsparse_direction_NS_24const_host_device_scalarIT2_EEPKiS6_PKS3_S8_S4_PS3_21rocsparse_index_base_b ; -- Begin function _ZN9rocsparseL19gebsrmvn_4xn_kernelILj128ELj7ELj8EfEEvi20rocsparse_direction_NS_24const_host_device_scalarIT2_EEPKiS6_PKS3_S8_S4_PS3_21rocsparse_index_base_b
	.p2align	8
	.type	_ZN9rocsparseL19gebsrmvn_4xn_kernelILj128ELj7ELj8EfEEvi20rocsparse_direction_NS_24const_host_device_scalarIT2_EEPKiS6_PKS3_S8_S4_PS3_21rocsparse_index_base_b,@function
_ZN9rocsparseL19gebsrmvn_4xn_kernelILj128ELj7ELj8EfEEvi20rocsparse_direction_NS_24const_host_device_scalarIT2_EEPKiS6_PKS3_S8_S4_PS3_21rocsparse_index_base_b: ; @_ZN9rocsparseL19gebsrmvn_4xn_kernelILj128ELj7ELj8EfEEvi20rocsparse_direction_NS_24const_host_device_scalarIT2_EEPKiS6_PKS3_S8_S4_PS3_21rocsparse_index_base_b
; %bb.0:
	s_load_dwordx2 s[18:19], s[4:5], 0x40
	s_load_dwordx2 s[16:17], s[4:5], 0x8
	;; [unrolled: 1-line block ×3, first 2 shown]
	s_waitcnt lgkmcnt(0)
	s_bitcmp1_b32 s19, 0
	s_cselect_b64 s[8:9], -1, 0
	s_xor_b64 s[0:1], s[8:9], -1
	s_and_b64 vcc, exec, s[8:9]
	s_cbranch_vccnz .LBB26_2
; %bb.1:
	s_load_dword s16, s[16:17], 0x0
.LBB26_2:
	s_andn2_b64 vcc, exec, s[0:1]
	s_cbranch_vccnz .LBB26_4
; %bb.3:
	s_load_dword s2, s[2:3], 0x0
.LBB26_4:
	s_waitcnt lgkmcnt(0)
	v_cmp_eq_f32_e64 s[0:1], s16, 0
	v_cmp_eq_f32_e64 s[8:9], s2, 1.0
	s_and_b64 s[0:1], s[0:1], s[8:9]
	s_and_b64 vcc, exec, s[0:1]
	s_cbranch_vccnz .LBB26_22
; %bb.5:
	s_load_dwordx2 s[0:1], s[4:5], 0x0
	v_lshrrev_b32_e32 v1, 3, v0
	v_lshl_or_b32 v4, s6, 4, v1
	s_waitcnt lgkmcnt(0)
	v_cmp_gt_i32_e32 vcc, s0, v4
	s_and_saveexec_b64 s[6:7], vcc
	s_cbranch_execz .LBB26_22
; %bb.6:
	s_load_dwordx8 s[8:15], s[4:5], 0x10
	v_ashrrev_i32_e32 v5, 31, v4
	v_lshlrev_b64 v[1:2], 2, v[4:5]
	v_and_b32_e32 v7, 7, v0
	s_cmp_lg_u32 s1, 0
	s_waitcnt lgkmcnt(0)
	v_mov_b32_e32 v3, s9
	v_add_co_u32_e32 v1, vcc, s8, v1
	v_addc_co_u32_e32 v2, vcc, v3, v2, vcc
	global_load_dwordx2 v[1:2], v[1:2], off
	s_waitcnt vmcnt(0)
	v_subrev_u32_e32 v0, s18, v1
	v_subrev_u32_e32 v9, s18, v2
	v_add_u32_e32 v0, v0, v7
	v_cmp_lt_i32_e64 s[0:1], v0, v9
	s_cbranch_scc0 .LBB26_12
; %bb.7:
	v_mov_b32_e32 v10, 0
	v_mov_b32_e32 v8, 0
	;; [unrolled: 1-line block ×4, first 2 shown]
	s_and_saveexec_b64 s[6:7], s[0:1]
	s_cbranch_execz .LBB26_11
; %bb.8:
	v_mad_u64_u32 v[1:2], s[8:9], v0, 28, 24
	v_mov_b32_e32 v3, 0
	s_mov_b64 s[8:9], 0
	v_mov_b32_e32 v13, s11
	v_mov_b32_e32 v14, s13
	;; [unrolled: 1-line block ×8, first 2 shown]
.LBB26_9:                               ; =>This Inner Loop Header: Depth=1
	v_ashrrev_i32_e32 v6, 31, v5
	v_lshlrev_b64 v[16:17], 2, v[5:6]
	v_subrev_u32_e32 v2, 24, v1
	v_add_co_u32_e32 v16, vcc, s10, v16
	v_addc_co_u32_e32 v17, vcc, v13, v17, vcc
	v_lshlrev_b64 v[18:19], 2, v[2:3]
	global_load_dword v2, v[16:17], off
	v_mov_b32_e32 v23, v3
	v_add_co_u32_e32 v20, vcc, s12, v18
	v_addc_co_u32_e32 v21, vcc, v14, v19, vcc
	v_add_u32_e32 v5, 8, v5
	s_waitcnt vmcnt(0)
	v_subrev_u32_e32 v2, s18, v2
	v_mul_lo_u32 v22, v2, 7
	v_lshlrev_b64 v[16:17], 2, v[22:23]
	v_add_co_u32_e32 v23, vcc, s14, v16
	v_addc_co_u32_e32 v24, vcc, v15, v17, vcc
	global_load_dword v2, v[23:24], off
	global_load_dwordx4 v[16:19], v[20:21], off
	s_waitcnt vmcnt(0)
	v_fmac_f32_e32 v10, v16, v2
	v_fmac_f32_e32 v12, v17, v2
	v_fmac_f32_e32 v11, v18, v2
	v_fmac_f32_e32 v8, v19, v2
	v_subrev_u32_e32 v2, 20, v1
	v_lshlrev_b64 v[16:17], 2, v[2:3]
	v_add_u32_e32 v2, 1, v22
	v_add_co_u32_e32 v20, vcc, s12, v16
	v_addc_co_u32_e32 v21, vcc, v14, v17, vcc
	v_lshlrev_b64 v[16:17], 2, v[2:3]
	v_add_co_u32_e32 v23, vcc, s14, v16
	v_addc_co_u32_e32 v24, vcc, v15, v17, vcc
	global_load_dword v2, v[23:24], off
	global_load_dwordx4 v[16:19], v[20:21], off
	s_waitcnt vmcnt(0)
	v_fmac_f32_e32 v10, v16, v2
	v_fmac_f32_e32 v12, v17, v2
	v_fmac_f32_e32 v11, v18, v2
	v_fmac_f32_e32 v8, v19, v2
	v_add_u32_e32 v2, -16, v1
	v_lshlrev_b64 v[16:17], 2, v[2:3]
	v_add_u32_e32 v2, 2, v22
	v_add_co_u32_e32 v20, vcc, s12, v16
	v_addc_co_u32_e32 v21, vcc, v14, v17, vcc
	v_lshlrev_b64 v[16:17], 2, v[2:3]
	v_add_co_u32_e32 v23, vcc, s14, v16
	v_addc_co_u32_e32 v24, vcc, v15, v17, vcc
	global_load_dword v2, v[23:24], off
	global_load_dwordx4 v[16:19], v[20:21], off
	s_waitcnt vmcnt(0)
	v_fmac_f32_e32 v10, v16, v2
	v_fmac_f32_e32 v12, v17, v2
	v_fmac_f32_e32 v11, v18, v2
	v_fmac_f32_e32 v8, v19, v2
	v_add_u32_e32 v2, -12, v1
	;; [unrolled: 15-line block ×4, first 2 shown]
	v_lshlrev_b64 v[16:17], 2, v[2:3]
	v_add_u32_e32 v2, 5, v22
	v_add_co_u32_e32 v20, vcc, s12, v16
	v_addc_co_u32_e32 v21, vcc, v14, v17, vcc
	v_lshlrev_b64 v[16:17], 2, v[2:3]
	v_add_co_u32_e32 v23, vcc, s14, v16
	v_addc_co_u32_e32 v24, vcc, v15, v17, vcc
	global_load_dword v2, v[23:24], off
	global_load_dwordx4 v[16:19], v[20:21], off
	s_waitcnt vmcnt(0)
	v_fmac_f32_e32 v10, v16, v2
	v_fmac_f32_e32 v12, v17, v2
	;; [unrolled: 1-line block ×4, first 2 shown]
	v_mov_b32_e32 v2, v3
	v_lshlrev_b64 v[16:17], 2, v[1:2]
	v_add_u32_e32 v2, 6, v22
	v_add_co_u32_e32 v20, vcc, s12, v16
	v_addc_co_u32_e32 v21, vcc, v14, v17, vcc
	v_lshlrev_b64 v[16:17], 2, v[2:3]
	v_add_u32_e32 v1, 0xe0, v1
	v_add_co_u32_e32 v22, vcc, s14, v16
	v_addc_co_u32_e32 v23, vcc, v15, v17, vcc
	global_load_dwordx4 v[16:19], v[20:21], off
	global_load_dword v2, v[22:23], off
	v_cmp_ge_i32_e32 vcc, v5, v9
	s_or_b64 s[8:9], vcc, s[8:9]
	s_waitcnt vmcnt(0)
	v_fmac_f32_e32 v10, v16, v2
	v_fmac_f32_e32 v12, v17, v2
	;; [unrolled: 1-line block ×4, first 2 shown]
	s_andn2_b64 exec, exec, s[8:9]
	s_cbranch_execnz .LBB26_9
; %bb.10:
	s_or_b64 exec, exec, s[8:9]
.LBB26_11:
	s_or_b64 exec, exec, s[6:7]
	s_cbranch_execz .LBB26_13
	s_branch .LBB26_18
.LBB26_12:
                                        ; implicit-def: $vgpr10
                                        ; implicit-def: $vgpr8
                                        ; implicit-def: $vgpr11
                                        ; implicit-def: $vgpr12
.LBB26_13:
	v_mov_b32_e32 v10, 0
	v_mov_b32_e32 v8, 0
	;; [unrolled: 1-line block ×4, first 2 shown]
	s_and_saveexec_b64 s[6:7], s[0:1]
	s_cbranch_execz .LBB26_17
; %bb.14:
	v_mad_u64_u32 v[2:3], s[0:1], v0, 28, 27
	v_mov_b32_e32 v6, 0
	s_mov_b64 s[0:1], 0
	v_mov_b32_e32 v13, s11
	v_mov_b32_e32 v14, s13
	;; [unrolled: 1-line block ×7, first 2 shown]
.LBB26_15:                              ; =>This Inner Loop Header: Depth=1
	v_ashrrev_i32_e32 v1, 31, v0
	v_lshlrev_b64 v[16:17], 2, v[0:1]
	v_subrev_u32_e32 v5, 27, v2
	v_add_co_u32_e32 v16, vcc, s10, v16
	v_addc_co_u32_e32 v17, vcc, v13, v17, vcc
	global_load_dword v1, v[16:17], off
	v_lshlrev_b64 v[16:17], 2, v[5:6]
	v_mov_b32_e32 v21, v6
	v_add_co_u32_e32 v16, vcc, s12, v16
	v_subrev_u32_e32 v22, 20, v2
	v_addc_co_u32_e32 v17, vcc, v14, v17, vcc
	v_mov_b32_e32 v23, v6
	global_load_dwordx4 v[16:19], v[16:17], off
	v_add_u32_e32 v24, -13, v2
	v_mov_b32_e32 v25, v6
	v_add_u32_e32 v26, -6, v2
	v_add_u32_e32 v0, 8, v0
	s_waitcnt vmcnt(1)
	v_subrev_u32_e32 v1, s18, v1
	v_mul_lo_u32 v20, v1, 7
	v_lshlrev_b64 v[27:28], 2, v[20:21]
	v_lshlrev_b64 v[21:22], 2, v[22:23]
	v_add_co_u32_e32 v27, vcc, s14, v27
	v_addc_co_u32_e32 v28, vcc, v15, v28, vcc
	v_add_co_u32_e32 v21, vcc, s12, v21
	v_addc_co_u32_e32 v22, vcc, v14, v22, vcc
	global_load_dword v1, v[27:28], off
	global_load_dword v3, v[21:22], off
	v_lshlrev_b64 v[21:22], 2, v[24:25]
	v_mov_b32_e32 v27, v6
	v_add_co_u32_e32 v21, vcc, s12, v21
	v_addc_co_u32_e32 v22, vcc, v14, v22, vcc
	v_add_u32_e32 v5, 1, v20
	s_waitcnt vmcnt(1)
	v_fmac_f32_e32 v10, v16, v1
	s_waitcnt vmcnt(0)
	v_fmac_f32_e32 v12, v3, v1
	global_load_dword v3, v[21:22], off
	v_lshlrev_b64 v[21:22], 2, v[26:27]
	v_add_co_u32_e32 v21, vcc, s12, v21
	v_addc_co_u32_e32 v22, vcc, v14, v22, vcc
	s_waitcnt vmcnt(0)
	v_fmac_f32_e32 v11, v3, v1
	global_load_dword v3, v[21:22], off
	v_lshlrev_b64 v[21:22], 2, v[5:6]
	v_subrev_u32_e32 v5, 19, v2
	v_add_co_u32_e32 v21, vcc, s14, v21
	v_addc_co_u32_e32 v22, vcc, v15, v22, vcc
	s_waitcnt vmcnt(0)
	v_fmac_f32_e32 v8, v3, v1
	global_load_dword v1, v[21:22], off
	s_waitcnt vmcnt(0)
	v_fmac_f32_e32 v10, v17, v1
	v_lshlrev_b64 v[16:17], 2, v[5:6]
	v_add_u32_e32 v5, -12, v2
	v_add_co_u32_e32 v16, vcc, s12, v16
	v_addc_co_u32_e32 v17, vcc, v14, v17, vcc
	global_load_dword v3, v[16:17], off
	v_lshlrev_b64 v[16:17], 2, v[5:6]
	v_add_u32_e32 v5, -5, v2
	v_add_co_u32_e32 v16, vcc, s12, v16
	v_addc_co_u32_e32 v17, vcc, v14, v17, vcc
	s_waitcnt vmcnt(0)
	v_fmac_f32_e32 v12, v3, v1
	global_load_dword v3, v[16:17], off
	v_lshlrev_b64 v[16:17], 2, v[5:6]
	v_add_u32_e32 v5, 2, v20
	v_add_co_u32_e32 v16, vcc, s12, v16
	v_addc_co_u32_e32 v17, vcc, v14, v17, vcc
	s_waitcnt vmcnt(0)
	v_fmac_f32_e32 v11, v3, v1
	global_load_dword v3, v[16:17], off
	v_lshlrev_b64 v[16:17], 2, v[5:6]
	v_subrev_u32_e32 v5, 18, v2
	v_add_co_u32_e32 v16, vcc, s14, v16
	v_addc_co_u32_e32 v17, vcc, v15, v17, vcc
	s_waitcnt vmcnt(0)
	v_fmac_f32_e32 v8, v3, v1
	global_load_dword v1, v[16:17], off
	v_lshlrev_b64 v[16:17], 2, v[5:6]
	v_add_u32_e32 v5, -11, v2
	v_add_co_u32_e32 v16, vcc, s12, v16
	v_addc_co_u32_e32 v17, vcc, v14, v17, vcc
	global_load_dword v3, v[16:17], off
	v_lshlrev_b64 v[16:17], 2, v[5:6]
	v_add_u32_e32 v5, -4, v2
	v_add_co_u32_e32 v16, vcc, s12, v16
	v_addc_co_u32_e32 v17, vcc, v14, v17, vcc
	s_waitcnt vmcnt(1)
	v_fmac_f32_e32 v10, v18, v1
	s_waitcnt vmcnt(0)
	v_fmac_f32_e32 v12, v3, v1
	global_load_dword v3, v[16:17], off
	v_lshlrev_b64 v[16:17], 2, v[5:6]
	v_add_u32_e32 v5, 3, v20
	v_add_co_u32_e32 v16, vcc, s12, v16
	v_addc_co_u32_e32 v17, vcc, v14, v17, vcc
	s_waitcnt vmcnt(0)
	v_fmac_f32_e32 v11, v3, v1
	global_load_dword v3, v[16:17], off
	v_lshlrev_b64 v[16:17], 2, v[5:6]
	v_subrev_u32_e32 v5, 17, v2
	v_add_co_u32_e32 v16, vcc, s14, v16
	v_addc_co_u32_e32 v17, vcc, v15, v17, vcc
	s_waitcnt vmcnt(0)
	v_fmac_f32_e32 v8, v3, v1
	global_load_dword v1, v[16:17], off
	v_lshlrev_b64 v[16:17], 2, v[5:6]
	v_add_u32_e32 v5, -10, v2
	v_add_co_u32_e32 v16, vcc, s12, v16
	v_addc_co_u32_e32 v17, vcc, v14, v17, vcc
	global_load_dword v3, v[16:17], off
	v_lshlrev_b64 v[16:17], 2, v[5:6]
	v_add_u32_e32 v5, -3, v2
	v_add_co_u32_e32 v16, vcc, s12, v16
	v_addc_co_u32_e32 v17, vcc, v14, v17, vcc
	s_waitcnt vmcnt(1)
	v_fmac_f32_e32 v10, v19, v1
	s_waitcnt vmcnt(0)
	v_fmac_f32_e32 v12, v3, v1
	global_load_dword v3, v[16:17], off
	v_lshlrev_b64 v[16:17], 2, v[5:6]
	v_subrev_u32_e32 v5, 23, v2
	v_add_co_u32_e32 v16, vcc, s12, v16
	v_addc_co_u32_e32 v17, vcc, v14, v17, vcc
	s_waitcnt vmcnt(0)
	v_fmac_f32_e32 v11, v3, v1
	global_load_dword v3, v[16:17], off
	v_lshlrev_b64 v[16:17], 2, v[5:6]
	v_add_u32_e32 v5, 4, v20
	v_add_co_u32_e32 v16, vcc, s12, v16
	v_addc_co_u32_e32 v17, vcc, v14, v17, vcc
	s_waitcnt vmcnt(0)
	v_fmac_f32_e32 v8, v3, v1
	global_load_dword v1, v[16:17], off
	v_lshlrev_b64 v[16:17], 2, v[5:6]
	v_add_u32_e32 v5, -16, v2
	v_add_co_u32_e32 v16, vcc, s14, v16
	v_addc_co_u32_e32 v17, vcc, v15, v17, vcc
	global_load_dword v3, v[16:17], off
	v_lshlrev_b64 v[16:17], 2, v[5:6]
	v_add_u32_e32 v5, -9, v2
	v_add_co_u32_e32 v16, vcc, s12, v16
	v_addc_co_u32_e32 v17, vcc, v14, v17, vcc
	s_waitcnt vmcnt(0)
	v_fmac_f32_e32 v10, v1, v3
	global_load_dword v1, v[16:17], off
	v_lshlrev_b64 v[16:17], 2, v[5:6]
	v_add_u32_e32 v5, -2, v2
	v_add_co_u32_e32 v16, vcc, s12, v16
	v_addc_co_u32_e32 v17, vcc, v14, v17, vcc
	s_waitcnt vmcnt(0)
	v_fmac_f32_e32 v12, v1, v3
	global_load_dword v1, v[16:17], off
	v_lshlrev_b64 v[16:17], 2, v[5:6]
	v_subrev_u32_e32 v5, 22, v2
	v_add_co_u32_e32 v16, vcc, s12, v16
	v_addc_co_u32_e32 v17, vcc, v14, v17, vcc
	s_waitcnt vmcnt(0)
	v_fmac_f32_e32 v11, v1, v3
	global_load_dword v1, v[16:17], off
	v_lshlrev_b64 v[16:17], 2, v[5:6]
	v_add_u32_e32 v5, 5, v20
	v_add_co_u32_e32 v16, vcc, s12, v16
	v_addc_co_u32_e32 v17, vcc, v14, v17, vcc
	s_waitcnt vmcnt(0)
	v_fmac_f32_e32 v8, v1, v3
	global_load_dword v1, v[16:17], off
	v_lshlrev_b64 v[16:17], 2, v[5:6]
	v_add_u32_e32 v5, -15, v2
	v_add_co_u32_e32 v16, vcc, s14, v16
	v_addc_co_u32_e32 v17, vcc, v15, v17, vcc
	global_load_dword v3, v[16:17], off
	v_lshlrev_b64 v[16:17], 2, v[5:6]
	v_add_u32_e32 v5, -8, v2
	v_add_co_u32_e32 v16, vcc, s12, v16
	v_addc_co_u32_e32 v17, vcc, v14, v17, vcc
	s_waitcnt vmcnt(0)
	v_fmac_f32_e32 v10, v1, v3
	global_load_dword v1, v[16:17], off
	v_lshlrev_b64 v[16:17], 2, v[5:6]
	v_add_u32_e32 v5, -1, v2
	v_add_co_u32_e32 v16, vcc, s12, v16
	v_addc_co_u32_e32 v17, vcc, v14, v17, vcc
	s_waitcnt vmcnt(0)
	v_fmac_f32_e32 v12, v1, v3
	global_load_dword v1, v[16:17], off
	v_lshlrev_b64 v[16:17], 2, v[5:6]
	v_subrev_u32_e32 v5, 21, v2
	v_add_co_u32_e32 v16, vcc, s12, v16
	v_addc_co_u32_e32 v17, vcc, v14, v17, vcc
	s_waitcnt vmcnt(0)
	v_fmac_f32_e32 v11, v1, v3
	global_load_dword v1, v[16:17], off
	v_lshlrev_b64 v[16:17], 2, v[5:6]
	v_add_u32_e32 v5, 6, v20
	v_add_co_u32_e32 v16, vcc, s12, v16
	v_addc_co_u32_e32 v17, vcc, v14, v17, vcc
	s_waitcnt vmcnt(0)
	v_fmac_f32_e32 v8, v1, v3
	global_load_dword v1, v[16:17], off
	v_lshlrev_b64 v[16:17], 2, v[5:6]
	v_add_u32_e32 v5, -14, v2
	v_add_co_u32_e32 v16, vcc, s14, v16
	v_addc_co_u32_e32 v17, vcc, v15, v17, vcc
	global_load_dword v18, v[16:17], off
	v_lshlrev_b64 v[16:17], 2, v[5:6]
	v_add_u32_e32 v5, -7, v2
	v_add_co_u32_e32 v16, vcc, s12, v16
	v_addc_co_u32_e32 v17, vcc, v14, v17, vcc
	v_mov_b32_e32 v3, v6
	s_waitcnt vmcnt(0)
	v_fmac_f32_e32 v10, v1, v18
	global_load_dword v1, v[16:17], off
	v_lshlrev_b64 v[16:17], 2, v[5:6]
	v_add_co_u32_e32 v16, vcc, s12, v16
	v_addc_co_u32_e32 v17, vcc, v14, v17, vcc
	s_waitcnt vmcnt(0)
	v_fmac_f32_e32 v12, v1, v18
	global_load_dword v1, v[16:17], off
	v_lshlrev_b64 v[16:17], 2, v[2:3]
	v_add_u32_e32 v2, 0xe0, v2
	v_add_co_u32_e32 v16, vcc, s12, v16
	v_addc_co_u32_e32 v17, vcc, v14, v17, vcc
	v_cmp_ge_i32_e32 vcc, v0, v9
	s_or_b64 s[0:1], vcc, s[0:1]
	s_waitcnt vmcnt(0)
	v_fmac_f32_e32 v11, v1, v18
	global_load_dword v1, v[16:17], off
	s_waitcnt vmcnt(0)
	v_fmac_f32_e32 v8, v1, v18
	s_andn2_b64 exec, exec, s[0:1]
	s_cbranch_execnz .LBB26_15
; %bb.16:
	s_or_b64 exec, exec, s[0:1]
.LBB26_17:
	s_or_b64 exec, exec, s[6:7]
.LBB26_18:
	v_mov_b32_dpp v0, v10 row_shr:1 row_mask:0xf bank_mask:0xf
	v_mov_b32_dpp v2, v12 row_shr:1 row_mask:0xf bank_mask:0xf
	;; [unrolled: 1-line block ×4, first 2 shown]
	v_add_f32_e32 v0, v10, v0
	v_add_f32_e32 v2, v12, v2
	;; [unrolled: 1-line block ×4, first 2 shown]
	v_mov_b32_dpp v1, v0 row_shr:2 row_mask:0xf bank_mask:0xf
	v_mov_b32_dpp v3, v2 row_shr:2 row_mask:0xf bank_mask:0xf
	;; [unrolled: 1-line block ×4, first 2 shown]
	v_add_f32_e32 v0, v0, v1
	v_add_f32_e32 v2, v2, v3
	;; [unrolled: 1-line block ×4, first 2 shown]
	v_mov_b32_dpp v1, v0 row_shr:4 row_mask:0xf bank_mask:0xe
	v_mov_b32_dpp v3, v2 row_shr:4 row_mask:0xf bank_mask:0xe
	;; [unrolled: 1-line block ×4, first 2 shown]
	v_cmp_eq_u32_e32 vcc, 7, v7
	s_and_b64 exec, exec, vcc
	s_cbranch_execz .LBB26_22
; %bb.19:
	s_load_dwordx2 s[0:1], s[4:5], 0x38
	v_add_f32_e32 v0, v0, v1
	v_add_f32_e32 v1, v2, v3
	;; [unrolled: 1-line block ×4, first 2 shown]
	v_cmp_eq_f32_e64 s[4:5], s2, 0
	s_and_b64 vcc, exec, s[4:5]
	v_mul_f32_e32 v0, s16, v0
	v_mul_f32_e32 v1, s16, v1
	;; [unrolled: 1-line block ×4, first 2 shown]
	v_lshlrev_b32_e32 v4, 2, v4
	s_cbranch_vccz .LBB26_23
; %bb.20:
	v_ashrrev_i32_e32 v5, 31, v4
	v_lshlrev_b64 v[5:6], 2, v[4:5]
	s_waitcnt lgkmcnt(0)
	v_mov_b32_e32 v7, s1
	v_add_co_u32_e32 v5, vcc, s0, v5
	v_addc_co_u32_e32 v6, vcc, v7, v6, vcc
	global_store_dwordx4 v[5:6], v[0:3], off
	s_cbranch_execnz .LBB26_22
.LBB26_21:
	v_ashrrev_i32_e32 v5, 31, v4
	v_lshlrev_b64 v[4:5], 2, v[4:5]
	s_waitcnt lgkmcnt(0)
	v_mov_b32_e32 v6, s1
	v_add_co_u32_e32 v8, vcc, s0, v4
	v_addc_co_u32_e32 v9, vcc, v6, v5, vcc
	global_load_dwordx4 v[4:7], v[8:9], off
	s_waitcnt vmcnt(0)
	v_fmac_f32_e32 v0, s2, v4
	v_fmac_f32_e32 v1, s2, v5
	;; [unrolled: 1-line block ×4, first 2 shown]
	global_store_dwordx4 v[8:9], v[0:3], off
.LBB26_22:
	s_endpgm
.LBB26_23:
	s_branch .LBB26_21
	.section	.rodata,"a",@progbits
	.p2align	6, 0x0
	.amdhsa_kernel _ZN9rocsparseL19gebsrmvn_4xn_kernelILj128ELj7ELj8EfEEvi20rocsparse_direction_NS_24const_host_device_scalarIT2_EEPKiS6_PKS3_S8_S4_PS3_21rocsparse_index_base_b
		.amdhsa_group_segment_fixed_size 0
		.amdhsa_private_segment_fixed_size 0
		.amdhsa_kernarg_size 72
		.amdhsa_user_sgpr_count 6
		.amdhsa_user_sgpr_private_segment_buffer 1
		.amdhsa_user_sgpr_dispatch_ptr 0
		.amdhsa_user_sgpr_queue_ptr 0
		.amdhsa_user_sgpr_kernarg_segment_ptr 1
		.amdhsa_user_sgpr_dispatch_id 0
		.amdhsa_user_sgpr_flat_scratch_init 0
		.amdhsa_user_sgpr_private_segment_size 0
		.amdhsa_uses_dynamic_stack 0
		.amdhsa_system_sgpr_private_segment_wavefront_offset 0
		.amdhsa_system_sgpr_workgroup_id_x 1
		.amdhsa_system_sgpr_workgroup_id_y 0
		.amdhsa_system_sgpr_workgroup_id_z 0
		.amdhsa_system_sgpr_workgroup_info 0
		.amdhsa_system_vgpr_workitem_id 0
		.amdhsa_next_free_vgpr 29
		.amdhsa_next_free_sgpr 20
		.amdhsa_reserve_vcc 1
		.amdhsa_reserve_flat_scratch 0
		.amdhsa_float_round_mode_32 0
		.amdhsa_float_round_mode_16_64 0
		.amdhsa_float_denorm_mode_32 3
		.amdhsa_float_denorm_mode_16_64 3
		.amdhsa_dx10_clamp 1
		.amdhsa_ieee_mode 1
		.amdhsa_fp16_overflow 0
		.amdhsa_exception_fp_ieee_invalid_op 0
		.amdhsa_exception_fp_denorm_src 0
		.amdhsa_exception_fp_ieee_div_zero 0
		.amdhsa_exception_fp_ieee_overflow 0
		.amdhsa_exception_fp_ieee_underflow 0
		.amdhsa_exception_fp_ieee_inexact 0
		.amdhsa_exception_int_div_zero 0
	.end_amdhsa_kernel
	.section	.text._ZN9rocsparseL19gebsrmvn_4xn_kernelILj128ELj7ELj8EfEEvi20rocsparse_direction_NS_24const_host_device_scalarIT2_EEPKiS6_PKS3_S8_S4_PS3_21rocsparse_index_base_b,"axG",@progbits,_ZN9rocsparseL19gebsrmvn_4xn_kernelILj128ELj7ELj8EfEEvi20rocsparse_direction_NS_24const_host_device_scalarIT2_EEPKiS6_PKS3_S8_S4_PS3_21rocsparse_index_base_b,comdat
.Lfunc_end26:
	.size	_ZN9rocsparseL19gebsrmvn_4xn_kernelILj128ELj7ELj8EfEEvi20rocsparse_direction_NS_24const_host_device_scalarIT2_EEPKiS6_PKS3_S8_S4_PS3_21rocsparse_index_base_b, .Lfunc_end26-_ZN9rocsparseL19gebsrmvn_4xn_kernelILj128ELj7ELj8EfEEvi20rocsparse_direction_NS_24const_host_device_scalarIT2_EEPKiS6_PKS3_S8_S4_PS3_21rocsparse_index_base_b
                                        ; -- End function
	.set _ZN9rocsparseL19gebsrmvn_4xn_kernelILj128ELj7ELj8EfEEvi20rocsparse_direction_NS_24const_host_device_scalarIT2_EEPKiS6_PKS3_S8_S4_PS3_21rocsparse_index_base_b.num_vgpr, 29
	.set _ZN9rocsparseL19gebsrmvn_4xn_kernelILj128ELj7ELj8EfEEvi20rocsparse_direction_NS_24const_host_device_scalarIT2_EEPKiS6_PKS3_S8_S4_PS3_21rocsparse_index_base_b.num_agpr, 0
	.set _ZN9rocsparseL19gebsrmvn_4xn_kernelILj128ELj7ELj8EfEEvi20rocsparse_direction_NS_24const_host_device_scalarIT2_EEPKiS6_PKS3_S8_S4_PS3_21rocsparse_index_base_b.numbered_sgpr, 20
	.set _ZN9rocsparseL19gebsrmvn_4xn_kernelILj128ELj7ELj8EfEEvi20rocsparse_direction_NS_24const_host_device_scalarIT2_EEPKiS6_PKS3_S8_S4_PS3_21rocsparse_index_base_b.num_named_barrier, 0
	.set _ZN9rocsparseL19gebsrmvn_4xn_kernelILj128ELj7ELj8EfEEvi20rocsparse_direction_NS_24const_host_device_scalarIT2_EEPKiS6_PKS3_S8_S4_PS3_21rocsparse_index_base_b.private_seg_size, 0
	.set _ZN9rocsparseL19gebsrmvn_4xn_kernelILj128ELj7ELj8EfEEvi20rocsparse_direction_NS_24const_host_device_scalarIT2_EEPKiS6_PKS3_S8_S4_PS3_21rocsparse_index_base_b.uses_vcc, 1
	.set _ZN9rocsparseL19gebsrmvn_4xn_kernelILj128ELj7ELj8EfEEvi20rocsparse_direction_NS_24const_host_device_scalarIT2_EEPKiS6_PKS3_S8_S4_PS3_21rocsparse_index_base_b.uses_flat_scratch, 0
	.set _ZN9rocsparseL19gebsrmvn_4xn_kernelILj128ELj7ELj8EfEEvi20rocsparse_direction_NS_24const_host_device_scalarIT2_EEPKiS6_PKS3_S8_S4_PS3_21rocsparse_index_base_b.has_dyn_sized_stack, 0
	.set _ZN9rocsparseL19gebsrmvn_4xn_kernelILj128ELj7ELj8EfEEvi20rocsparse_direction_NS_24const_host_device_scalarIT2_EEPKiS6_PKS3_S8_S4_PS3_21rocsparse_index_base_b.has_recursion, 0
	.set _ZN9rocsparseL19gebsrmvn_4xn_kernelILj128ELj7ELj8EfEEvi20rocsparse_direction_NS_24const_host_device_scalarIT2_EEPKiS6_PKS3_S8_S4_PS3_21rocsparse_index_base_b.has_indirect_call, 0
	.section	.AMDGPU.csdata,"",@progbits
; Kernel info:
; codeLenInByte = 2504
; TotalNumSgprs: 24
; NumVgprs: 29
; ScratchSize: 0
; MemoryBound: 0
; FloatMode: 240
; IeeeMode: 1
; LDSByteSize: 0 bytes/workgroup (compile time only)
; SGPRBlocks: 2
; VGPRBlocks: 7
; NumSGPRsForWavesPerEU: 24
; NumVGPRsForWavesPerEU: 29
; Occupancy: 8
; WaveLimiterHint : 1
; COMPUTE_PGM_RSRC2:SCRATCH_EN: 0
; COMPUTE_PGM_RSRC2:USER_SGPR: 6
; COMPUTE_PGM_RSRC2:TRAP_HANDLER: 0
; COMPUTE_PGM_RSRC2:TGID_X_EN: 1
; COMPUTE_PGM_RSRC2:TGID_Y_EN: 0
; COMPUTE_PGM_RSRC2:TGID_Z_EN: 0
; COMPUTE_PGM_RSRC2:TIDIG_COMP_CNT: 0
	.section	.text._ZN9rocsparseL19gebsrmvn_4xn_kernelILj128ELj7ELj16EfEEvi20rocsparse_direction_NS_24const_host_device_scalarIT2_EEPKiS6_PKS3_S8_S4_PS3_21rocsparse_index_base_b,"axG",@progbits,_ZN9rocsparseL19gebsrmvn_4xn_kernelILj128ELj7ELj16EfEEvi20rocsparse_direction_NS_24const_host_device_scalarIT2_EEPKiS6_PKS3_S8_S4_PS3_21rocsparse_index_base_b,comdat
	.globl	_ZN9rocsparseL19gebsrmvn_4xn_kernelILj128ELj7ELj16EfEEvi20rocsparse_direction_NS_24const_host_device_scalarIT2_EEPKiS6_PKS3_S8_S4_PS3_21rocsparse_index_base_b ; -- Begin function _ZN9rocsparseL19gebsrmvn_4xn_kernelILj128ELj7ELj16EfEEvi20rocsparse_direction_NS_24const_host_device_scalarIT2_EEPKiS6_PKS3_S8_S4_PS3_21rocsparse_index_base_b
	.p2align	8
	.type	_ZN9rocsparseL19gebsrmvn_4xn_kernelILj128ELj7ELj16EfEEvi20rocsparse_direction_NS_24const_host_device_scalarIT2_EEPKiS6_PKS3_S8_S4_PS3_21rocsparse_index_base_b,@function
_ZN9rocsparseL19gebsrmvn_4xn_kernelILj128ELj7ELj16EfEEvi20rocsparse_direction_NS_24const_host_device_scalarIT2_EEPKiS6_PKS3_S8_S4_PS3_21rocsparse_index_base_b: ; @_ZN9rocsparseL19gebsrmvn_4xn_kernelILj128ELj7ELj16EfEEvi20rocsparse_direction_NS_24const_host_device_scalarIT2_EEPKiS6_PKS3_S8_S4_PS3_21rocsparse_index_base_b
; %bb.0:
	s_load_dwordx2 s[18:19], s[4:5], 0x40
	s_load_dwordx2 s[16:17], s[4:5], 0x8
	s_load_dwordx2 s[2:3], s[4:5], 0x30
	s_waitcnt lgkmcnt(0)
	s_bitcmp1_b32 s19, 0
	s_cselect_b64 s[8:9], -1, 0
	s_xor_b64 s[0:1], s[8:9], -1
	s_and_b64 vcc, exec, s[8:9]
	s_cbranch_vccnz .LBB27_2
; %bb.1:
	s_load_dword s16, s[16:17], 0x0
.LBB27_2:
	s_andn2_b64 vcc, exec, s[0:1]
	s_cbranch_vccnz .LBB27_4
; %bb.3:
	s_load_dword s2, s[2:3], 0x0
.LBB27_4:
	s_waitcnt lgkmcnt(0)
	v_cmp_eq_f32_e64 s[0:1], s16, 0
	v_cmp_eq_f32_e64 s[8:9], s2, 1.0
	s_and_b64 s[0:1], s[0:1], s[8:9]
	s_and_b64 vcc, exec, s[0:1]
	s_cbranch_vccnz .LBB27_22
; %bb.5:
	s_load_dwordx2 s[0:1], s[4:5], 0x0
	v_lshrrev_b32_e32 v1, 4, v0
	v_lshl_or_b32 v4, s6, 3, v1
	s_waitcnt lgkmcnt(0)
	v_cmp_gt_i32_e32 vcc, s0, v4
	s_and_saveexec_b64 s[6:7], vcc
	s_cbranch_execz .LBB27_22
; %bb.6:
	s_load_dwordx8 s[8:15], s[4:5], 0x10
	v_ashrrev_i32_e32 v5, 31, v4
	v_lshlrev_b64 v[1:2], 2, v[4:5]
	v_and_b32_e32 v7, 15, v0
	s_cmp_lg_u32 s1, 0
	s_waitcnt lgkmcnt(0)
	v_mov_b32_e32 v3, s9
	v_add_co_u32_e32 v1, vcc, s8, v1
	v_addc_co_u32_e32 v2, vcc, v3, v2, vcc
	global_load_dwordx2 v[1:2], v[1:2], off
	s_waitcnt vmcnt(0)
	v_subrev_u32_e32 v0, s18, v1
	v_subrev_u32_e32 v9, s18, v2
	v_add_u32_e32 v0, v0, v7
	v_cmp_lt_i32_e64 s[0:1], v0, v9
	s_cbranch_scc0 .LBB27_12
; %bb.7:
	v_mov_b32_e32 v11, 0
	v_mov_b32_e32 v8, 0
	;; [unrolled: 1-line block ×4, first 2 shown]
	s_and_saveexec_b64 s[6:7], s[0:1]
	s_cbranch_execz .LBB27_11
; %bb.8:
	v_mad_u64_u32 v[1:2], s[8:9], v0, 28, 24
	v_mov_b32_e32 v3, 0
	s_mov_b64 s[8:9], 0
	v_mov_b32_e32 v13, s11
	v_mov_b32_e32 v14, s13
	;; [unrolled: 1-line block ×8, first 2 shown]
.LBB27_9:                               ; =>This Inner Loop Header: Depth=1
	v_ashrrev_i32_e32 v6, 31, v5
	v_lshlrev_b64 v[16:17], 2, v[5:6]
	v_subrev_u32_e32 v2, 24, v1
	v_add_co_u32_e32 v16, vcc, s10, v16
	v_addc_co_u32_e32 v17, vcc, v13, v17, vcc
	v_lshlrev_b64 v[18:19], 2, v[2:3]
	global_load_dword v2, v[16:17], off
	v_mov_b32_e32 v23, v3
	v_add_co_u32_e32 v20, vcc, s12, v18
	v_addc_co_u32_e32 v21, vcc, v14, v19, vcc
	v_add_u32_e32 v5, 16, v5
	s_waitcnt vmcnt(0)
	v_subrev_u32_e32 v2, s18, v2
	v_mul_lo_u32 v22, v2, 7
	v_lshlrev_b64 v[16:17], 2, v[22:23]
	v_add_co_u32_e32 v23, vcc, s14, v16
	v_addc_co_u32_e32 v24, vcc, v15, v17, vcc
	global_load_dword v2, v[23:24], off
	global_load_dwordx4 v[16:19], v[20:21], off
	s_waitcnt vmcnt(0)
	v_fmac_f32_e32 v11, v16, v2
	v_fmac_f32_e32 v12, v17, v2
	;; [unrolled: 1-line block ×4, first 2 shown]
	v_subrev_u32_e32 v2, 20, v1
	v_lshlrev_b64 v[16:17], 2, v[2:3]
	v_add_u32_e32 v2, 1, v22
	v_add_co_u32_e32 v20, vcc, s12, v16
	v_addc_co_u32_e32 v21, vcc, v14, v17, vcc
	v_lshlrev_b64 v[16:17], 2, v[2:3]
	v_add_co_u32_e32 v23, vcc, s14, v16
	v_addc_co_u32_e32 v24, vcc, v15, v17, vcc
	global_load_dword v2, v[23:24], off
	global_load_dwordx4 v[16:19], v[20:21], off
	s_waitcnt vmcnt(0)
	v_fmac_f32_e32 v11, v16, v2
	v_fmac_f32_e32 v12, v17, v2
	v_fmac_f32_e32 v10, v18, v2
	v_fmac_f32_e32 v8, v19, v2
	v_add_u32_e32 v2, -16, v1
	v_lshlrev_b64 v[16:17], 2, v[2:3]
	v_add_u32_e32 v2, 2, v22
	v_add_co_u32_e32 v20, vcc, s12, v16
	v_addc_co_u32_e32 v21, vcc, v14, v17, vcc
	v_lshlrev_b64 v[16:17], 2, v[2:3]
	v_add_co_u32_e32 v23, vcc, s14, v16
	v_addc_co_u32_e32 v24, vcc, v15, v17, vcc
	global_load_dword v2, v[23:24], off
	global_load_dwordx4 v[16:19], v[20:21], off
	s_waitcnt vmcnt(0)
	v_fmac_f32_e32 v11, v16, v2
	v_fmac_f32_e32 v12, v17, v2
	v_fmac_f32_e32 v10, v18, v2
	v_fmac_f32_e32 v8, v19, v2
	v_add_u32_e32 v2, -12, v1
	;; [unrolled: 15-line block ×4, first 2 shown]
	v_lshlrev_b64 v[16:17], 2, v[2:3]
	v_add_u32_e32 v2, 5, v22
	v_add_co_u32_e32 v20, vcc, s12, v16
	v_addc_co_u32_e32 v21, vcc, v14, v17, vcc
	v_lshlrev_b64 v[16:17], 2, v[2:3]
	v_add_co_u32_e32 v23, vcc, s14, v16
	v_addc_co_u32_e32 v24, vcc, v15, v17, vcc
	global_load_dword v2, v[23:24], off
	global_load_dwordx4 v[16:19], v[20:21], off
	s_waitcnt vmcnt(0)
	v_fmac_f32_e32 v11, v16, v2
	v_fmac_f32_e32 v12, v17, v2
	;; [unrolled: 1-line block ×4, first 2 shown]
	v_mov_b32_e32 v2, v3
	v_lshlrev_b64 v[16:17], 2, v[1:2]
	v_add_u32_e32 v2, 6, v22
	v_add_co_u32_e32 v20, vcc, s12, v16
	v_addc_co_u32_e32 v21, vcc, v14, v17, vcc
	v_lshlrev_b64 v[16:17], 2, v[2:3]
	v_add_u32_e32 v1, 0x1c0, v1
	v_add_co_u32_e32 v22, vcc, s14, v16
	v_addc_co_u32_e32 v23, vcc, v15, v17, vcc
	global_load_dwordx4 v[16:19], v[20:21], off
	global_load_dword v2, v[22:23], off
	v_cmp_ge_i32_e32 vcc, v5, v9
	s_or_b64 s[8:9], vcc, s[8:9]
	s_waitcnt vmcnt(0)
	v_fmac_f32_e32 v11, v16, v2
	v_fmac_f32_e32 v12, v17, v2
	;; [unrolled: 1-line block ×4, first 2 shown]
	s_andn2_b64 exec, exec, s[8:9]
	s_cbranch_execnz .LBB27_9
; %bb.10:
	s_or_b64 exec, exec, s[8:9]
.LBB27_11:
	s_or_b64 exec, exec, s[6:7]
	s_cbranch_execz .LBB27_13
	s_branch .LBB27_18
.LBB27_12:
                                        ; implicit-def: $vgpr11
                                        ; implicit-def: $vgpr8
                                        ; implicit-def: $vgpr10
                                        ; implicit-def: $vgpr12
.LBB27_13:
	v_mov_b32_e32 v11, 0
	v_mov_b32_e32 v8, 0
	;; [unrolled: 1-line block ×4, first 2 shown]
	s_and_saveexec_b64 s[6:7], s[0:1]
	s_cbranch_execz .LBB27_17
; %bb.14:
	v_mad_u64_u32 v[2:3], s[0:1], v0, 28, 27
	v_mov_b32_e32 v6, 0
	s_mov_b64 s[0:1], 0
	v_mov_b32_e32 v13, s11
	v_mov_b32_e32 v14, s13
	;; [unrolled: 1-line block ×7, first 2 shown]
.LBB27_15:                              ; =>This Inner Loop Header: Depth=1
	v_ashrrev_i32_e32 v1, 31, v0
	v_lshlrev_b64 v[16:17], 2, v[0:1]
	v_subrev_u32_e32 v5, 27, v2
	v_add_co_u32_e32 v16, vcc, s10, v16
	v_addc_co_u32_e32 v17, vcc, v13, v17, vcc
	global_load_dword v1, v[16:17], off
	v_lshlrev_b64 v[16:17], 2, v[5:6]
	v_mov_b32_e32 v21, v6
	v_add_co_u32_e32 v16, vcc, s12, v16
	v_subrev_u32_e32 v22, 20, v2
	v_addc_co_u32_e32 v17, vcc, v14, v17, vcc
	v_mov_b32_e32 v23, v6
	global_load_dwordx4 v[16:19], v[16:17], off
	v_add_u32_e32 v24, -13, v2
	v_mov_b32_e32 v25, v6
	v_add_u32_e32 v26, -6, v2
	v_add_u32_e32 v0, 16, v0
	s_waitcnt vmcnt(1)
	v_subrev_u32_e32 v1, s18, v1
	v_mul_lo_u32 v20, v1, 7
	v_lshlrev_b64 v[27:28], 2, v[20:21]
	v_lshlrev_b64 v[21:22], 2, v[22:23]
	v_add_co_u32_e32 v27, vcc, s14, v27
	v_addc_co_u32_e32 v28, vcc, v15, v28, vcc
	v_add_co_u32_e32 v21, vcc, s12, v21
	v_addc_co_u32_e32 v22, vcc, v14, v22, vcc
	global_load_dword v1, v[27:28], off
	global_load_dword v3, v[21:22], off
	v_lshlrev_b64 v[21:22], 2, v[24:25]
	v_mov_b32_e32 v27, v6
	v_add_co_u32_e32 v21, vcc, s12, v21
	v_addc_co_u32_e32 v22, vcc, v14, v22, vcc
	v_add_u32_e32 v5, 1, v20
	s_waitcnt vmcnt(1)
	v_fmac_f32_e32 v11, v16, v1
	s_waitcnt vmcnt(0)
	v_fmac_f32_e32 v12, v3, v1
	global_load_dword v3, v[21:22], off
	v_lshlrev_b64 v[21:22], 2, v[26:27]
	v_add_co_u32_e32 v21, vcc, s12, v21
	v_addc_co_u32_e32 v22, vcc, v14, v22, vcc
	s_waitcnt vmcnt(0)
	v_fmac_f32_e32 v10, v3, v1
	global_load_dword v3, v[21:22], off
	v_lshlrev_b64 v[21:22], 2, v[5:6]
	v_subrev_u32_e32 v5, 19, v2
	v_add_co_u32_e32 v21, vcc, s14, v21
	v_addc_co_u32_e32 v22, vcc, v15, v22, vcc
	s_waitcnt vmcnt(0)
	v_fmac_f32_e32 v8, v3, v1
	global_load_dword v1, v[21:22], off
	s_waitcnt vmcnt(0)
	v_fmac_f32_e32 v11, v17, v1
	v_lshlrev_b64 v[16:17], 2, v[5:6]
	v_add_u32_e32 v5, -12, v2
	v_add_co_u32_e32 v16, vcc, s12, v16
	v_addc_co_u32_e32 v17, vcc, v14, v17, vcc
	global_load_dword v3, v[16:17], off
	v_lshlrev_b64 v[16:17], 2, v[5:6]
	v_add_u32_e32 v5, -5, v2
	v_add_co_u32_e32 v16, vcc, s12, v16
	v_addc_co_u32_e32 v17, vcc, v14, v17, vcc
	s_waitcnt vmcnt(0)
	v_fmac_f32_e32 v12, v3, v1
	global_load_dword v3, v[16:17], off
	v_lshlrev_b64 v[16:17], 2, v[5:6]
	v_add_u32_e32 v5, 2, v20
	v_add_co_u32_e32 v16, vcc, s12, v16
	v_addc_co_u32_e32 v17, vcc, v14, v17, vcc
	s_waitcnt vmcnt(0)
	v_fmac_f32_e32 v10, v3, v1
	global_load_dword v3, v[16:17], off
	v_lshlrev_b64 v[16:17], 2, v[5:6]
	v_subrev_u32_e32 v5, 18, v2
	v_add_co_u32_e32 v16, vcc, s14, v16
	v_addc_co_u32_e32 v17, vcc, v15, v17, vcc
	s_waitcnt vmcnt(0)
	v_fmac_f32_e32 v8, v3, v1
	global_load_dword v1, v[16:17], off
	v_lshlrev_b64 v[16:17], 2, v[5:6]
	v_add_u32_e32 v5, -11, v2
	v_add_co_u32_e32 v16, vcc, s12, v16
	v_addc_co_u32_e32 v17, vcc, v14, v17, vcc
	global_load_dword v3, v[16:17], off
	v_lshlrev_b64 v[16:17], 2, v[5:6]
	v_add_u32_e32 v5, -4, v2
	v_add_co_u32_e32 v16, vcc, s12, v16
	v_addc_co_u32_e32 v17, vcc, v14, v17, vcc
	s_waitcnt vmcnt(1)
	v_fmac_f32_e32 v11, v18, v1
	s_waitcnt vmcnt(0)
	v_fmac_f32_e32 v12, v3, v1
	global_load_dword v3, v[16:17], off
	v_lshlrev_b64 v[16:17], 2, v[5:6]
	v_add_u32_e32 v5, 3, v20
	v_add_co_u32_e32 v16, vcc, s12, v16
	v_addc_co_u32_e32 v17, vcc, v14, v17, vcc
	s_waitcnt vmcnt(0)
	v_fmac_f32_e32 v10, v3, v1
	global_load_dword v3, v[16:17], off
	v_lshlrev_b64 v[16:17], 2, v[5:6]
	v_subrev_u32_e32 v5, 17, v2
	v_add_co_u32_e32 v16, vcc, s14, v16
	v_addc_co_u32_e32 v17, vcc, v15, v17, vcc
	s_waitcnt vmcnt(0)
	v_fmac_f32_e32 v8, v3, v1
	global_load_dword v1, v[16:17], off
	v_lshlrev_b64 v[16:17], 2, v[5:6]
	v_add_u32_e32 v5, -10, v2
	v_add_co_u32_e32 v16, vcc, s12, v16
	v_addc_co_u32_e32 v17, vcc, v14, v17, vcc
	global_load_dword v3, v[16:17], off
	v_lshlrev_b64 v[16:17], 2, v[5:6]
	v_add_u32_e32 v5, -3, v2
	v_add_co_u32_e32 v16, vcc, s12, v16
	v_addc_co_u32_e32 v17, vcc, v14, v17, vcc
	s_waitcnt vmcnt(1)
	v_fmac_f32_e32 v11, v19, v1
	s_waitcnt vmcnt(0)
	v_fmac_f32_e32 v12, v3, v1
	global_load_dword v3, v[16:17], off
	v_lshlrev_b64 v[16:17], 2, v[5:6]
	v_subrev_u32_e32 v5, 23, v2
	v_add_co_u32_e32 v16, vcc, s12, v16
	v_addc_co_u32_e32 v17, vcc, v14, v17, vcc
	s_waitcnt vmcnt(0)
	v_fmac_f32_e32 v10, v3, v1
	global_load_dword v3, v[16:17], off
	v_lshlrev_b64 v[16:17], 2, v[5:6]
	v_add_u32_e32 v5, 4, v20
	v_add_co_u32_e32 v16, vcc, s12, v16
	v_addc_co_u32_e32 v17, vcc, v14, v17, vcc
	s_waitcnt vmcnt(0)
	v_fmac_f32_e32 v8, v3, v1
	global_load_dword v1, v[16:17], off
	v_lshlrev_b64 v[16:17], 2, v[5:6]
	v_add_u32_e32 v5, -16, v2
	v_add_co_u32_e32 v16, vcc, s14, v16
	v_addc_co_u32_e32 v17, vcc, v15, v17, vcc
	global_load_dword v3, v[16:17], off
	v_lshlrev_b64 v[16:17], 2, v[5:6]
	v_add_u32_e32 v5, -9, v2
	v_add_co_u32_e32 v16, vcc, s12, v16
	v_addc_co_u32_e32 v17, vcc, v14, v17, vcc
	s_waitcnt vmcnt(0)
	v_fmac_f32_e32 v11, v1, v3
	global_load_dword v1, v[16:17], off
	v_lshlrev_b64 v[16:17], 2, v[5:6]
	v_add_u32_e32 v5, -2, v2
	v_add_co_u32_e32 v16, vcc, s12, v16
	v_addc_co_u32_e32 v17, vcc, v14, v17, vcc
	s_waitcnt vmcnt(0)
	v_fmac_f32_e32 v12, v1, v3
	global_load_dword v1, v[16:17], off
	v_lshlrev_b64 v[16:17], 2, v[5:6]
	v_subrev_u32_e32 v5, 22, v2
	v_add_co_u32_e32 v16, vcc, s12, v16
	v_addc_co_u32_e32 v17, vcc, v14, v17, vcc
	s_waitcnt vmcnt(0)
	v_fmac_f32_e32 v10, v1, v3
	global_load_dword v1, v[16:17], off
	v_lshlrev_b64 v[16:17], 2, v[5:6]
	v_add_u32_e32 v5, 5, v20
	v_add_co_u32_e32 v16, vcc, s12, v16
	v_addc_co_u32_e32 v17, vcc, v14, v17, vcc
	s_waitcnt vmcnt(0)
	v_fmac_f32_e32 v8, v1, v3
	global_load_dword v1, v[16:17], off
	v_lshlrev_b64 v[16:17], 2, v[5:6]
	v_add_u32_e32 v5, -15, v2
	v_add_co_u32_e32 v16, vcc, s14, v16
	v_addc_co_u32_e32 v17, vcc, v15, v17, vcc
	global_load_dword v3, v[16:17], off
	v_lshlrev_b64 v[16:17], 2, v[5:6]
	v_add_u32_e32 v5, -8, v2
	v_add_co_u32_e32 v16, vcc, s12, v16
	v_addc_co_u32_e32 v17, vcc, v14, v17, vcc
	s_waitcnt vmcnt(0)
	v_fmac_f32_e32 v11, v1, v3
	global_load_dword v1, v[16:17], off
	v_lshlrev_b64 v[16:17], 2, v[5:6]
	v_add_u32_e32 v5, -1, v2
	v_add_co_u32_e32 v16, vcc, s12, v16
	v_addc_co_u32_e32 v17, vcc, v14, v17, vcc
	s_waitcnt vmcnt(0)
	v_fmac_f32_e32 v12, v1, v3
	global_load_dword v1, v[16:17], off
	v_lshlrev_b64 v[16:17], 2, v[5:6]
	v_subrev_u32_e32 v5, 21, v2
	v_add_co_u32_e32 v16, vcc, s12, v16
	v_addc_co_u32_e32 v17, vcc, v14, v17, vcc
	s_waitcnt vmcnt(0)
	v_fmac_f32_e32 v10, v1, v3
	global_load_dword v1, v[16:17], off
	v_lshlrev_b64 v[16:17], 2, v[5:6]
	v_add_u32_e32 v5, 6, v20
	v_add_co_u32_e32 v16, vcc, s12, v16
	v_addc_co_u32_e32 v17, vcc, v14, v17, vcc
	s_waitcnt vmcnt(0)
	v_fmac_f32_e32 v8, v1, v3
	global_load_dword v1, v[16:17], off
	v_lshlrev_b64 v[16:17], 2, v[5:6]
	v_add_u32_e32 v5, -14, v2
	v_add_co_u32_e32 v16, vcc, s14, v16
	v_addc_co_u32_e32 v17, vcc, v15, v17, vcc
	global_load_dword v18, v[16:17], off
	v_lshlrev_b64 v[16:17], 2, v[5:6]
	v_add_u32_e32 v5, -7, v2
	v_add_co_u32_e32 v16, vcc, s12, v16
	v_addc_co_u32_e32 v17, vcc, v14, v17, vcc
	v_mov_b32_e32 v3, v6
	s_waitcnt vmcnt(0)
	v_fmac_f32_e32 v11, v1, v18
	global_load_dword v1, v[16:17], off
	v_lshlrev_b64 v[16:17], 2, v[5:6]
	v_add_co_u32_e32 v16, vcc, s12, v16
	v_addc_co_u32_e32 v17, vcc, v14, v17, vcc
	s_waitcnt vmcnt(0)
	v_fmac_f32_e32 v12, v1, v18
	global_load_dword v1, v[16:17], off
	v_lshlrev_b64 v[16:17], 2, v[2:3]
	v_add_u32_e32 v2, 0x1c0, v2
	v_add_co_u32_e32 v16, vcc, s12, v16
	v_addc_co_u32_e32 v17, vcc, v14, v17, vcc
	v_cmp_ge_i32_e32 vcc, v0, v9
	s_or_b64 s[0:1], vcc, s[0:1]
	s_waitcnt vmcnt(0)
	v_fmac_f32_e32 v10, v1, v18
	global_load_dword v1, v[16:17], off
	s_waitcnt vmcnt(0)
	v_fmac_f32_e32 v8, v1, v18
	s_andn2_b64 exec, exec, s[0:1]
	s_cbranch_execnz .LBB27_15
; %bb.16:
	s_or_b64 exec, exec, s[0:1]
.LBB27_17:
	s_or_b64 exec, exec, s[6:7]
.LBB27_18:
	v_mov_b32_dpp v0, v11 row_shr:1 row_mask:0xf bank_mask:0xf
	v_mov_b32_dpp v2, v12 row_shr:1 row_mask:0xf bank_mask:0xf
	v_mov_b32_dpp v5, v10 row_shr:1 row_mask:0xf bank_mask:0xf
	v_mov_b32_dpp v9, v8 row_shr:1 row_mask:0xf bank_mask:0xf
	v_add_f32_e32 v0, v11, v0
	v_add_f32_e32 v2, v12, v2
	v_add_f32_e32 v5, v10, v5
	v_add_f32_e32 v8, v8, v9
	v_mov_b32_dpp v1, v0 row_shr:2 row_mask:0xf bank_mask:0xf
	v_mov_b32_dpp v3, v2 row_shr:2 row_mask:0xf bank_mask:0xf
	v_mov_b32_dpp v6, v5 row_shr:2 row_mask:0xf bank_mask:0xf
	v_mov_b32_dpp v9, v8 row_shr:2 row_mask:0xf bank_mask:0xf
	v_add_f32_e32 v0, v0, v1
	v_add_f32_e32 v2, v2, v3
	v_add_f32_e32 v5, v5, v6
	v_add_f32_e32 v8, v8, v9
	;; [unrolled: 8-line block ×3, first 2 shown]
	v_mov_b32_dpp v1, v0 row_shr:8 row_mask:0xf bank_mask:0xc
	v_mov_b32_dpp v3, v2 row_shr:8 row_mask:0xf bank_mask:0xc
	;; [unrolled: 1-line block ×4, first 2 shown]
	v_cmp_eq_u32_e32 vcc, 15, v7
	s_and_b64 exec, exec, vcc
	s_cbranch_execz .LBB27_22
; %bb.19:
	s_load_dwordx2 s[0:1], s[4:5], 0x38
	v_add_f32_e32 v0, v0, v1
	v_add_f32_e32 v1, v2, v3
	;; [unrolled: 1-line block ×4, first 2 shown]
	v_cmp_eq_f32_e64 s[4:5], s2, 0
	s_and_b64 vcc, exec, s[4:5]
	v_mul_f32_e32 v0, s16, v0
	v_mul_f32_e32 v1, s16, v1
	;; [unrolled: 1-line block ×4, first 2 shown]
	v_lshlrev_b32_e32 v4, 2, v4
	s_cbranch_vccz .LBB27_23
; %bb.20:
	v_ashrrev_i32_e32 v5, 31, v4
	v_lshlrev_b64 v[5:6], 2, v[4:5]
	s_waitcnt lgkmcnt(0)
	v_mov_b32_e32 v7, s1
	v_add_co_u32_e32 v5, vcc, s0, v5
	v_addc_co_u32_e32 v6, vcc, v7, v6, vcc
	global_store_dwordx4 v[5:6], v[0:3], off
	s_cbranch_execnz .LBB27_22
.LBB27_21:
	v_ashrrev_i32_e32 v5, 31, v4
	v_lshlrev_b64 v[4:5], 2, v[4:5]
	s_waitcnt lgkmcnt(0)
	v_mov_b32_e32 v6, s1
	v_add_co_u32_e32 v8, vcc, s0, v4
	v_addc_co_u32_e32 v9, vcc, v6, v5, vcc
	global_load_dwordx4 v[4:7], v[8:9], off
	s_waitcnt vmcnt(0)
	v_fmac_f32_e32 v0, s2, v4
	v_fmac_f32_e32 v1, s2, v5
	;; [unrolled: 1-line block ×4, first 2 shown]
	global_store_dwordx4 v[8:9], v[0:3], off
.LBB27_22:
	s_endpgm
.LBB27_23:
	s_branch .LBB27_21
	.section	.rodata,"a",@progbits
	.p2align	6, 0x0
	.amdhsa_kernel _ZN9rocsparseL19gebsrmvn_4xn_kernelILj128ELj7ELj16EfEEvi20rocsparse_direction_NS_24const_host_device_scalarIT2_EEPKiS6_PKS3_S8_S4_PS3_21rocsparse_index_base_b
		.amdhsa_group_segment_fixed_size 0
		.amdhsa_private_segment_fixed_size 0
		.amdhsa_kernarg_size 72
		.amdhsa_user_sgpr_count 6
		.amdhsa_user_sgpr_private_segment_buffer 1
		.amdhsa_user_sgpr_dispatch_ptr 0
		.amdhsa_user_sgpr_queue_ptr 0
		.amdhsa_user_sgpr_kernarg_segment_ptr 1
		.amdhsa_user_sgpr_dispatch_id 0
		.amdhsa_user_sgpr_flat_scratch_init 0
		.amdhsa_user_sgpr_private_segment_size 0
		.amdhsa_uses_dynamic_stack 0
		.amdhsa_system_sgpr_private_segment_wavefront_offset 0
		.amdhsa_system_sgpr_workgroup_id_x 1
		.amdhsa_system_sgpr_workgroup_id_y 0
		.amdhsa_system_sgpr_workgroup_id_z 0
		.amdhsa_system_sgpr_workgroup_info 0
		.amdhsa_system_vgpr_workitem_id 0
		.amdhsa_next_free_vgpr 29
		.amdhsa_next_free_sgpr 20
		.amdhsa_reserve_vcc 1
		.amdhsa_reserve_flat_scratch 0
		.amdhsa_float_round_mode_32 0
		.amdhsa_float_round_mode_16_64 0
		.amdhsa_float_denorm_mode_32 3
		.amdhsa_float_denorm_mode_16_64 3
		.amdhsa_dx10_clamp 1
		.amdhsa_ieee_mode 1
		.amdhsa_fp16_overflow 0
		.amdhsa_exception_fp_ieee_invalid_op 0
		.amdhsa_exception_fp_denorm_src 0
		.amdhsa_exception_fp_ieee_div_zero 0
		.amdhsa_exception_fp_ieee_overflow 0
		.amdhsa_exception_fp_ieee_underflow 0
		.amdhsa_exception_fp_ieee_inexact 0
		.amdhsa_exception_int_div_zero 0
	.end_amdhsa_kernel
	.section	.text._ZN9rocsparseL19gebsrmvn_4xn_kernelILj128ELj7ELj16EfEEvi20rocsparse_direction_NS_24const_host_device_scalarIT2_EEPKiS6_PKS3_S8_S4_PS3_21rocsparse_index_base_b,"axG",@progbits,_ZN9rocsparseL19gebsrmvn_4xn_kernelILj128ELj7ELj16EfEEvi20rocsparse_direction_NS_24const_host_device_scalarIT2_EEPKiS6_PKS3_S8_S4_PS3_21rocsparse_index_base_b,comdat
.Lfunc_end27:
	.size	_ZN9rocsparseL19gebsrmvn_4xn_kernelILj128ELj7ELj16EfEEvi20rocsparse_direction_NS_24const_host_device_scalarIT2_EEPKiS6_PKS3_S8_S4_PS3_21rocsparse_index_base_b, .Lfunc_end27-_ZN9rocsparseL19gebsrmvn_4xn_kernelILj128ELj7ELj16EfEEvi20rocsparse_direction_NS_24const_host_device_scalarIT2_EEPKiS6_PKS3_S8_S4_PS3_21rocsparse_index_base_b
                                        ; -- End function
	.set _ZN9rocsparseL19gebsrmvn_4xn_kernelILj128ELj7ELj16EfEEvi20rocsparse_direction_NS_24const_host_device_scalarIT2_EEPKiS6_PKS3_S8_S4_PS3_21rocsparse_index_base_b.num_vgpr, 29
	.set _ZN9rocsparseL19gebsrmvn_4xn_kernelILj128ELj7ELj16EfEEvi20rocsparse_direction_NS_24const_host_device_scalarIT2_EEPKiS6_PKS3_S8_S4_PS3_21rocsparse_index_base_b.num_agpr, 0
	.set _ZN9rocsparseL19gebsrmvn_4xn_kernelILj128ELj7ELj16EfEEvi20rocsparse_direction_NS_24const_host_device_scalarIT2_EEPKiS6_PKS3_S8_S4_PS3_21rocsparse_index_base_b.numbered_sgpr, 20
	.set _ZN9rocsparseL19gebsrmvn_4xn_kernelILj128ELj7ELj16EfEEvi20rocsparse_direction_NS_24const_host_device_scalarIT2_EEPKiS6_PKS3_S8_S4_PS3_21rocsparse_index_base_b.num_named_barrier, 0
	.set _ZN9rocsparseL19gebsrmvn_4xn_kernelILj128ELj7ELj16EfEEvi20rocsparse_direction_NS_24const_host_device_scalarIT2_EEPKiS6_PKS3_S8_S4_PS3_21rocsparse_index_base_b.private_seg_size, 0
	.set _ZN9rocsparseL19gebsrmvn_4xn_kernelILj128ELj7ELj16EfEEvi20rocsparse_direction_NS_24const_host_device_scalarIT2_EEPKiS6_PKS3_S8_S4_PS3_21rocsparse_index_base_b.uses_vcc, 1
	.set _ZN9rocsparseL19gebsrmvn_4xn_kernelILj128ELj7ELj16EfEEvi20rocsparse_direction_NS_24const_host_device_scalarIT2_EEPKiS6_PKS3_S8_S4_PS3_21rocsparse_index_base_b.uses_flat_scratch, 0
	.set _ZN9rocsparseL19gebsrmvn_4xn_kernelILj128ELj7ELj16EfEEvi20rocsparse_direction_NS_24const_host_device_scalarIT2_EEPKiS6_PKS3_S8_S4_PS3_21rocsparse_index_base_b.has_dyn_sized_stack, 0
	.set _ZN9rocsparseL19gebsrmvn_4xn_kernelILj128ELj7ELj16EfEEvi20rocsparse_direction_NS_24const_host_device_scalarIT2_EEPKiS6_PKS3_S8_S4_PS3_21rocsparse_index_base_b.has_recursion, 0
	.set _ZN9rocsparseL19gebsrmvn_4xn_kernelILj128ELj7ELj16EfEEvi20rocsparse_direction_NS_24const_host_device_scalarIT2_EEPKiS6_PKS3_S8_S4_PS3_21rocsparse_index_base_b.has_indirect_call, 0
	.section	.AMDGPU.csdata,"",@progbits
; Kernel info:
; codeLenInByte = 2552
; TotalNumSgprs: 24
; NumVgprs: 29
; ScratchSize: 0
; MemoryBound: 0
; FloatMode: 240
; IeeeMode: 1
; LDSByteSize: 0 bytes/workgroup (compile time only)
; SGPRBlocks: 2
; VGPRBlocks: 7
; NumSGPRsForWavesPerEU: 24
; NumVGPRsForWavesPerEU: 29
; Occupancy: 8
; WaveLimiterHint : 1
; COMPUTE_PGM_RSRC2:SCRATCH_EN: 0
; COMPUTE_PGM_RSRC2:USER_SGPR: 6
; COMPUTE_PGM_RSRC2:TRAP_HANDLER: 0
; COMPUTE_PGM_RSRC2:TGID_X_EN: 1
; COMPUTE_PGM_RSRC2:TGID_Y_EN: 0
; COMPUTE_PGM_RSRC2:TGID_Z_EN: 0
; COMPUTE_PGM_RSRC2:TIDIG_COMP_CNT: 0
	.section	.text._ZN9rocsparseL19gebsrmvn_4xn_kernelILj128ELj7ELj32EfEEvi20rocsparse_direction_NS_24const_host_device_scalarIT2_EEPKiS6_PKS3_S8_S4_PS3_21rocsparse_index_base_b,"axG",@progbits,_ZN9rocsparseL19gebsrmvn_4xn_kernelILj128ELj7ELj32EfEEvi20rocsparse_direction_NS_24const_host_device_scalarIT2_EEPKiS6_PKS3_S8_S4_PS3_21rocsparse_index_base_b,comdat
	.globl	_ZN9rocsparseL19gebsrmvn_4xn_kernelILj128ELj7ELj32EfEEvi20rocsparse_direction_NS_24const_host_device_scalarIT2_EEPKiS6_PKS3_S8_S4_PS3_21rocsparse_index_base_b ; -- Begin function _ZN9rocsparseL19gebsrmvn_4xn_kernelILj128ELj7ELj32EfEEvi20rocsparse_direction_NS_24const_host_device_scalarIT2_EEPKiS6_PKS3_S8_S4_PS3_21rocsparse_index_base_b
	.p2align	8
	.type	_ZN9rocsparseL19gebsrmvn_4xn_kernelILj128ELj7ELj32EfEEvi20rocsparse_direction_NS_24const_host_device_scalarIT2_EEPKiS6_PKS3_S8_S4_PS3_21rocsparse_index_base_b,@function
_ZN9rocsparseL19gebsrmvn_4xn_kernelILj128ELj7ELj32EfEEvi20rocsparse_direction_NS_24const_host_device_scalarIT2_EEPKiS6_PKS3_S8_S4_PS3_21rocsparse_index_base_b: ; @_ZN9rocsparseL19gebsrmvn_4xn_kernelILj128ELj7ELj32EfEEvi20rocsparse_direction_NS_24const_host_device_scalarIT2_EEPKiS6_PKS3_S8_S4_PS3_21rocsparse_index_base_b
; %bb.0:
	s_load_dwordx2 s[18:19], s[4:5], 0x40
	s_load_dwordx2 s[16:17], s[4:5], 0x8
	;; [unrolled: 1-line block ×3, first 2 shown]
	s_waitcnt lgkmcnt(0)
	s_bitcmp1_b32 s19, 0
	s_cselect_b64 s[8:9], -1, 0
	s_xor_b64 s[0:1], s[8:9], -1
	s_and_b64 vcc, exec, s[8:9]
	s_cbranch_vccnz .LBB28_2
; %bb.1:
	s_load_dword s16, s[16:17], 0x0
.LBB28_2:
	s_andn2_b64 vcc, exec, s[0:1]
	s_cbranch_vccnz .LBB28_4
; %bb.3:
	s_load_dword s2, s[2:3], 0x0
.LBB28_4:
	s_waitcnt lgkmcnt(0)
	v_cmp_eq_f32_e64 s[0:1], s16, 0
	v_cmp_eq_f32_e64 s[8:9], s2, 1.0
	s_and_b64 s[0:1], s[0:1], s[8:9]
	s_and_b64 vcc, exec, s[0:1]
	s_cbranch_vccnz .LBB28_22
; %bb.5:
	s_load_dwordx2 s[0:1], s[4:5], 0x0
	v_lshrrev_b32_e32 v1, 5, v0
	v_lshl_or_b32 v4, s6, 2, v1
	s_waitcnt lgkmcnt(0)
	v_cmp_gt_i32_e32 vcc, s0, v4
	s_and_saveexec_b64 s[6:7], vcc
	s_cbranch_execz .LBB28_22
; %bb.6:
	s_load_dwordx8 s[8:15], s[4:5], 0x10
	v_ashrrev_i32_e32 v5, 31, v4
	v_lshlrev_b64 v[1:2], 2, v[4:5]
	v_and_b32_e32 v7, 31, v0
	s_cmp_lg_u32 s1, 0
	s_waitcnt lgkmcnt(0)
	v_mov_b32_e32 v3, s9
	v_add_co_u32_e32 v1, vcc, s8, v1
	v_addc_co_u32_e32 v2, vcc, v3, v2, vcc
	global_load_dwordx2 v[1:2], v[1:2], off
	s_waitcnt vmcnt(0)
	v_subrev_u32_e32 v0, s18, v1
	v_subrev_u32_e32 v9, s18, v2
	v_add_u32_e32 v0, v0, v7
	v_cmp_lt_i32_e64 s[0:1], v0, v9
	s_cbranch_scc0 .LBB28_12
; %bb.7:
	v_mov_b32_e32 v11, 0
	v_mov_b32_e32 v8, 0
	v_mov_b32_e32 v10, 0
	v_mov_b32_e32 v12, 0
	s_and_saveexec_b64 s[6:7], s[0:1]
	s_cbranch_execz .LBB28_11
; %bb.8:
	v_mad_u64_u32 v[1:2], s[8:9], v0, 28, 24
	v_mov_b32_e32 v3, 0
	s_mov_b64 s[8:9], 0
	v_mov_b32_e32 v13, s11
	v_mov_b32_e32 v14, s13
	;; [unrolled: 1-line block ×8, first 2 shown]
.LBB28_9:                               ; =>This Inner Loop Header: Depth=1
	v_ashrrev_i32_e32 v6, 31, v5
	v_lshlrev_b64 v[16:17], 2, v[5:6]
	v_subrev_u32_e32 v2, 24, v1
	v_add_co_u32_e32 v16, vcc, s10, v16
	v_addc_co_u32_e32 v17, vcc, v13, v17, vcc
	v_lshlrev_b64 v[18:19], 2, v[2:3]
	global_load_dword v2, v[16:17], off
	v_mov_b32_e32 v23, v3
	v_add_co_u32_e32 v20, vcc, s12, v18
	v_addc_co_u32_e32 v21, vcc, v14, v19, vcc
	v_add_u32_e32 v5, 32, v5
	s_waitcnt vmcnt(0)
	v_subrev_u32_e32 v2, s18, v2
	v_mul_lo_u32 v22, v2, 7
	v_lshlrev_b64 v[16:17], 2, v[22:23]
	v_add_co_u32_e32 v23, vcc, s14, v16
	v_addc_co_u32_e32 v24, vcc, v15, v17, vcc
	global_load_dword v2, v[23:24], off
	global_load_dwordx4 v[16:19], v[20:21], off
	s_waitcnt vmcnt(0)
	v_fmac_f32_e32 v11, v16, v2
	v_fmac_f32_e32 v12, v17, v2
	;; [unrolled: 1-line block ×4, first 2 shown]
	v_subrev_u32_e32 v2, 20, v1
	v_lshlrev_b64 v[16:17], 2, v[2:3]
	v_add_u32_e32 v2, 1, v22
	v_add_co_u32_e32 v20, vcc, s12, v16
	v_addc_co_u32_e32 v21, vcc, v14, v17, vcc
	v_lshlrev_b64 v[16:17], 2, v[2:3]
	v_add_co_u32_e32 v23, vcc, s14, v16
	v_addc_co_u32_e32 v24, vcc, v15, v17, vcc
	global_load_dword v2, v[23:24], off
	global_load_dwordx4 v[16:19], v[20:21], off
	s_waitcnt vmcnt(0)
	v_fmac_f32_e32 v11, v16, v2
	v_fmac_f32_e32 v12, v17, v2
	v_fmac_f32_e32 v10, v18, v2
	v_fmac_f32_e32 v8, v19, v2
	v_add_u32_e32 v2, -16, v1
	v_lshlrev_b64 v[16:17], 2, v[2:3]
	v_add_u32_e32 v2, 2, v22
	v_add_co_u32_e32 v20, vcc, s12, v16
	v_addc_co_u32_e32 v21, vcc, v14, v17, vcc
	v_lshlrev_b64 v[16:17], 2, v[2:3]
	v_add_co_u32_e32 v23, vcc, s14, v16
	v_addc_co_u32_e32 v24, vcc, v15, v17, vcc
	global_load_dword v2, v[23:24], off
	global_load_dwordx4 v[16:19], v[20:21], off
	s_waitcnt vmcnt(0)
	v_fmac_f32_e32 v11, v16, v2
	v_fmac_f32_e32 v12, v17, v2
	v_fmac_f32_e32 v10, v18, v2
	v_fmac_f32_e32 v8, v19, v2
	v_add_u32_e32 v2, -12, v1
	;; [unrolled: 15-line block ×4, first 2 shown]
	v_lshlrev_b64 v[16:17], 2, v[2:3]
	v_add_u32_e32 v2, 5, v22
	v_add_co_u32_e32 v20, vcc, s12, v16
	v_addc_co_u32_e32 v21, vcc, v14, v17, vcc
	v_lshlrev_b64 v[16:17], 2, v[2:3]
	v_add_co_u32_e32 v23, vcc, s14, v16
	v_addc_co_u32_e32 v24, vcc, v15, v17, vcc
	global_load_dword v2, v[23:24], off
	global_load_dwordx4 v[16:19], v[20:21], off
	s_waitcnt vmcnt(0)
	v_fmac_f32_e32 v11, v16, v2
	v_fmac_f32_e32 v12, v17, v2
	;; [unrolled: 1-line block ×4, first 2 shown]
	v_mov_b32_e32 v2, v3
	v_lshlrev_b64 v[16:17], 2, v[1:2]
	v_add_u32_e32 v2, 6, v22
	v_add_co_u32_e32 v20, vcc, s12, v16
	v_addc_co_u32_e32 v21, vcc, v14, v17, vcc
	v_lshlrev_b64 v[16:17], 2, v[2:3]
	v_add_u32_e32 v1, 0x380, v1
	v_add_co_u32_e32 v22, vcc, s14, v16
	v_addc_co_u32_e32 v23, vcc, v15, v17, vcc
	global_load_dwordx4 v[16:19], v[20:21], off
	global_load_dword v2, v[22:23], off
	v_cmp_ge_i32_e32 vcc, v5, v9
	s_or_b64 s[8:9], vcc, s[8:9]
	s_waitcnt vmcnt(0)
	v_fmac_f32_e32 v11, v16, v2
	v_fmac_f32_e32 v12, v17, v2
	;; [unrolled: 1-line block ×4, first 2 shown]
	s_andn2_b64 exec, exec, s[8:9]
	s_cbranch_execnz .LBB28_9
; %bb.10:
	s_or_b64 exec, exec, s[8:9]
.LBB28_11:
	s_or_b64 exec, exec, s[6:7]
	s_cbranch_execz .LBB28_13
	s_branch .LBB28_18
.LBB28_12:
                                        ; implicit-def: $vgpr11
                                        ; implicit-def: $vgpr8
                                        ; implicit-def: $vgpr10
                                        ; implicit-def: $vgpr12
.LBB28_13:
	v_mov_b32_e32 v11, 0
	v_mov_b32_e32 v8, 0
	v_mov_b32_e32 v10, 0
	v_mov_b32_e32 v12, 0
	s_and_saveexec_b64 s[6:7], s[0:1]
	s_cbranch_execz .LBB28_17
; %bb.14:
	v_mad_u64_u32 v[2:3], s[0:1], v0, 28, 27
	v_mov_b32_e32 v6, 0
	s_mov_b64 s[0:1], 0
	v_mov_b32_e32 v13, s11
	v_mov_b32_e32 v14, s13
	;; [unrolled: 1-line block ×7, first 2 shown]
.LBB28_15:                              ; =>This Inner Loop Header: Depth=1
	v_ashrrev_i32_e32 v1, 31, v0
	v_lshlrev_b64 v[16:17], 2, v[0:1]
	v_subrev_u32_e32 v5, 27, v2
	v_add_co_u32_e32 v16, vcc, s10, v16
	v_addc_co_u32_e32 v17, vcc, v13, v17, vcc
	global_load_dword v1, v[16:17], off
	v_lshlrev_b64 v[16:17], 2, v[5:6]
	v_mov_b32_e32 v21, v6
	v_add_co_u32_e32 v16, vcc, s12, v16
	v_subrev_u32_e32 v22, 20, v2
	v_addc_co_u32_e32 v17, vcc, v14, v17, vcc
	v_mov_b32_e32 v23, v6
	global_load_dwordx4 v[16:19], v[16:17], off
	v_add_u32_e32 v24, -13, v2
	v_mov_b32_e32 v25, v6
	v_add_u32_e32 v26, -6, v2
	v_add_u32_e32 v0, 32, v0
	s_waitcnt vmcnt(1)
	v_subrev_u32_e32 v1, s18, v1
	v_mul_lo_u32 v20, v1, 7
	v_lshlrev_b64 v[27:28], 2, v[20:21]
	v_lshlrev_b64 v[21:22], 2, v[22:23]
	v_add_co_u32_e32 v27, vcc, s14, v27
	v_addc_co_u32_e32 v28, vcc, v15, v28, vcc
	v_add_co_u32_e32 v21, vcc, s12, v21
	v_addc_co_u32_e32 v22, vcc, v14, v22, vcc
	global_load_dword v1, v[27:28], off
	global_load_dword v3, v[21:22], off
	v_lshlrev_b64 v[21:22], 2, v[24:25]
	v_mov_b32_e32 v27, v6
	v_add_co_u32_e32 v21, vcc, s12, v21
	v_addc_co_u32_e32 v22, vcc, v14, v22, vcc
	v_add_u32_e32 v5, 1, v20
	s_waitcnt vmcnt(1)
	v_fmac_f32_e32 v11, v16, v1
	s_waitcnt vmcnt(0)
	v_fmac_f32_e32 v12, v3, v1
	global_load_dword v3, v[21:22], off
	v_lshlrev_b64 v[21:22], 2, v[26:27]
	v_add_co_u32_e32 v21, vcc, s12, v21
	v_addc_co_u32_e32 v22, vcc, v14, v22, vcc
	s_waitcnt vmcnt(0)
	v_fmac_f32_e32 v10, v3, v1
	global_load_dword v3, v[21:22], off
	v_lshlrev_b64 v[21:22], 2, v[5:6]
	v_subrev_u32_e32 v5, 19, v2
	v_add_co_u32_e32 v21, vcc, s14, v21
	v_addc_co_u32_e32 v22, vcc, v15, v22, vcc
	s_waitcnt vmcnt(0)
	v_fmac_f32_e32 v8, v3, v1
	global_load_dword v1, v[21:22], off
	s_waitcnt vmcnt(0)
	v_fmac_f32_e32 v11, v17, v1
	v_lshlrev_b64 v[16:17], 2, v[5:6]
	v_add_u32_e32 v5, -12, v2
	v_add_co_u32_e32 v16, vcc, s12, v16
	v_addc_co_u32_e32 v17, vcc, v14, v17, vcc
	global_load_dword v3, v[16:17], off
	v_lshlrev_b64 v[16:17], 2, v[5:6]
	v_add_u32_e32 v5, -5, v2
	v_add_co_u32_e32 v16, vcc, s12, v16
	v_addc_co_u32_e32 v17, vcc, v14, v17, vcc
	s_waitcnt vmcnt(0)
	v_fmac_f32_e32 v12, v3, v1
	global_load_dword v3, v[16:17], off
	v_lshlrev_b64 v[16:17], 2, v[5:6]
	v_add_u32_e32 v5, 2, v20
	v_add_co_u32_e32 v16, vcc, s12, v16
	v_addc_co_u32_e32 v17, vcc, v14, v17, vcc
	s_waitcnt vmcnt(0)
	v_fmac_f32_e32 v10, v3, v1
	global_load_dword v3, v[16:17], off
	v_lshlrev_b64 v[16:17], 2, v[5:6]
	v_subrev_u32_e32 v5, 18, v2
	v_add_co_u32_e32 v16, vcc, s14, v16
	v_addc_co_u32_e32 v17, vcc, v15, v17, vcc
	s_waitcnt vmcnt(0)
	v_fmac_f32_e32 v8, v3, v1
	global_load_dword v1, v[16:17], off
	v_lshlrev_b64 v[16:17], 2, v[5:6]
	v_add_u32_e32 v5, -11, v2
	v_add_co_u32_e32 v16, vcc, s12, v16
	v_addc_co_u32_e32 v17, vcc, v14, v17, vcc
	global_load_dword v3, v[16:17], off
	v_lshlrev_b64 v[16:17], 2, v[5:6]
	v_add_u32_e32 v5, -4, v2
	v_add_co_u32_e32 v16, vcc, s12, v16
	v_addc_co_u32_e32 v17, vcc, v14, v17, vcc
	s_waitcnt vmcnt(1)
	v_fmac_f32_e32 v11, v18, v1
	s_waitcnt vmcnt(0)
	v_fmac_f32_e32 v12, v3, v1
	global_load_dword v3, v[16:17], off
	v_lshlrev_b64 v[16:17], 2, v[5:6]
	v_add_u32_e32 v5, 3, v20
	v_add_co_u32_e32 v16, vcc, s12, v16
	v_addc_co_u32_e32 v17, vcc, v14, v17, vcc
	s_waitcnt vmcnt(0)
	v_fmac_f32_e32 v10, v3, v1
	global_load_dword v3, v[16:17], off
	v_lshlrev_b64 v[16:17], 2, v[5:6]
	v_subrev_u32_e32 v5, 17, v2
	v_add_co_u32_e32 v16, vcc, s14, v16
	v_addc_co_u32_e32 v17, vcc, v15, v17, vcc
	s_waitcnt vmcnt(0)
	v_fmac_f32_e32 v8, v3, v1
	global_load_dword v1, v[16:17], off
	v_lshlrev_b64 v[16:17], 2, v[5:6]
	v_add_u32_e32 v5, -10, v2
	v_add_co_u32_e32 v16, vcc, s12, v16
	v_addc_co_u32_e32 v17, vcc, v14, v17, vcc
	global_load_dword v3, v[16:17], off
	v_lshlrev_b64 v[16:17], 2, v[5:6]
	v_add_u32_e32 v5, -3, v2
	v_add_co_u32_e32 v16, vcc, s12, v16
	v_addc_co_u32_e32 v17, vcc, v14, v17, vcc
	s_waitcnt vmcnt(1)
	v_fmac_f32_e32 v11, v19, v1
	s_waitcnt vmcnt(0)
	v_fmac_f32_e32 v12, v3, v1
	global_load_dword v3, v[16:17], off
	v_lshlrev_b64 v[16:17], 2, v[5:6]
	v_subrev_u32_e32 v5, 23, v2
	v_add_co_u32_e32 v16, vcc, s12, v16
	v_addc_co_u32_e32 v17, vcc, v14, v17, vcc
	s_waitcnt vmcnt(0)
	v_fmac_f32_e32 v10, v3, v1
	global_load_dword v3, v[16:17], off
	v_lshlrev_b64 v[16:17], 2, v[5:6]
	v_add_u32_e32 v5, 4, v20
	v_add_co_u32_e32 v16, vcc, s12, v16
	v_addc_co_u32_e32 v17, vcc, v14, v17, vcc
	s_waitcnt vmcnt(0)
	v_fmac_f32_e32 v8, v3, v1
	global_load_dword v1, v[16:17], off
	v_lshlrev_b64 v[16:17], 2, v[5:6]
	v_add_u32_e32 v5, -16, v2
	v_add_co_u32_e32 v16, vcc, s14, v16
	v_addc_co_u32_e32 v17, vcc, v15, v17, vcc
	global_load_dword v3, v[16:17], off
	v_lshlrev_b64 v[16:17], 2, v[5:6]
	v_add_u32_e32 v5, -9, v2
	v_add_co_u32_e32 v16, vcc, s12, v16
	v_addc_co_u32_e32 v17, vcc, v14, v17, vcc
	s_waitcnt vmcnt(0)
	v_fmac_f32_e32 v11, v1, v3
	global_load_dword v1, v[16:17], off
	v_lshlrev_b64 v[16:17], 2, v[5:6]
	v_add_u32_e32 v5, -2, v2
	v_add_co_u32_e32 v16, vcc, s12, v16
	v_addc_co_u32_e32 v17, vcc, v14, v17, vcc
	s_waitcnt vmcnt(0)
	v_fmac_f32_e32 v12, v1, v3
	global_load_dword v1, v[16:17], off
	v_lshlrev_b64 v[16:17], 2, v[5:6]
	v_subrev_u32_e32 v5, 22, v2
	v_add_co_u32_e32 v16, vcc, s12, v16
	v_addc_co_u32_e32 v17, vcc, v14, v17, vcc
	s_waitcnt vmcnt(0)
	v_fmac_f32_e32 v10, v1, v3
	global_load_dword v1, v[16:17], off
	v_lshlrev_b64 v[16:17], 2, v[5:6]
	v_add_u32_e32 v5, 5, v20
	v_add_co_u32_e32 v16, vcc, s12, v16
	v_addc_co_u32_e32 v17, vcc, v14, v17, vcc
	s_waitcnt vmcnt(0)
	v_fmac_f32_e32 v8, v1, v3
	global_load_dword v1, v[16:17], off
	v_lshlrev_b64 v[16:17], 2, v[5:6]
	v_add_u32_e32 v5, -15, v2
	v_add_co_u32_e32 v16, vcc, s14, v16
	v_addc_co_u32_e32 v17, vcc, v15, v17, vcc
	global_load_dword v3, v[16:17], off
	v_lshlrev_b64 v[16:17], 2, v[5:6]
	v_add_u32_e32 v5, -8, v2
	v_add_co_u32_e32 v16, vcc, s12, v16
	v_addc_co_u32_e32 v17, vcc, v14, v17, vcc
	s_waitcnt vmcnt(0)
	v_fmac_f32_e32 v11, v1, v3
	global_load_dword v1, v[16:17], off
	v_lshlrev_b64 v[16:17], 2, v[5:6]
	v_add_u32_e32 v5, -1, v2
	v_add_co_u32_e32 v16, vcc, s12, v16
	v_addc_co_u32_e32 v17, vcc, v14, v17, vcc
	s_waitcnt vmcnt(0)
	v_fmac_f32_e32 v12, v1, v3
	global_load_dword v1, v[16:17], off
	v_lshlrev_b64 v[16:17], 2, v[5:6]
	v_subrev_u32_e32 v5, 21, v2
	v_add_co_u32_e32 v16, vcc, s12, v16
	v_addc_co_u32_e32 v17, vcc, v14, v17, vcc
	s_waitcnt vmcnt(0)
	v_fmac_f32_e32 v10, v1, v3
	global_load_dword v1, v[16:17], off
	v_lshlrev_b64 v[16:17], 2, v[5:6]
	v_add_u32_e32 v5, 6, v20
	v_add_co_u32_e32 v16, vcc, s12, v16
	v_addc_co_u32_e32 v17, vcc, v14, v17, vcc
	s_waitcnt vmcnt(0)
	v_fmac_f32_e32 v8, v1, v3
	global_load_dword v1, v[16:17], off
	v_lshlrev_b64 v[16:17], 2, v[5:6]
	v_add_u32_e32 v5, -14, v2
	v_add_co_u32_e32 v16, vcc, s14, v16
	v_addc_co_u32_e32 v17, vcc, v15, v17, vcc
	global_load_dword v18, v[16:17], off
	v_lshlrev_b64 v[16:17], 2, v[5:6]
	v_add_u32_e32 v5, -7, v2
	v_add_co_u32_e32 v16, vcc, s12, v16
	v_addc_co_u32_e32 v17, vcc, v14, v17, vcc
	v_mov_b32_e32 v3, v6
	s_waitcnt vmcnt(0)
	v_fmac_f32_e32 v11, v1, v18
	global_load_dword v1, v[16:17], off
	v_lshlrev_b64 v[16:17], 2, v[5:6]
	v_add_co_u32_e32 v16, vcc, s12, v16
	v_addc_co_u32_e32 v17, vcc, v14, v17, vcc
	s_waitcnt vmcnt(0)
	v_fmac_f32_e32 v12, v1, v18
	global_load_dword v1, v[16:17], off
	v_lshlrev_b64 v[16:17], 2, v[2:3]
	v_add_u32_e32 v2, 0x380, v2
	v_add_co_u32_e32 v16, vcc, s12, v16
	v_addc_co_u32_e32 v17, vcc, v14, v17, vcc
	v_cmp_ge_i32_e32 vcc, v0, v9
	s_or_b64 s[0:1], vcc, s[0:1]
	s_waitcnt vmcnt(0)
	v_fmac_f32_e32 v10, v1, v18
	global_load_dword v1, v[16:17], off
	s_waitcnt vmcnt(0)
	v_fmac_f32_e32 v8, v1, v18
	s_andn2_b64 exec, exec, s[0:1]
	s_cbranch_execnz .LBB28_15
; %bb.16:
	s_or_b64 exec, exec, s[0:1]
.LBB28_17:
	s_or_b64 exec, exec, s[6:7]
.LBB28_18:
	v_mov_b32_dpp v0, v11 row_shr:1 row_mask:0xf bank_mask:0xf
	v_mov_b32_dpp v2, v12 row_shr:1 row_mask:0xf bank_mask:0xf
	v_mov_b32_dpp v5, v10 row_shr:1 row_mask:0xf bank_mask:0xf
	v_mov_b32_dpp v9, v8 row_shr:1 row_mask:0xf bank_mask:0xf
	v_add_f32_e32 v0, v11, v0
	v_add_f32_e32 v2, v12, v2
	v_add_f32_e32 v5, v10, v5
	v_add_f32_e32 v8, v8, v9
	v_mov_b32_dpp v1, v0 row_shr:2 row_mask:0xf bank_mask:0xf
	v_mov_b32_dpp v3, v2 row_shr:2 row_mask:0xf bank_mask:0xf
	v_mov_b32_dpp v6, v5 row_shr:2 row_mask:0xf bank_mask:0xf
	v_mov_b32_dpp v9, v8 row_shr:2 row_mask:0xf bank_mask:0xf
	v_add_f32_e32 v0, v0, v1
	v_add_f32_e32 v2, v2, v3
	v_add_f32_e32 v5, v5, v6
	v_add_f32_e32 v8, v8, v9
	;; [unrolled: 8-line block ×4, first 2 shown]
	v_mov_b32_dpp v1, v0 row_bcast:15 row_mask:0xa bank_mask:0xf
	v_mov_b32_dpp v3, v2 row_bcast:15 row_mask:0xa bank_mask:0xf
	;; [unrolled: 1-line block ×4, first 2 shown]
	v_cmp_eq_u32_e32 vcc, 31, v7
	s_and_b64 exec, exec, vcc
	s_cbranch_execz .LBB28_22
; %bb.19:
	s_load_dwordx2 s[0:1], s[4:5], 0x38
	v_add_f32_e32 v0, v0, v1
	v_add_f32_e32 v1, v2, v3
	;; [unrolled: 1-line block ×4, first 2 shown]
	v_cmp_eq_f32_e64 s[4:5], s2, 0
	s_and_b64 vcc, exec, s[4:5]
	v_mul_f32_e32 v0, s16, v0
	v_mul_f32_e32 v1, s16, v1
	;; [unrolled: 1-line block ×4, first 2 shown]
	v_lshlrev_b32_e32 v4, 2, v4
	s_cbranch_vccz .LBB28_23
; %bb.20:
	v_ashrrev_i32_e32 v5, 31, v4
	v_lshlrev_b64 v[5:6], 2, v[4:5]
	s_waitcnt lgkmcnt(0)
	v_mov_b32_e32 v7, s1
	v_add_co_u32_e32 v5, vcc, s0, v5
	v_addc_co_u32_e32 v6, vcc, v7, v6, vcc
	global_store_dwordx4 v[5:6], v[0:3], off
	s_cbranch_execnz .LBB28_22
.LBB28_21:
	v_ashrrev_i32_e32 v5, 31, v4
	v_lshlrev_b64 v[4:5], 2, v[4:5]
	s_waitcnt lgkmcnt(0)
	v_mov_b32_e32 v6, s1
	v_add_co_u32_e32 v8, vcc, s0, v4
	v_addc_co_u32_e32 v9, vcc, v6, v5, vcc
	global_load_dwordx4 v[4:7], v[8:9], off
	s_waitcnt vmcnt(0)
	v_fmac_f32_e32 v0, s2, v4
	v_fmac_f32_e32 v1, s2, v5
	;; [unrolled: 1-line block ×4, first 2 shown]
	global_store_dwordx4 v[8:9], v[0:3], off
.LBB28_22:
	s_endpgm
.LBB28_23:
	s_branch .LBB28_21
	.section	.rodata,"a",@progbits
	.p2align	6, 0x0
	.amdhsa_kernel _ZN9rocsparseL19gebsrmvn_4xn_kernelILj128ELj7ELj32EfEEvi20rocsparse_direction_NS_24const_host_device_scalarIT2_EEPKiS6_PKS3_S8_S4_PS3_21rocsparse_index_base_b
		.amdhsa_group_segment_fixed_size 0
		.amdhsa_private_segment_fixed_size 0
		.amdhsa_kernarg_size 72
		.amdhsa_user_sgpr_count 6
		.amdhsa_user_sgpr_private_segment_buffer 1
		.amdhsa_user_sgpr_dispatch_ptr 0
		.amdhsa_user_sgpr_queue_ptr 0
		.amdhsa_user_sgpr_kernarg_segment_ptr 1
		.amdhsa_user_sgpr_dispatch_id 0
		.amdhsa_user_sgpr_flat_scratch_init 0
		.amdhsa_user_sgpr_private_segment_size 0
		.amdhsa_uses_dynamic_stack 0
		.amdhsa_system_sgpr_private_segment_wavefront_offset 0
		.amdhsa_system_sgpr_workgroup_id_x 1
		.amdhsa_system_sgpr_workgroup_id_y 0
		.amdhsa_system_sgpr_workgroup_id_z 0
		.amdhsa_system_sgpr_workgroup_info 0
		.amdhsa_system_vgpr_workitem_id 0
		.amdhsa_next_free_vgpr 29
		.amdhsa_next_free_sgpr 20
		.amdhsa_reserve_vcc 1
		.amdhsa_reserve_flat_scratch 0
		.amdhsa_float_round_mode_32 0
		.amdhsa_float_round_mode_16_64 0
		.amdhsa_float_denorm_mode_32 3
		.amdhsa_float_denorm_mode_16_64 3
		.amdhsa_dx10_clamp 1
		.amdhsa_ieee_mode 1
		.amdhsa_fp16_overflow 0
		.amdhsa_exception_fp_ieee_invalid_op 0
		.amdhsa_exception_fp_denorm_src 0
		.amdhsa_exception_fp_ieee_div_zero 0
		.amdhsa_exception_fp_ieee_overflow 0
		.amdhsa_exception_fp_ieee_underflow 0
		.amdhsa_exception_fp_ieee_inexact 0
		.amdhsa_exception_int_div_zero 0
	.end_amdhsa_kernel
	.section	.text._ZN9rocsparseL19gebsrmvn_4xn_kernelILj128ELj7ELj32EfEEvi20rocsparse_direction_NS_24const_host_device_scalarIT2_EEPKiS6_PKS3_S8_S4_PS3_21rocsparse_index_base_b,"axG",@progbits,_ZN9rocsparseL19gebsrmvn_4xn_kernelILj128ELj7ELj32EfEEvi20rocsparse_direction_NS_24const_host_device_scalarIT2_EEPKiS6_PKS3_S8_S4_PS3_21rocsparse_index_base_b,comdat
.Lfunc_end28:
	.size	_ZN9rocsparseL19gebsrmvn_4xn_kernelILj128ELj7ELj32EfEEvi20rocsparse_direction_NS_24const_host_device_scalarIT2_EEPKiS6_PKS3_S8_S4_PS3_21rocsparse_index_base_b, .Lfunc_end28-_ZN9rocsparseL19gebsrmvn_4xn_kernelILj128ELj7ELj32EfEEvi20rocsparse_direction_NS_24const_host_device_scalarIT2_EEPKiS6_PKS3_S8_S4_PS3_21rocsparse_index_base_b
                                        ; -- End function
	.set _ZN9rocsparseL19gebsrmvn_4xn_kernelILj128ELj7ELj32EfEEvi20rocsparse_direction_NS_24const_host_device_scalarIT2_EEPKiS6_PKS3_S8_S4_PS3_21rocsparse_index_base_b.num_vgpr, 29
	.set _ZN9rocsparseL19gebsrmvn_4xn_kernelILj128ELj7ELj32EfEEvi20rocsparse_direction_NS_24const_host_device_scalarIT2_EEPKiS6_PKS3_S8_S4_PS3_21rocsparse_index_base_b.num_agpr, 0
	.set _ZN9rocsparseL19gebsrmvn_4xn_kernelILj128ELj7ELj32EfEEvi20rocsparse_direction_NS_24const_host_device_scalarIT2_EEPKiS6_PKS3_S8_S4_PS3_21rocsparse_index_base_b.numbered_sgpr, 20
	.set _ZN9rocsparseL19gebsrmvn_4xn_kernelILj128ELj7ELj32EfEEvi20rocsparse_direction_NS_24const_host_device_scalarIT2_EEPKiS6_PKS3_S8_S4_PS3_21rocsparse_index_base_b.num_named_barrier, 0
	.set _ZN9rocsparseL19gebsrmvn_4xn_kernelILj128ELj7ELj32EfEEvi20rocsparse_direction_NS_24const_host_device_scalarIT2_EEPKiS6_PKS3_S8_S4_PS3_21rocsparse_index_base_b.private_seg_size, 0
	.set _ZN9rocsparseL19gebsrmvn_4xn_kernelILj128ELj7ELj32EfEEvi20rocsparse_direction_NS_24const_host_device_scalarIT2_EEPKiS6_PKS3_S8_S4_PS3_21rocsparse_index_base_b.uses_vcc, 1
	.set _ZN9rocsparseL19gebsrmvn_4xn_kernelILj128ELj7ELj32EfEEvi20rocsparse_direction_NS_24const_host_device_scalarIT2_EEPKiS6_PKS3_S8_S4_PS3_21rocsparse_index_base_b.uses_flat_scratch, 0
	.set _ZN9rocsparseL19gebsrmvn_4xn_kernelILj128ELj7ELj32EfEEvi20rocsparse_direction_NS_24const_host_device_scalarIT2_EEPKiS6_PKS3_S8_S4_PS3_21rocsparse_index_base_b.has_dyn_sized_stack, 0
	.set _ZN9rocsparseL19gebsrmvn_4xn_kernelILj128ELj7ELj32EfEEvi20rocsparse_direction_NS_24const_host_device_scalarIT2_EEPKiS6_PKS3_S8_S4_PS3_21rocsparse_index_base_b.has_recursion, 0
	.set _ZN9rocsparseL19gebsrmvn_4xn_kernelILj128ELj7ELj32EfEEvi20rocsparse_direction_NS_24const_host_device_scalarIT2_EEPKiS6_PKS3_S8_S4_PS3_21rocsparse_index_base_b.has_indirect_call, 0
	.section	.AMDGPU.csdata,"",@progbits
; Kernel info:
; codeLenInByte = 2600
; TotalNumSgprs: 24
; NumVgprs: 29
; ScratchSize: 0
; MemoryBound: 0
; FloatMode: 240
; IeeeMode: 1
; LDSByteSize: 0 bytes/workgroup (compile time only)
; SGPRBlocks: 2
; VGPRBlocks: 7
; NumSGPRsForWavesPerEU: 24
; NumVGPRsForWavesPerEU: 29
; Occupancy: 8
; WaveLimiterHint : 1
; COMPUTE_PGM_RSRC2:SCRATCH_EN: 0
; COMPUTE_PGM_RSRC2:USER_SGPR: 6
; COMPUTE_PGM_RSRC2:TRAP_HANDLER: 0
; COMPUTE_PGM_RSRC2:TGID_X_EN: 1
; COMPUTE_PGM_RSRC2:TGID_Y_EN: 0
; COMPUTE_PGM_RSRC2:TGID_Z_EN: 0
; COMPUTE_PGM_RSRC2:TIDIG_COMP_CNT: 0
	.section	.text._ZN9rocsparseL19gebsrmvn_4xn_kernelILj128ELj7ELj64EfEEvi20rocsparse_direction_NS_24const_host_device_scalarIT2_EEPKiS6_PKS3_S8_S4_PS3_21rocsparse_index_base_b,"axG",@progbits,_ZN9rocsparseL19gebsrmvn_4xn_kernelILj128ELj7ELj64EfEEvi20rocsparse_direction_NS_24const_host_device_scalarIT2_EEPKiS6_PKS3_S8_S4_PS3_21rocsparse_index_base_b,comdat
	.globl	_ZN9rocsparseL19gebsrmvn_4xn_kernelILj128ELj7ELj64EfEEvi20rocsparse_direction_NS_24const_host_device_scalarIT2_EEPKiS6_PKS3_S8_S4_PS3_21rocsparse_index_base_b ; -- Begin function _ZN9rocsparseL19gebsrmvn_4xn_kernelILj128ELj7ELj64EfEEvi20rocsparse_direction_NS_24const_host_device_scalarIT2_EEPKiS6_PKS3_S8_S4_PS3_21rocsparse_index_base_b
	.p2align	8
	.type	_ZN9rocsparseL19gebsrmvn_4xn_kernelILj128ELj7ELj64EfEEvi20rocsparse_direction_NS_24const_host_device_scalarIT2_EEPKiS6_PKS3_S8_S4_PS3_21rocsparse_index_base_b,@function
_ZN9rocsparseL19gebsrmvn_4xn_kernelILj128ELj7ELj64EfEEvi20rocsparse_direction_NS_24const_host_device_scalarIT2_EEPKiS6_PKS3_S8_S4_PS3_21rocsparse_index_base_b: ; @_ZN9rocsparseL19gebsrmvn_4xn_kernelILj128ELj7ELj64EfEEvi20rocsparse_direction_NS_24const_host_device_scalarIT2_EEPKiS6_PKS3_S8_S4_PS3_21rocsparse_index_base_b
; %bb.0:
	s_load_dwordx2 s[18:19], s[4:5], 0x40
	s_load_dwordx2 s[16:17], s[4:5], 0x8
	;; [unrolled: 1-line block ×3, first 2 shown]
	s_waitcnt lgkmcnt(0)
	s_bitcmp1_b32 s19, 0
	s_cselect_b64 s[8:9], -1, 0
	s_xor_b64 s[0:1], s[8:9], -1
	s_and_b64 vcc, exec, s[8:9]
	s_cbranch_vccnz .LBB29_2
; %bb.1:
	s_load_dword s16, s[16:17], 0x0
.LBB29_2:
	s_andn2_b64 vcc, exec, s[0:1]
	s_cbranch_vccnz .LBB29_4
; %bb.3:
	s_load_dword s2, s[2:3], 0x0
.LBB29_4:
	s_waitcnt lgkmcnt(0)
	v_cmp_eq_f32_e64 s[0:1], s16, 0
	v_cmp_eq_f32_e64 s[8:9], s2, 1.0
	s_and_b64 s[0:1], s[0:1], s[8:9]
	s_and_b64 vcc, exec, s[0:1]
	s_cbranch_vccnz .LBB29_22
; %bb.5:
	s_load_dwordx2 s[0:1], s[4:5], 0x0
	v_lshrrev_b32_e32 v1, 6, v0
	v_lshl_or_b32 v4, s6, 1, v1
	s_waitcnt lgkmcnt(0)
	v_cmp_gt_i32_e32 vcc, s0, v4
	s_and_saveexec_b64 s[6:7], vcc
	s_cbranch_execz .LBB29_22
; %bb.6:
	s_load_dwordx8 s[8:15], s[4:5], 0x10
	v_ashrrev_i32_e32 v5, 31, v4
	v_lshlrev_b64 v[1:2], 2, v[4:5]
	v_and_b32_e32 v7, 63, v0
	s_cmp_lg_u32 s1, 0
	s_waitcnt lgkmcnt(0)
	v_mov_b32_e32 v3, s9
	v_add_co_u32_e32 v1, vcc, s8, v1
	v_addc_co_u32_e32 v2, vcc, v3, v2, vcc
	global_load_dwordx2 v[1:2], v[1:2], off
	s_waitcnt vmcnt(0)
	v_subrev_u32_e32 v0, s18, v1
	v_subrev_u32_e32 v10, s18, v2
	v_add_u32_e32 v0, v0, v7
	v_cmp_lt_i32_e64 s[0:1], v0, v10
	s_cbranch_scc0 .LBB29_12
; %bb.7:
	v_mov_b32_e32 v11, 0
	v_mov_b32_e32 v8, 0
	;; [unrolled: 1-line block ×4, first 2 shown]
	s_and_saveexec_b64 s[6:7], s[0:1]
	s_cbranch_execz .LBB29_11
; %bb.8:
	v_mad_u64_u32 v[1:2], s[8:9], v0, 28, 24
	v_mov_b32_e32 v3, 0
	s_mov_b64 s[8:9], 0
	v_mov_b32_e32 v13, s11
	v_mov_b32_e32 v14, s13
	v_mov_b32_e32 v15, s15
	v_mov_b32_e32 v5, v0
	v_mov_b32_e32 v11, 0
	v_mov_b32_e32 v8, 0
	v_mov_b32_e32 v9, 0
	v_mov_b32_e32 v12, 0
.LBB29_9:                               ; =>This Inner Loop Header: Depth=1
	v_ashrrev_i32_e32 v6, 31, v5
	v_lshlrev_b64 v[16:17], 2, v[5:6]
	v_subrev_u32_e32 v2, 24, v1
	v_add_co_u32_e32 v16, vcc, s10, v16
	v_addc_co_u32_e32 v17, vcc, v13, v17, vcc
	v_lshlrev_b64 v[18:19], 2, v[2:3]
	global_load_dword v2, v[16:17], off
	v_mov_b32_e32 v23, v3
	v_add_co_u32_e32 v20, vcc, s12, v18
	v_addc_co_u32_e32 v21, vcc, v14, v19, vcc
	v_add_u32_e32 v5, 64, v5
	s_waitcnt vmcnt(0)
	v_subrev_u32_e32 v2, s18, v2
	v_mul_lo_u32 v22, v2, 7
	v_lshlrev_b64 v[16:17], 2, v[22:23]
	v_add_co_u32_e32 v23, vcc, s14, v16
	v_addc_co_u32_e32 v24, vcc, v15, v17, vcc
	global_load_dword v2, v[23:24], off
	global_load_dwordx4 v[16:19], v[20:21], off
	s_waitcnt vmcnt(0)
	v_fmac_f32_e32 v11, v16, v2
	v_fmac_f32_e32 v12, v17, v2
	;; [unrolled: 1-line block ×4, first 2 shown]
	v_subrev_u32_e32 v2, 20, v1
	v_lshlrev_b64 v[16:17], 2, v[2:3]
	v_add_u32_e32 v2, 1, v22
	v_add_co_u32_e32 v20, vcc, s12, v16
	v_addc_co_u32_e32 v21, vcc, v14, v17, vcc
	v_lshlrev_b64 v[16:17], 2, v[2:3]
	v_add_co_u32_e32 v23, vcc, s14, v16
	v_addc_co_u32_e32 v24, vcc, v15, v17, vcc
	global_load_dword v2, v[23:24], off
	global_load_dwordx4 v[16:19], v[20:21], off
	s_waitcnt vmcnt(0)
	v_fmac_f32_e32 v11, v16, v2
	v_fmac_f32_e32 v12, v17, v2
	v_fmac_f32_e32 v9, v18, v2
	v_fmac_f32_e32 v8, v19, v2
	v_add_u32_e32 v2, -16, v1
	v_lshlrev_b64 v[16:17], 2, v[2:3]
	v_add_u32_e32 v2, 2, v22
	v_add_co_u32_e32 v20, vcc, s12, v16
	v_addc_co_u32_e32 v21, vcc, v14, v17, vcc
	v_lshlrev_b64 v[16:17], 2, v[2:3]
	v_add_co_u32_e32 v23, vcc, s14, v16
	v_addc_co_u32_e32 v24, vcc, v15, v17, vcc
	global_load_dword v2, v[23:24], off
	global_load_dwordx4 v[16:19], v[20:21], off
	s_waitcnt vmcnt(0)
	v_fmac_f32_e32 v11, v16, v2
	v_fmac_f32_e32 v12, v17, v2
	v_fmac_f32_e32 v9, v18, v2
	v_fmac_f32_e32 v8, v19, v2
	v_add_u32_e32 v2, -12, v1
	;; [unrolled: 15-line block ×4, first 2 shown]
	v_lshlrev_b64 v[16:17], 2, v[2:3]
	v_add_u32_e32 v2, 5, v22
	v_add_co_u32_e32 v20, vcc, s12, v16
	v_addc_co_u32_e32 v21, vcc, v14, v17, vcc
	v_lshlrev_b64 v[16:17], 2, v[2:3]
	v_add_co_u32_e32 v23, vcc, s14, v16
	v_addc_co_u32_e32 v24, vcc, v15, v17, vcc
	global_load_dword v2, v[23:24], off
	global_load_dwordx4 v[16:19], v[20:21], off
	s_waitcnt vmcnt(0)
	v_fmac_f32_e32 v11, v16, v2
	v_fmac_f32_e32 v12, v17, v2
	v_fmac_f32_e32 v9, v18, v2
	v_fmac_f32_e32 v8, v19, v2
	v_mov_b32_e32 v2, v3
	v_lshlrev_b64 v[16:17], 2, v[1:2]
	v_add_u32_e32 v2, 6, v22
	v_add_co_u32_e32 v20, vcc, s12, v16
	v_addc_co_u32_e32 v21, vcc, v14, v17, vcc
	v_lshlrev_b64 v[16:17], 2, v[2:3]
	v_add_u32_e32 v1, 0x700, v1
	v_add_co_u32_e32 v22, vcc, s14, v16
	v_addc_co_u32_e32 v23, vcc, v15, v17, vcc
	global_load_dwordx4 v[16:19], v[20:21], off
	global_load_dword v2, v[22:23], off
	v_cmp_ge_i32_e32 vcc, v5, v10
	s_or_b64 s[8:9], vcc, s[8:9]
	s_waitcnt vmcnt(0)
	v_fmac_f32_e32 v11, v16, v2
	v_fmac_f32_e32 v12, v17, v2
	;; [unrolled: 1-line block ×4, first 2 shown]
	s_andn2_b64 exec, exec, s[8:9]
	s_cbranch_execnz .LBB29_9
; %bb.10:
	s_or_b64 exec, exec, s[8:9]
.LBB29_11:
	s_or_b64 exec, exec, s[6:7]
	s_cbranch_execz .LBB29_13
	s_branch .LBB29_18
.LBB29_12:
                                        ; implicit-def: $vgpr11
                                        ; implicit-def: $vgpr8
                                        ; implicit-def: $vgpr9
                                        ; implicit-def: $vgpr12
.LBB29_13:
	v_mov_b32_e32 v11, 0
	v_mov_b32_e32 v8, 0
	;; [unrolled: 1-line block ×4, first 2 shown]
	s_and_saveexec_b64 s[6:7], s[0:1]
	s_cbranch_execz .LBB29_17
; %bb.14:
	v_mad_u64_u32 v[2:3], s[0:1], v0, 28, 27
	v_mov_b32_e32 v6, 0
	s_mov_b64 s[0:1], 0
	v_mov_b32_e32 v13, s11
	v_mov_b32_e32 v14, s13
	;; [unrolled: 1-line block ×7, first 2 shown]
.LBB29_15:                              ; =>This Inner Loop Header: Depth=1
	v_ashrrev_i32_e32 v1, 31, v0
	v_lshlrev_b64 v[16:17], 2, v[0:1]
	v_subrev_u32_e32 v5, 27, v2
	v_add_co_u32_e32 v16, vcc, s10, v16
	v_addc_co_u32_e32 v17, vcc, v13, v17, vcc
	global_load_dword v1, v[16:17], off
	v_lshlrev_b64 v[16:17], 2, v[5:6]
	v_mov_b32_e32 v21, v6
	v_add_co_u32_e32 v16, vcc, s12, v16
	v_subrev_u32_e32 v22, 20, v2
	v_addc_co_u32_e32 v17, vcc, v14, v17, vcc
	v_mov_b32_e32 v23, v6
	global_load_dwordx4 v[16:19], v[16:17], off
	v_add_u32_e32 v24, -13, v2
	v_mov_b32_e32 v25, v6
	v_add_u32_e32 v26, -6, v2
	v_add_u32_e32 v0, 64, v0
	s_waitcnt vmcnt(1)
	v_subrev_u32_e32 v1, s18, v1
	v_mul_lo_u32 v20, v1, 7
	v_lshlrev_b64 v[27:28], 2, v[20:21]
	v_lshlrev_b64 v[21:22], 2, v[22:23]
	v_add_co_u32_e32 v27, vcc, s14, v27
	v_addc_co_u32_e32 v28, vcc, v15, v28, vcc
	v_add_co_u32_e32 v21, vcc, s12, v21
	v_addc_co_u32_e32 v22, vcc, v14, v22, vcc
	global_load_dword v1, v[27:28], off
	global_load_dword v3, v[21:22], off
	v_lshlrev_b64 v[21:22], 2, v[24:25]
	v_mov_b32_e32 v27, v6
	v_add_co_u32_e32 v21, vcc, s12, v21
	v_addc_co_u32_e32 v22, vcc, v14, v22, vcc
	v_add_u32_e32 v5, 1, v20
	s_waitcnt vmcnt(1)
	v_fmac_f32_e32 v11, v16, v1
	s_waitcnt vmcnt(0)
	v_fmac_f32_e32 v12, v3, v1
	global_load_dword v3, v[21:22], off
	v_lshlrev_b64 v[21:22], 2, v[26:27]
	v_add_co_u32_e32 v21, vcc, s12, v21
	v_addc_co_u32_e32 v22, vcc, v14, v22, vcc
	s_waitcnt vmcnt(0)
	v_fmac_f32_e32 v9, v3, v1
	global_load_dword v3, v[21:22], off
	v_lshlrev_b64 v[21:22], 2, v[5:6]
	v_subrev_u32_e32 v5, 19, v2
	v_add_co_u32_e32 v21, vcc, s14, v21
	v_addc_co_u32_e32 v22, vcc, v15, v22, vcc
	s_waitcnt vmcnt(0)
	v_fmac_f32_e32 v8, v3, v1
	global_load_dword v1, v[21:22], off
	s_waitcnt vmcnt(0)
	v_fmac_f32_e32 v11, v17, v1
	v_lshlrev_b64 v[16:17], 2, v[5:6]
	v_add_u32_e32 v5, -12, v2
	v_add_co_u32_e32 v16, vcc, s12, v16
	v_addc_co_u32_e32 v17, vcc, v14, v17, vcc
	global_load_dword v3, v[16:17], off
	v_lshlrev_b64 v[16:17], 2, v[5:6]
	v_add_u32_e32 v5, -5, v2
	v_add_co_u32_e32 v16, vcc, s12, v16
	v_addc_co_u32_e32 v17, vcc, v14, v17, vcc
	s_waitcnt vmcnt(0)
	v_fmac_f32_e32 v12, v3, v1
	global_load_dword v3, v[16:17], off
	v_lshlrev_b64 v[16:17], 2, v[5:6]
	v_add_u32_e32 v5, 2, v20
	v_add_co_u32_e32 v16, vcc, s12, v16
	v_addc_co_u32_e32 v17, vcc, v14, v17, vcc
	s_waitcnt vmcnt(0)
	v_fmac_f32_e32 v9, v3, v1
	global_load_dword v3, v[16:17], off
	v_lshlrev_b64 v[16:17], 2, v[5:6]
	v_subrev_u32_e32 v5, 18, v2
	v_add_co_u32_e32 v16, vcc, s14, v16
	v_addc_co_u32_e32 v17, vcc, v15, v17, vcc
	s_waitcnt vmcnt(0)
	v_fmac_f32_e32 v8, v3, v1
	global_load_dword v1, v[16:17], off
	v_lshlrev_b64 v[16:17], 2, v[5:6]
	v_add_u32_e32 v5, -11, v2
	v_add_co_u32_e32 v16, vcc, s12, v16
	v_addc_co_u32_e32 v17, vcc, v14, v17, vcc
	global_load_dword v3, v[16:17], off
	v_lshlrev_b64 v[16:17], 2, v[5:6]
	v_add_u32_e32 v5, -4, v2
	v_add_co_u32_e32 v16, vcc, s12, v16
	v_addc_co_u32_e32 v17, vcc, v14, v17, vcc
	s_waitcnt vmcnt(1)
	v_fmac_f32_e32 v11, v18, v1
	s_waitcnt vmcnt(0)
	v_fmac_f32_e32 v12, v3, v1
	global_load_dword v3, v[16:17], off
	v_lshlrev_b64 v[16:17], 2, v[5:6]
	v_add_u32_e32 v5, 3, v20
	v_add_co_u32_e32 v16, vcc, s12, v16
	v_addc_co_u32_e32 v17, vcc, v14, v17, vcc
	s_waitcnt vmcnt(0)
	v_fmac_f32_e32 v9, v3, v1
	global_load_dword v3, v[16:17], off
	v_lshlrev_b64 v[16:17], 2, v[5:6]
	v_subrev_u32_e32 v5, 17, v2
	v_add_co_u32_e32 v16, vcc, s14, v16
	v_addc_co_u32_e32 v17, vcc, v15, v17, vcc
	s_waitcnt vmcnt(0)
	v_fmac_f32_e32 v8, v3, v1
	global_load_dword v1, v[16:17], off
	v_lshlrev_b64 v[16:17], 2, v[5:6]
	v_add_u32_e32 v5, -10, v2
	v_add_co_u32_e32 v16, vcc, s12, v16
	v_addc_co_u32_e32 v17, vcc, v14, v17, vcc
	global_load_dword v3, v[16:17], off
	v_lshlrev_b64 v[16:17], 2, v[5:6]
	v_add_u32_e32 v5, -3, v2
	v_add_co_u32_e32 v16, vcc, s12, v16
	v_addc_co_u32_e32 v17, vcc, v14, v17, vcc
	s_waitcnt vmcnt(1)
	v_fmac_f32_e32 v11, v19, v1
	s_waitcnt vmcnt(0)
	v_fmac_f32_e32 v12, v3, v1
	global_load_dword v3, v[16:17], off
	v_lshlrev_b64 v[16:17], 2, v[5:6]
	v_subrev_u32_e32 v5, 23, v2
	v_add_co_u32_e32 v16, vcc, s12, v16
	v_addc_co_u32_e32 v17, vcc, v14, v17, vcc
	s_waitcnt vmcnt(0)
	v_fmac_f32_e32 v9, v3, v1
	global_load_dword v3, v[16:17], off
	v_lshlrev_b64 v[16:17], 2, v[5:6]
	v_add_u32_e32 v5, 4, v20
	v_add_co_u32_e32 v16, vcc, s12, v16
	v_addc_co_u32_e32 v17, vcc, v14, v17, vcc
	s_waitcnt vmcnt(0)
	v_fmac_f32_e32 v8, v3, v1
	global_load_dword v1, v[16:17], off
	v_lshlrev_b64 v[16:17], 2, v[5:6]
	v_add_u32_e32 v5, -16, v2
	v_add_co_u32_e32 v16, vcc, s14, v16
	v_addc_co_u32_e32 v17, vcc, v15, v17, vcc
	global_load_dword v3, v[16:17], off
	v_lshlrev_b64 v[16:17], 2, v[5:6]
	v_add_u32_e32 v5, -9, v2
	v_add_co_u32_e32 v16, vcc, s12, v16
	v_addc_co_u32_e32 v17, vcc, v14, v17, vcc
	s_waitcnt vmcnt(0)
	v_fmac_f32_e32 v11, v1, v3
	global_load_dword v1, v[16:17], off
	v_lshlrev_b64 v[16:17], 2, v[5:6]
	v_add_u32_e32 v5, -2, v2
	v_add_co_u32_e32 v16, vcc, s12, v16
	v_addc_co_u32_e32 v17, vcc, v14, v17, vcc
	s_waitcnt vmcnt(0)
	v_fmac_f32_e32 v12, v1, v3
	global_load_dword v1, v[16:17], off
	v_lshlrev_b64 v[16:17], 2, v[5:6]
	v_subrev_u32_e32 v5, 22, v2
	v_add_co_u32_e32 v16, vcc, s12, v16
	v_addc_co_u32_e32 v17, vcc, v14, v17, vcc
	s_waitcnt vmcnt(0)
	v_fmac_f32_e32 v9, v1, v3
	global_load_dword v1, v[16:17], off
	v_lshlrev_b64 v[16:17], 2, v[5:6]
	v_add_u32_e32 v5, 5, v20
	v_add_co_u32_e32 v16, vcc, s12, v16
	v_addc_co_u32_e32 v17, vcc, v14, v17, vcc
	s_waitcnt vmcnt(0)
	v_fmac_f32_e32 v8, v1, v3
	global_load_dword v1, v[16:17], off
	v_lshlrev_b64 v[16:17], 2, v[5:6]
	v_add_u32_e32 v5, -15, v2
	v_add_co_u32_e32 v16, vcc, s14, v16
	v_addc_co_u32_e32 v17, vcc, v15, v17, vcc
	global_load_dword v3, v[16:17], off
	v_lshlrev_b64 v[16:17], 2, v[5:6]
	v_add_u32_e32 v5, -8, v2
	v_add_co_u32_e32 v16, vcc, s12, v16
	v_addc_co_u32_e32 v17, vcc, v14, v17, vcc
	s_waitcnt vmcnt(0)
	v_fmac_f32_e32 v11, v1, v3
	global_load_dword v1, v[16:17], off
	v_lshlrev_b64 v[16:17], 2, v[5:6]
	v_add_u32_e32 v5, -1, v2
	v_add_co_u32_e32 v16, vcc, s12, v16
	v_addc_co_u32_e32 v17, vcc, v14, v17, vcc
	s_waitcnt vmcnt(0)
	v_fmac_f32_e32 v12, v1, v3
	global_load_dword v1, v[16:17], off
	v_lshlrev_b64 v[16:17], 2, v[5:6]
	v_subrev_u32_e32 v5, 21, v2
	v_add_co_u32_e32 v16, vcc, s12, v16
	v_addc_co_u32_e32 v17, vcc, v14, v17, vcc
	s_waitcnt vmcnt(0)
	v_fmac_f32_e32 v9, v1, v3
	global_load_dword v1, v[16:17], off
	v_lshlrev_b64 v[16:17], 2, v[5:6]
	v_add_u32_e32 v5, 6, v20
	v_add_co_u32_e32 v16, vcc, s12, v16
	v_addc_co_u32_e32 v17, vcc, v14, v17, vcc
	s_waitcnt vmcnt(0)
	v_fmac_f32_e32 v8, v1, v3
	global_load_dword v1, v[16:17], off
	v_lshlrev_b64 v[16:17], 2, v[5:6]
	v_add_u32_e32 v5, -14, v2
	v_add_co_u32_e32 v16, vcc, s14, v16
	v_addc_co_u32_e32 v17, vcc, v15, v17, vcc
	global_load_dword v18, v[16:17], off
	v_lshlrev_b64 v[16:17], 2, v[5:6]
	v_add_u32_e32 v5, -7, v2
	v_add_co_u32_e32 v16, vcc, s12, v16
	v_addc_co_u32_e32 v17, vcc, v14, v17, vcc
	v_mov_b32_e32 v3, v6
	s_waitcnt vmcnt(0)
	v_fmac_f32_e32 v11, v1, v18
	global_load_dword v1, v[16:17], off
	v_lshlrev_b64 v[16:17], 2, v[5:6]
	v_add_co_u32_e32 v16, vcc, s12, v16
	v_addc_co_u32_e32 v17, vcc, v14, v17, vcc
	s_waitcnt vmcnt(0)
	v_fmac_f32_e32 v12, v1, v18
	global_load_dword v1, v[16:17], off
	v_lshlrev_b64 v[16:17], 2, v[2:3]
	v_add_u32_e32 v2, 0x700, v2
	v_add_co_u32_e32 v16, vcc, s12, v16
	v_addc_co_u32_e32 v17, vcc, v14, v17, vcc
	v_cmp_ge_i32_e32 vcc, v0, v10
	s_or_b64 s[0:1], vcc, s[0:1]
	s_waitcnt vmcnt(0)
	v_fmac_f32_e32 v9, v1, v18
	global_load_dword v1, v[16:17], off
	s_waitcnt vmcnt(0)
	v_fmac_f32_e32 v8, v1, v18
	s_andn2_b64 exec, exec, s[0:1]
	s_cbranch_execnz .LBB29_15
; %bb.16:
	s_or_b64 exec, exec, s[0:1]
.LBB29_17:
	s_or_b64 exec, exec, s[6:7]
.LBB29_18:
	v_mov_b32_dpp v5, v9 row_shr:1 row_mask:0xf bank_mask:0xf
	v_mov_b32_dpp v0, v11 row_shr:1 row_mask:0xf bank_mask:0xf
	;; [unrolled: 1-line block ×3, first 2 shown]
	v_add_f32_e32 v5, v9, v5
	v_mov_b32_dpp v9, v8 row_shr:1 row_mask:0xf bank_mask:0xf
	v_add_f32_e32 v0, v11, v0
	v_add_f32_e32 v2, v12, v2
	v_add_f32_e32 v8, v8, v9
	v_mov_b32_dpp v1, v0 row_shr:2 row_mask:0xf bank_mask:0xf
	v_mov_b32_dpp v3, v2 row_shr:2 row_mask:0xf bank_mask:0xf
	v_mov_b32_dpp v6, v5 row_shr:2 row_mask:0xf bank_mask:0xf
	v_mov_b32_dpp v9, v8 row_shr:2 row_mask:0xf bank_mask:0xf
	v_add_f32_e32 v0, v0, v1
	v_add_f32_e32 v2, v2, v3
	v_add_f32_e32 v5, v5, v6
	v_add_f32_e32 v8, v8, v9
	v_mov_b32_dpp v1, v0 row_shr:4 row_mask:0xf bank_mask:0xe
	v_mov_b32_dpp v3, v2 row_shr:4 row_mask:0xf bank_mask:0xe
	v_mov_b32_dpp v6, v5 row_shr:4 row_mask:0xf bank_mask:0xe
	v_mov_b32_dpp v9, v8 row_shr:4 row_mask:0xf bank_mask:0xe
	v_add_f32_e32 v0, v0, v1
	;; [unrolled: 8-line block ×3, first 2 shown]
	v_add_f32_e32 v2, v2, v3
	v_add_f32_e32 v5, v5, v6
	;; [unrolled: 1-line block ×3, first 2 shown]
	v_mov_b32_dpp v1, v0 row_bcast:15 row_mask:0xa bank_mask:0xf
	v_mov_b32_dpp v3, v2 row_bcast:15 row_mask:0xa bank_mask:0xf
	;; [unrolled: 1-line block ×4, first 2 shown]
	v_add_f32_e32 v0, v0, v1
	v_add_f32_e32 v2, v2, v3
	;; [unrolled: 1-line block ×4, first 2 shown]
	v_mov_b32_dpp v1, v0 row_bcast:31 row_mask:0xc bank_mask:0xf
	v_mov_b32_dpp v3, v2 row_bcast:31 row_mask:0xc bank_mask:0xf
	;; [unrolled: 1-line block ×4, first 2 shown]
	v_cmp_eq_u32_e32 vcc, 63, v7
	s_and_b64 exec, exec, vcc
	s_cbranch_execz .LBB29_22
; %bb.19:
	s_load_dwordx2 s[0:1], s[4:5], 0x38
	v_add_f32_e32 v0, v0, v1
	v_add_f32_e32 v1, v2, v3
	;; [unrolled: 1-line block ×4, first 2 shown]
	v_cmp_eq_f32_e64 s[4:5], s2, 0
	s_and_b64 vcc, exec, s[4:5]
	v_mul_f32_e32 v0, s16, v0
	v_mul_f32_e32 v1, s16, v1
	;; [unrolled: 1-line block ×4, first 2 shown]
	v_lshlrev_b32_e32 v4, 2, v4
	s_cbranch_vccz .LBB29_23
; %bb.20:
	v_ashrrev_i32_e32 v5, 31, v4
	v_lshlrev_b64 v[5:6], 2, v[4:5]
	s_waitcnt lgkmcnt(0)
	v_mov_b32_e32 v7, s1
	v_add_co_u32_e32 v5, vcc, s0, v5
	v_addc_co_u32_e32 v6, vcc, v7, v6, vcc
	global_store_dwordx4 v[5:6], v[0:3], off
	s_cbranch_execnz .LBB29_22
.LBB29_21:
	v_ashrrev_i32_e32 v5, 31, v4
	v_lshlrev_b64 v[4:5], 2, v[4:5]
	s_waitcnt lgkmcnt(0)
	v_mov_b32_e32 v6, s1
	v_add_co_u32_e32 v8, vcc, s0, v4
	v_addc_co_u32_e32 v9, vcc, v6, v5, vcc
	global_load_dwordx4 v[4:7], v[8:9], off
	s_waitcnt vmcnt(0)
	v_fmac_f32_e32 v0, s2, v4
	v_fmac_f32_e32 v1, s2, v5
	v_fmac_f32_e32 v2, s2, v6
	v_fmac_f32_e32 v3, s2, v7
	global_store_dwordx4 v[8:9], v[0:3], off
.LBB29_22:
	s_endpgm
.LBB29_23:
	s_branch .LBB29_21
	.section	.rodata,"a",@progbits
	.p2align	6, 0x0
	.amdhsa_kernel _ZN9rocsparseL19gebsrmvn_4xn_kernelILj128ELj7ELj64EfEEvi20rocsparse_direction_NS_24const_host_device_scalarIT2_EEPKiS6_PKS3_S8_S4_PS3_21rocsparse_index_base_b
		.amdhsa_group_segment_fixed_size 0
		.amdhsa_private_segment_fixed_size 0
		.amdhsa_kernarg_size 72
		.amdhsa_user_sgpr_count 6
		.amdhsa_user_sgpr_private_segment_buffer 1
		.amdhsa_user_sgpr_dispatch_ptr 0
		.amdhsa_user_sgpr_queue_ptr 0
		.amdhsa_user_sgpr_kernarg_segment_ptr 1
		.amdhsa_user_sgpr_dispatch_id 0
		.amdhsa_user_sgpr_flat_scratch_init 0
		.amdhsa_user_sgpr_private_segment_size 0
		.amdhsa_uses_dynamic_stack 0
		.amdhsa_system_sgpr_private_segment_wavefront_offset 0
		.amdhsa_system_sgpr_workgroup_id_x 1
		.amdhsa_system_sgpr_workgroup_id_y 0
		.amdhsa_system_sgpr_workgroup_id_z 0
		.amdhsa_system_sgpr_workgroup_info 0
		.amdhsa_system_vgpr_workitem_id 0
		.amdhsa_next_free_vgpr 29
		.amdhsa_next_free_sgpr 20
		.amdhsa_reserve_vcc 1
		.amdhsa_reserve_flat_scratch 0
		.amdhsa_float_round_mode_32 0
		.amdhsa_float_round_mode_16_64 0
		.amdhsa_float_denorm_mode_32 3
		.amdhsa_float_denorm_mode_16_64 3
		.amdhsa_dx10_clamp 1
		.amdhsa_ieee_mode 1
		.amdhsa_fp16_overflow 0
		.amdhsa_exception_fp_ieee_invalid_op 0
		.amdhsa_exception_fp_denorm_src 0
		.amdhsa_exception_fp_ieee_div_zero 0
		.amdhsa_exception_fp_ieee_overflow 0
		.amdhsa_exception_fp_ieee_underflow 0
		.amdhsa_exception_fp_ieee_inexact 0
		.amdhsa_exception_int_div_zero 0
	.end_amdhsa_kernel
	.section	.text._ZN9rocsparseL19gebsrmvn_4xn_kernelILj128ELj7ELj64EfEEvi20rocsparse_direction_NS_24const_host_device_scalarIT2_EEPKiS6_PKS3_S8_S4_PS3_21rocsparse_index_base_b,"axG",@progbits,_ZN9rocsparseL19gebsrmvn_4xn_kernelILj128ELj7ELj64EfEEvi20rocsparse_direction_NS_24const_host_device_scalarIT2_EEPKiS6_PKS3_S8_S4_PS3_21rocsparse_index_base_b,comdat
.Lfunc_end29:
	.size	_ZN9rocsparseL19gebsrmvn_4xn_kernelILj128ELj7ELj64EfEEvi20rocsparse_direction_NS_24const_host_device_scalarIT2_EEPKiS6_PKS3_S8_S4_PS3_21rocsparse_index_base_b, .Lfunc_end29-_ZN9rocsparseL19gebsrmvn_4xn_kernelILj128ELj7ELj64EfEEvi20rocsparse_direction_NS_24const_host_device_scalarIT2_EEPKiS6_PKS3_S8_S4_PS3_21rocsparse_index_base_b
                                        ; -- End function
	.set _ZN9rocsparseL19gebsrmvn_4xn_kernelILj128ELj7ELj64EfEEvi20rocsparse_direction_NS_24const_host_device_scalarIT2_EEPKiS6_PKS3_S8_S4_PS3_21rocsparse_index_base_b.num_vgpr, 29
	.set _ZN9rocsparseL19gebsrmvn_4xn_kernelILj128ELj7ELj64EfEEvi20rocsparse_direction_NS_24const_host_device_scalarIT2_EEPKiS6_PKS3_S8_S4_PS3_21rocsparse_index_base_b.num_agpr, 0
	.set _ZN9rocsparseL19gebsrmvn_4xn_kernelILj128ELj7ELj64EfEEvi20rocsparse_direction_NS_24const_host_device_scalarIT2_EEPKiS6_PKS3_S8_S4_PS3_21rocsparse_index_base_b.numbered_sgpr, 20
	.set _ZN9rocsparseL19gebsrmvn_4xn_kernelILj128ELj7ELj64EfEEvi20rocsparse_direction_NS_24const_host_device_scalarIT2_EEPKiS6_PKS3_S8_S4_PS3_21rocsparse_index_base_b.num_named_barrier, 0
	.set _ZN9rocsparseL19gebsrmvn_4xn_kernelILj128ELj7ELj64EfEEvi20rocsparse_direction_NS_24const_host_device_scalarIT2_EEPKiS6_PKS3_S8_S4_PS3_21rocsparse_index_base_b.private_seg_size, 0
	.set _ZN9rocsparseL19gebsrmvn_4xn_kernelILj128ELj7ELj64EfEEvi20rocsparse_direction_NS_24const_host_device_scalarIT2_EEPKiS6_PKS3_S8_S4_PS3_21rocsparse_index_base_b.uses_vcc, 1
	.set _ZN9rocsparseL19gebsrmvn_4xn_kernelILj128ELj7ELj64EfEEvi20rocsparse_direction_NS_24const_host_device_scalarIT2_EEPKiS6_PKS3_S8_S4_PS3_21rocsparse_index_base_b.uses_flat_scratch, 0
	.set _ZN9rocsparseL19gebsrmvn_4xn_kernelILj128ELj7ELj64EfEEvi20rocsparse_direction_NS_24const_host_device_scalarIT2_EEPKiS6_PKS3_S8_S4_PS3_21rocsparse_index_base_b.has_dyn_sized_stack, 0
	.set _ZN9rocsparseL19gebsrmvn_4xn_kernelILj128ELj7ELj64EfEEvi20rocsparse_direction_NS_24const_host_device_scalarIT2_EEPKiS6_PKS3_S8_S4_PS3_21rocsparse_index_base_b.has_recursion, 0
	.set _ZN9rocsparseL19gebsrmvn_4xn_kernelILj128ELj7ELj64EfEEvi20rocsparse_direction_NS_24const_host_device_scalarIT2_EEPKiS6_PKS3_S8_S4_PS3_21rocsparse_index_base_b.has_indirect_call, 0
	.section	.AMDGPU.csdata,"",@progbits
; Kernel info:
; codeLenInByte = 2648
; TotalNumSgprs: 24
; NumVgprs: 29
; ScratchSize: 0
; MemoryBound: 0
; FloatMode: 240
; IeeeMode: 1
; LDSByteSize: 0 bytes/workgroup (compile time only)
; SGPRBlocks: 2
; VGPRBlocks: 7
; NumSGPRsForWavesPerEU: 24
; NumVGPRsForWavesPerEU: 29
; Occupancy: 8
; WaveLimiterHint : 1
; COMPUTE_PGM_RSRC2:SCRATCH_EN: 0
; COMPUTE_PGM_RSRC2:USER_SGPR: 6
; COMPUTE_PGM_RSRC2:TRAP_HANDLER: 0
; COMPUTE_PGM_RSRC2:TGID_X_EN: 1
; COMPUTE_PGM_RSRC2:TGID_Y_EN: 0
; COMPUTE_PGM_RSRC2:TGID_Z_EN: 0
; COMPUTE_PGM_RSRC2:TIDIG_COMP_CNT: 0
	.section	.text._ZN9rocsparseL19gebsrmvn_4xn_kernelILj128ELj8ELj4EfEEvi20rocsparse_direction_NS_24const_host_device_scalarIT2_EEPKiS6_PKS3_S8_S4_PS3_21rocsparse_index_base_b,"axG",@progbits,_ZN9rocsparseL19gebsrmvn_4xn_kernelILj128ELj8ELj4EfEEvi20rocsparse_direction_NS_24const_host_device_scalarIT2_EEPKiS6_PKS3_S8_S4_PS3_21rocsparse_index_base_b,comdat
	.globl	_ZN9rocsparseL19gebsrmvn_4xn_kernelILj128ELj8ELj4EfEEvi20rocsparse_direction_NS_24const_host_device_scalarIT2_EEPKiS6_PKS3_S8_S4_PS3_21rocsparse_index_base_b ; -- Begin function _ZN9rocsparseL19gebsrmvn_4xn_kernelILj128ELj8ELj4EfEEvi20rocsparse_direction_NS_24const_host_device_scalarIT2_EEPKiS6_PKS3_S8_S4_PS3_21rocsparse_index_base_b
	.p2align	8
	.type	_ZN9rocsparseL19gebsrmvn_4xn_kernelILj128ELj8ELj4EfEEvi20rocsparse_direction_NS_24const_host_device_scalarIT2_EEPKiS6_PKS3_S8_S4_PS3_21rocsparse_index_base_b,@function
_ZN9rocsparseL19gebsrmvn_4xn_kernelILj128ELj8ELj4EfEEvi20rocsparse_direction_NS_24const_host_device_scalarIT2_EEPKiS6_PKS3_S8_S4_PS3_21rocsparse_index_base_b: ; @_ZN9rocsparseL19gebsrmvn_4xn_kernelILj128ELj8ELj4EfEEvi20rocsparse_direction_NS_24const_host_device_scalarIT2_EEPKiS6_PKS3_S8_S4_PS3_21rocsparse_index_base_b
; %bb.0:
	s_load_dwordx2 s[18:19], s[4:5], 0x40
	s_load_dwordx2 s[16:17], s[4:5], 0x8
	;; [unrolled: 1-line block ×3, first 2 shown]
	s_waitcnt lgkmcnt(0)
	s_bitcmp1_b32 s19, 0
	s_cselect_b64 s[8:9], -1, 0
	s_xor_b64 s[0:1], s[8:9], -1
	s_and_b64 vcc, exec, s[8:9]
	s_cbranch_vccnz .LBB30_2
; %bb.1:
	s_load_dword s16, s[16:17], 0x0
.LBB30_2:
	s_andn2_b64 vcc, exec, s[0:1]
	s_cbranch_vccnz .LBB30_4
; %bb.3:
	s_load_dword s2, s[2:3], 0x0
.LBB30_4:
	s_waitcnt lgkmcnt(0)
	v_cmp_eq_f32_e64 s[0:1], s16, 0
	v_cmp_eq_f32_e64 s[8:9], s2, 1.0
	s_and_b64 s[0:1], s[0:1], s[8:9]
	s_and_b64 vcc, exec, s[0:1]
	s_cbranch_vccnz .LBB30_22
; %bb.5:
	s_load_dwordx2 s[0:1], s[4:5], 0x0
	v_lshrrev_b32_e32 v1, 2, v0
	v_lshl_or_b32 v4, s6, 5, v1
	s_waitcnt lgkmcnt(0)
	v_cmp_gt_i32_e32 vcc, s0, v4
	s_and_saveexec_b64 s[6:7], vcc
	s_cbranch_execz .LBB30_22
; %bb.6:
	s_load_dwordx8 s[8:15], s[4:5], 0x10
	v_ashrrev_i32_e32 v5, 31, v4
	v_lshlrev_b64 v[1:2], 2, v[4:5]
	v_and_b32_e32 v7, 3, v0
	s_cmp_lg_u32 s1, 0
	s_waitcnt lgkmcnt(0)
	v_mov_b32_e32 v3, s9
	v_add_co_u32_e32 v1, vcc, s8, v1
	v_addc_co_u32_e32 v2, vcc, v3, v2, vcc
	global_load_dwordx2 v[1:2], v[1:2], off
	s_waitcnt vmcnt(0)
	v_subrev_u32_e32 v0, s18, v1
	v_subrev_u32_e32 v8, s18, v2
	v_add_u32_e32 v0, v0, v7
	v_cmp_lt_i32_e64 s[0:1], v0, v8
	s_cbranch_scc0 .LBB30_12
; %bb.7:
	v_mov_b32_e32 v10, 0
	v_mov_b32_e32 v9, 0
	;; [unrolled: 1-line block ×4, first 2 shown]
	s_and_saveexec_b64 s[6:7], s[0:1]
	s_cbranch_execz .LBB30_11
; %bb.8:
	v_mov_b32_e32 v2, 0
	v_lshlrev_b32_e32 v1, 5, v0
	s_mov_b64 s[8:9], 0
	v_mov_b32_e32 v3, s11
	v_mov_b32_e32 v13, s13
	;; [unrolled: 1-line block ×8, first 2 shown]
.LBB30_9:                               ; =>This Inner Loop Header: Depth=1
	v_lshlrev_b64 v[15:16], 2, v[1:2]
	v_ashrrev_i32_e32 v6, 31, v5
	v_lshlrev_b64 v[17:18], 2, v[5:6]
	v_add_co_u32_e32 v47, vcc, s12, v15
	v_addc_co_u32_e32 v48, vcc, v13, v16, vcc
	v_add_co_u32_e32 v37, vcc, s10, v17
	v_addc_co_u32_e32 v38, vcc, v3, v18, vcc
	global_load_dwordx4 v[15:18], v[47:48], off
	global_load_dwordx4 v[19:22], v[47:48], off offset:16
	global_load_dwordx4 v[23:26], v[47:48], off offset:32
	;; [unrolled: 1-line block ×4, first 2 shown]
	global_load_dword v6, v[37:38], off
	v_mov_b32_e32 v36, v2
	v_add_u32_e32 v5, 4, v5
	v_add_u32_e32 v1, 0x80, v1
	s_waitcnt vmcnt(0)
	v_subrev_u32_e32 v6, s18, v6
	v_lshlrev_b32_e32 v35, 3, v6
	v_lshlrev_b64 v[35:36], 2, v[35:36]
	v_add_co_u32_e32 v43, vcc, s14, v35
	v_addc_co_u32_e32 v44, vcc, v14, v36, vcc
	global_load_dwordx4 v[35:38], v[43:44], off
	global_load_dwordx4 v[39:42], v[43:44], off offset:16
	v_cmp_ge_i32_e32 vcc, v5, v8
	s_or_b64 s[8:9], vcc, s[8:9]
	s_waitcnt vmcnt(1)
	v_fmac_f32_e32 v10, v15, v35
	v_fmac_f32_e32 v12, v16, v35
	;; [unrolled: 1-line block ×4, first 2 shown]
	global_load_dwordx4 v[15:18], v[47:48], off offset:80
	v_fmac_f32_e32 v10, v19, v36
	v_fmac_f32_e32 v12, v20, v36
	;; [unrolled: 1-line block ×4, first 2 shown]
	global_load_dwordx4 v[19:22], v[47:48], off offset:96
	global_load_dwordx4 v[43:46], v[47:48], off offset:112
	v_fmac_f32_e32 v10, v23, v37
	v_fmac_f32_e32 v12, v24, v37
	;; [unrolled: 1-line block ×8, first 2 shown]
	s_waitcnt vmcnt(3)
	v_fmac_f32_e32 v10, v31, v39
	v_fmac_f32_e32 v12, v32, v39
	v_fmac_f32_e32 v11, v33, v39
	v_fmac_f32_e32 v9, v34, v39
	s_waitcnt vmcnt(2)
	v_fmac_f32_e32 v10, v15, v40
	v_fmac_f32_e32 v12, v16, v40
	v_fmac_f32_e32 v11, v17, v40
	v_fmac_f32_e32 v9, v18, v40
	s_waitcnt vmcnt(1)
	v_fmac_f32_e32 v10, v19, v41
	v_fmac_f32_e32 v12, v20, v41
	v_fmac_f32_e32 v11, v21, v41
	v_fmac_f32_e32 v9, v22, v41
	s_waitcnt vmcnt(0)
	v_fmac_f32_e32 v10, v43, v42
	v_fmac_f32_e32 v12, v44, v42
	v_fmac_f32_e32 v11, v45, v42
	v_fmac_f32_e32 v9, v46, v42
	s_andn2_b64 exec, exec, s[8:9]
	s_cbranch_execnz .LBB30_9
; %bb.10:
	s_or_b64 exec, exec, s[8:9]
.LBB30_11:
	s_or_b64 exec, exec, s[6:7]
	s_cbranch_execz .LBB30_13
	s_branch .LBB30_18
.LBB30_12:
                                        ; implicit-def: $vgpr10
                                        ; implicit-def: $vgpr9
                                        ; implicit-def: $vgpr11
                                        ; implicit-def: $vgpr12
.LBB30_13:
	v_mov_b32_e32 v10, 0
	v_mov_b32_e32 v9, 0
	v_mov_b32_e32 v11, 0
	v_mov_b32_e32 v12, 0
	s_and_saveexec_b64 s[6:7], s[0:1]
	s_cbranch_execz .LBB30_17
; %bb.14:
	v_mov_b32_e32 v3, 0
	v_lshlrev_b32_e32 v2, 5, v0
	s_mov_b64 s[0:1], 0
	v_mov_b32_e32 v5, s11
	v_mov_b32_e32 v6, s13
	v_mov_b32_e32 v13, s15
	v_mov_b32_e32 v10, v3
	v_mov_b32_e32 v9, v3
	v_mov_b32_e32 v11, v3
	v_mov_b32_e32 v12, v3
.LBB30_15:                              ; =>This Inner Loop Header: Depth=1
	v_lshlrev_b64 v[14:15], 2, v[2:3]
	v_ashrrev_i32_e32 v1, 31, v0
	v_lshlrev_b64 v[16:17], 2, v[0:1]
	v_add_co_u32_e32 v42, vcc, s12, v14
	v_addc_co_u32_e32 v43, vcc, v6, v15, vcc
	v_add_co_u32_e32 v20, vcc, s10, v16
	v_addc_co_u32_e32 v21, vcc, v5, v17, vcc
	global_load_dwordx4 v[14:17], v[42:43], off
	global_load_dword v1, v[20:21], off
	v_mov_b32_e32 v19, v3
	v_add_u32_e32 v0, 4, v0
	v_add_u32_e32 v2, 0x80, v2
	s_waitcnt vmcnt(0)
	v_subrev_u32_e32 v1, s18, v1
	v_lshlrev_b32_e32 v18, 3, v1
	v_lshlrev_b64 v[18:19], 2, v[18:19]
	v_add_co_u32_e32 v30, vcc, s14, v18
	v_addc_co_u32_e32 v31, vcc, v13, v19, vcc
	global_load_dwordx4 v[18:21], v[30:31], off
	global_load_dwordx4 v[22:25], v[30:31], off offset:16
	global_load_dwordx4 v[26:29], v[42:43], off offset:16
	v_cmp_ge_i32_e32 vcc, v0, v8
	s_or_b64 s[0:1], vcc, s[0:1]
	s_waitcnt vmcnt(2)
	v_fmac_f32_e32 v10, v14, v18
	v_fmac_f32_e32 v10, v15, v19
	v_fmac_f32_e32 v10, v16, v20
	v_fmac_f32_e32 v10, v17, v21
	global_load_dwordx4 v[14:17], v[42:43], off offset:32
	global_load_dwordx4 v[30:33], v[42:43], off offset:48
	s_waitcnt vmcnt(2)
	v_fmac_f32_e32 v10, v26, v22
	v_fmac_f32_e32 v10, v27, v23
	v_fmac_f32_e32 v10, v28, v24
	v_fmac_f32_e32 v10, v29, v25
	s_waitcnt vmcnt(1)
	v_fmac_f32_e32 v12, v14, v18
	v_fmac_f32_e32 v12, v15, v19
	v_fmac_f32_e32 v12, v16, v20
	v_fmac_f32_e32 v12, v17, v21
	global_load_dwordx4 v[14:17], v[42:43], off offset:64
	global_load_dwordx4 v[34:37], v[42:43], off offset:80
	s_waitcnt vmcnt(2)
	v_fmac_f32_e32 v12, v30, v22
	v_fmac_f32_e32 v12, v31, v23
	v_fmac_f32_e32 v12, v32, v24
	v_fmac_f32_e32 v12, v33, v25
	;; [unrolled: 12-line block ×3, first 2 shown]
	s_waitcnt vmcnt(1)
	v_fmac_f32_e32 v9, v14, v18
	v_fmac_f32_e32 v9, v15, v19
	;; [unrolled: 1-line block ×4, first 2 shown]
	s_waitcnt vmcnt(0)
	v_fmac_f32_e32 v9, v38, v22
	v_fmac_f32_e32 v9, v39, v23
	;; [unrolled: 1-line block ×4, first 2 shown]
	s_andn2_b64 exec, exec, s[0:1]
	s_cbranch_execnz .LBB30_15
; %bb.16:
	s_or_b64 exec, exec, s[0:1]
.LBB30_17:
	s_or_b64 exec, exec, s[6:7]
.LBB30_18:
	v_mov_b32_dpp v0, v10 row_shr:1 row_mask:0xf bank_mask:0xf
	v_mov_b32_dpp v2, v12 row_shr:1 row_mask:0xf bank_mask:0xf
	;; [unrolled: 1-line block ×4, first 2 shown]
	v_add_f32_e32 v0, v10, v0
	v_add_f32_e32 v2, v12, v2
	;; [unrolled: 1-line block ×4, first 2 shown]
	v_mov_b32_dpp v1, v0 row_shr:2 row_mask:0xf bank_mask:0xf
	v_mov_b32_dpp v3, v2 row_shr:2 row_mask:0xf bank_mask:0xf
	;; [unrolled: 1-line block ×4, first 2 shown]
	v_cmp_eq_u32_e32 vcc, 3, v7
	s_and_b64 exec, exec, vcc
	s_cbranch_execz .LBB30_22
; %bb.19:
	s_load_dwordx2 s[0:1], s[4:5], 0x38
	v_add_f32_e32 v0, v0, v1
	v_add_f32_e32 v1, v2, v3
	;; [unrolled: 1-line block ×4, first 2 shown]
	v_cmp_eq_f32_e64 s[4:5], s2, 0
	s_and_b64 vcc, exec, s[4:5]
	v_mul_f32_e32 v0, s16, v0
	v_mul_f32_e32 v1, s16, v1
	;; [unrolled: 1-line block ×4, first 2 shown]
	v_lshlrev_b32_e32 v4, 2, v4
	s_cbranch_vccz .LBB30_23
; %bb.20:
	v_ashrrev_i32_e32 v5, 31, v4
	v_lshlrev_b64 v[5:6], 2, v[4:5]
	s_waitcnt lgkmcnt(0)
	v_mov_b32_e32 v7, s1
	v_add_co_u32_e32 v5, vcc, s0, v5
	v_addc_co_u32_e32 v6, vcc, v7, v6, vcc
	global_store_dwordx4 v[5:6], v[0:3], off
	s_cbranch_execnz .LBB30_22
.LBB30_21:
	v_ashrrev_i32_e32 v5, 31, v4
	v_lshlrev_b64 v[4:5], 2, v[4:5]
	s_waitcnt lgkmcnt(0)
	v_mov_b32_e32 v6, s1
	v_add_co_u32_e32 v8, vcc, s0, v4
	v_addc_co_u32_e32 v9, vcc, v6, v5, vcc
	global_load_dwordx4 v[4:7], v[8:9], off
	s_waitcnt vmcnt(0)
	v_fmac_f32_e32 v0, s2, v4
	v_fmac_f32_e32 v1, s2, v5
	;; [unrolled: 1-line block ×4, first 2 shown]
	global_store_dwordx4 v[8:9], v[0:3], off
.LBB30_22:
	s_endpgm
.LBB30_23:
	s_branch .LBB30_21
	.section	.rodata,"a",@progbits
	.p2align	6, 0x0
	.amdhsa_kernel _ZN9rocsparseL19gebsrmvn_4xn_kernelILj128ELj8ELj4EfEEvi20rocsparse_direction_NS_24const_host_device_scalarIT2_EEPKiS6_PKS3_S8_S4_PS3_21rocsparse_index_base_b
		.amdhsa_group_segment_fixed_size 0
		.amdhsa_private_segment_fixed_size 0
		.amdhsa_kernarg_size 72
		.amdhsa_user_sgpr_count 6
		.amdhsa_user_sgpr_private_segment_buffer 1
		.amdhsa_user_sgpr_dispatch_ptr 0
		.amdhsa_user_sgpr_queue_ptr 0
		.amdhsa_user_sgpr_kernarg_segment_ptr 1
		.amdhsa_user_sgpr_dispatch_id 0
		.amdhsa_user_sgpr_flat_scratch_init 0
		.amdhsa_user_sgpr_private_segment_size 0
		.amdhsa_uses_dynamic_stack 0
		.amdhsa_system_sgpr_private_segment_wavefront_offset 0
		.amdhsa_system_sgpr_workgroup_id_x 1
		.amdhsa_system_sgpr_workgroup_id_y 0
		.amdhsa_system_sgpr_workgroup_id_z 0
		.amdhsa_system_sgpr_workgroup_info 0
		.amdhsa_system_vgpr_workitem_id 0
		.amdhsa_next_free_vgpr 49
		.amdhsa_next_free_sgpr 20
		.amdhsa_reserve_vcc 1
		.amdhsa_reserve_flat_scratch 0
		.amdhsa_float_round_mode_32 0
		.amdhsa_float_round_mode_16_64 0
		.amdhsa_float_denorm_mode_32 3
		.amdhsa_float_denorm_mode_16_64 3
		.amdhsa_dx10_clamp 1
		.amdhsa_ieee_mode 1
		.amdhsa_fp16_overflow 0
		.amdhsa_exception_fp_ieee_invalid_op 0
		.amdhsa_exception_fp_denorm_src 0
		.amdhsa_exception_fp_ieee_div_zero 0
		.amdhsa_exception_fp_ieee_overflow 0
		.amdhsa_exception_fp_ieee_underflow 0
		.amdhsa_exception_fp_ieee_inexact 0
		.amdhsa_exception_int_div_zero 0
	.end_amdhsa_kernel
	.section	.text._ZN9rocsparseL19gebsrmvn_4xn_kernelILj128ELj8ELj4EfEEvi20rocsparse_direction_NS_24const_host_device_scalarIT2_EEPKiS6_PKS3_S8_S4_PS3_21rocsparse_index_base_b,"axG",@progbits,_ZN9rocsparseL19gebsrmvn_4xn_kernelILj128ELj8ELj4EfEEvi20rocsparse_direction_NS_24const_host_device_scalarIT2_EEPKiS6_PKS3_S8_S4_PS3_21rocsparse_index_base_b,comdat
.Lfunc_end30:
	.size	_ZN9rocsparseL19gebsrmvn_4xn_kernelILj128ELj8ELj4EfEEvi20rocsparse_direction_NS_24const_host_device_scalarIT2_EEPKiS6_PKS3_S8_S4_PS3_21rocsparse_index_base_b, .Lfunc_end30-_ZN9rocsparseL19gebsrmvn_4xn_kernelILj128ELj8ELj4EfEEvi20rocsparse_direction_NS_24const_host_device_scalarIT2_EEPKiS6_PKS3_S8_S4_PS3_21rocsparse_index_base_b
                                        ; -- End function
	.set _ZN9rocsparseL19gebsrmvn_4xn_kernelILj128ELj8ELj4EfEEvi20rocsparse_direction_NS_24const_host_device_scalarIT2_EEPKiS6_PKS3_S8_S4_PS3_21rocsparse_index_base_b.num_vgpr, 49
	.set _ZN9rocsparseL19gebsrmvn_4xn_kernelILj128ELj8ELj4EfEEvi20rocsparse_direction_NS_24const_host_device_scalarIT2_EEPKiS6_PKS3_S8_S4_PS3_21rocsparse_index_base_b.num_agpr, 0
	.set _ZN9rocsparseL19gebsrmvn_4xn_kernelILj128ELj8ELj4EfEEvi20rocsparse_direction_NS_24const_host_device_scalarIT2_EEPKiS6_PKS3_S8_S4_PS3_21rocsparse_index_base_b.numbered_sgpr, 20
	.set _ZN9rocsparseL19gebsrmvn_4xn_kernelILj128ELj8ELj4EfEEvi20rocsparse_direction_NS_24const_host_device_scalarIT2_EEPKiS6_PKS3_S8_S4_PS3_21rocsparse_index_base_b.num_named_barrier, 0
	.set _ZN9rocsparseL19gebsrmvn_4xn_kernelILj128ELj8ELj4EfEEvi20rocsparse_direction_NS_24const_host_device_scalarIT2_EEPKiS6_PKS3_S8_S4_PS3_21rocsparse_index_base_b.private_seg_size, 0
	.set _ZN9rocsparseL19gebsrmvn_4xn_kernelILj128ELj8ELj4EfEEvi20rocsparse_direction_NS_24const_host_device_scalarIT2_EEPKiS6_PKS3_S8_S4_PS3_21rocsparse_index_base_b.uses_vcc, 1
	.set _ZN9rocsparseL19gebsrmvn_4xn_kernelILj128ELj8ELj4EfEEvi20rocsparse_direction_NS_24const_host_device_scalarIT2_EEPKiS6_PKS3_S8_S4_PS3_21rocsparse_index_base_b.uses_flat_scratch, 0
	.set _ZN9rocsparseL19gebsrmvn_4xn_kernelILj128ELj8ELj4EfEEvi20rocsparse_direction_NS_24const_host_device_scalarIT2_EEPKiS6_PKS3_S8_S4_PS3_21rocsparse_index_base_b.has_dyn_sized_stack, 0
	.set _ZN9rocsparseL19gebsrmvn_4xn_kernelILj128ELj8ELj4EfEEvi20rocsparse_direction_NS_24const_host_device_scalarIT2_EEPKiS6_PKS3_S8_S4_PS3_21rocsparse_index_base_b.has_recursion, 0
	.set _ZN9rocsparseL19gebsrmvn_4xn_kernelILj128ELj8ELj4EfEEvi20rocsparse_direction_NS_24const_host_device_scalarIT2_EEPKiS6_PKS3_S8_S4_PS3_21rocsparse_index_base_b.has_indirect_call, 0
	.section	.AMDGPU.csdata,"",@progbits
; Kernel info:
; codeLenInByte = 1316
; TotalNumSgprs: 24
; NumVgprs: 49
; ScratchSize: 0
; MemoryBound: 0
; FloatMode: 240
; IeeeMode: 1
; LDSByteSize: 0 bytes/workgroup (compile time only)
; SGPRBlocks: 2
; VGPRBlocks: 12
; NumSGPRsForWavesPerEU: 24
; NumVGPRsForWavesPerEU: 49
; Occupancy: 4
; WaveLimiterHint : 1
; COMPUTE_PGM_RSRC2:SCRATCH_EN: 0
; COMPUTE_PGM_RSRC2:USER_SGPR: 6
; COMPUTE_PGM_RSRC2:TRAP_HANDLER: 0
; COMPUTE_PGM_RSRC2:TGID_X_EN: 1
; COMPUTE_PGM_RSRC2:TGID_Y_EN: 0
; COMPUTE_PGM_RSRC2:TGID_Z_EN: 0
; COMPUTE_PGM_RSRC2:TIDIG_COMP_CNT: 0
	.section	.text._ZN9rocsparseL19gebsrmvn_4xn_kernelILj128ELj8ELj8EfEEvi20rocsparse_direction_NS_24const_host_device_scalarIT2_EEPKiS6_PKS3_S8_S4_PS3_21rocsparse_index_base_b,"axG",@progbits,_ZN9rocsparseL19gebsrmvn_4xn_kernelILj128ELj8ELj8EfEEvi20rocsparse_direction_NS_24const_host_device_scalarIT2_EEPKiS6_PKS3_S8_S4_PS3_21rocsparse_index_base_b,comdat
	.globl	_ZN9rocsparseL19gebsrmvn_4xn_kernelILj128ELj8ELj8EfEEvi20rocsparse_direction_NS_24const_host_device_scalarIT2_EEPKiS6_PKS3_S8_S4_PS3_21rocsparse_index_base_b ; -- Begin function _ZN9rocsparseL19gebsrmvn_4xn_kernelILj128ELj8ELj8EfEEvi20rocsparse_direction_NS_24const_host_device_scalarIT2_EEPKiS6_PKS3_S8_S4_PS3_21rocsparse_index_base_b
	.p2align	8
	.type	_ZN9rocsparseL19gebsrmvn_4xn_kernelILj128ELj8ELj8EfEEvi20rocsparse_direction_NS_24const_host_device_scalarIT2_EEPKiS6_PKS3_S8_S4_PS3_21rocsparse_index_base_b,@function
_ZN9rocsparseL19gebsrmvn_4xn_kernelILj128ELj8ELj8EfEEvi20rocsparse_direction_NS_24const_host_device_scalarIT2_EEPKiS6_PKS3_S8_S4_PS3_21rocsparse_index_base_b: ; @_ZN9rocsparseL19gebsrmvn_4xn_kernelILj128ELj8ELj8EfEEvi20rocsparse_direction_NS_24const_host_device_scalarIT2_EEPKiS6_PKS3_S8_S4_PS3_21rocsparse_index_base_b
; %bb.0:
	s_load_dwordx2 s[18:19], s[4:5], 0x40
	s_load_dwordx2 s[16:17], s[4:5], 0x8
	;; [unrolled: 1-line block ×3, first 2 shown]
	s_waitcnt lgkmcnt(0)
	s_bitcmp1_b32 s19, 0
	s_cselect_b64 s[8:9], -1, 0
	s_xor_b64 s[0:1], s[8:9], -1
	s_and_b64 vcc, exec, s[8:9]
	s_cbranch_vccnz .LBB31_2
; %bb.1:
	s_load_dword s16, s[16:17], 0x0
.LBB31_2:
	s_andn2_b64 vcc, exec, s[0:1]
	s_cbranch_vccnz .LBB31_4
; %bb.3:
	s_load_dword s2, s[2:3], 0x0
.LBB31_4:
	s_waitcnt lgkmcnt(0)
	v_cmp_eq_f32_e64 s[0:1], s16, 0
	v_cmp_eq_f32_e64 s[8:9], s2, 1.0
	s_and_b64 s[0:1], s[0:1], s[8:9]
	s_and_b64 vcc, exec, s[0:1]
	s_cbranch_vccnz .LBB31_22
; %bb.5:
	s_load_dwordx2 s[0:1], s[4:5], 0x0
	v_lshrrev_b32_e32 v1, 3, v0
	v_lshl_or_b32 v4, s6, 4, v1
	s_waitcnt lgkmcnt(0)
	v_cmp_gt_i32_e32 vcc, s0, v4
	s_and_saveexec_b64 s[6:7], vcc
	s_cbranch_execz .LBB31_22
; %bb.6:
	s_load_dwordx8 s[8:15], s[4:5], 0x10
	v_ashrrev_i32_e32 v5, 31, v4
	v_lshlrev_b64 v[1:2], 2, v[4:5]
	v_and_b32_e32 v7, 7, v0
	s_cmp_lg_u32 s1, 0
	s_waitcnt lgkmcnt(0)
	v_mov_b32_e32 v3, s9
	v_add_co_u32_e32 v1, vcc, s8, v1
	v_addc_co_u32_e32 v2, vcc, v3, v2, vcc
	global_load_dwordx2 v[1:2], v[1:2], off
	s_waitcnt vmcnt(0)
	v_subrev_u32_e32 v0, s18, v1
	v_subrev_u32_e32 v9, s18, v2
	v_add_u32_e32 v0, v0, v7
	v_cmp_lt_i32_e64 s[0:1], v0, v9
	s_cbranch_scc0 .LBB31_12
; %bb.7:
	v_mov_b32_e32 v10, 0
	v_mov_b32_e32 v8, 0
	;; [unrolled: 1-line block ×4, first 2 shown]
	s_and_saveexec_b64 s[6:7], s[0:1]
	s_cbranch_execz .LBB31_11
; %bb.8:
	v_mov_b32_e32 v2, 0
	v_lshlrev_b32_e32 v1, 5, v0
	s_mov_b64 s[8:9], 0
	v_mov_b32_e32 v3, s11
	v_mov_b32_e32 v13, s13
	;; [unrolled: 1-line block ×8, first 2 shown]
.LBB31_9:                               ; =>This Inner Loop Header: Depth=1
	v_lshlrev_b64 v[15:16], 2, v[1:2]
	v_ashrrev_i32_e32 v6, 31, v5
	v_lshlrev_b64 v[17:18], 2, v[5:6]
	v_add_co_u32_e32 v47, vcc, s12, v15
	v_addc_co_u32_e32 v48, vcc, v13, v16, vcc
	v_add_co_u32_e32 v37, vcc, s10, v17
	v_addc_co_u32_e32 v38, vcc, v3, v18, vcc
	global_load_dwordx4 v[15:18], v[47:48], off
	global_load_dwordx4 v[19:22], v[47:48], off offset:16
	global_load_dwordx4 v[23:26], v[47:48], off offset:32
	;; [unrolled: 1-line block ×4, first 2 shown]
	global_load_dword v6, v[37:38], off
	v_mov_b32_e32 v36, v2
	v_add_u32_e32 v5, 8, v5
	v_add_u32_e32 v1, 0x100, v1
	s_waitcnt vmcnt(0)
	v_subrev_u32_e32 v6, s18, v6
	v_lshlrev_b32_e32 v35, 3, v6
	v_lshlrev_b64 v[35:36], 2, v[35:36]
	v_add_co_u32_e32 v43, vcc, s14, v35
	v_addc_co_u32_e32 v44, vcc, v14, v36, vcc
	global_load_dwordx4 v[35:38], v[43:44], off
	global_load_dwordx4 v[39:42], v[43:44], off offset:16
	v_cmp_ge_i32_e32 vcc, v5, v9
	s_or_b64 s[8:9], vcc, s[8:9]
	s_waitcnt vmcnt(1)
	v_fmac_f32_e32 v10, v15, v35
	v_fmac_f32_e32 v12, v16, v35
	;; [unrolled: 1-line block ×4, first 2 shown]
	global_load_dwordx4 v[15:18], v[47:48], off offset:80
	v_fmac_f32_e32 v10, v19, v36
	v_fmac_f32_e32 v12, v20, v36
	;; [unrolled: 1-line block ×4, first 2 shown]
	global_load_dwordx4 v[19:22], v[47:48], off offset:96
	global_load_dwordx4 v[43:46], v[47:48], off offset:112
	v_fmac_f32_e32 v10, v23, v37
	v_fmac_f32_e32 v12, v24, v37
	;; [unrolled: 1-line block ×8, first 2 shown]
	s_waitcnt vmcnt(3)
	v_fmac_f32_e32 v10, v31, v39
	v_fmac_f32_e32 v12, v32, v39
	v_fmac_f32_e32 v11, v33, v39
	v_fmac_f32_e32 v8, v34, v39
	s_waitcnt vmcnt(2)
	v_fmac_f32_e32 v10, v15, v40
	v_fmac_f32_e32 v12, v16, v40
	v_fmac_f32_e32 v11, v17, v40
	v_fmac_f32_e32 v8, v18, v40
	;; [unrolled: 5-line block ×4, first 2 shown]
	s_andn2_b64 exec, exec, s[8:9]
	s_cbranch_execnz .LBB31_9
; %bb.10:
	s_or_b64 exec, exec, s[8:9]
.LBB31_11:
	s_or_b64 exec, exec, s[6:7]
	s_cbranch_execz .LBB31_13
	s_branch .LBB31_18
.LBB31_12:
                                        ; implicit-def: $vgpr10
                                        ; implicit-def: $vgpr8
                                        ; implicit-def: $vgpr11
                                        ; implicit-def: $vgpr12
.LBB31_13:
	v_mov_b32_e32 v10, 0
	v_mov_b32_e32 v8, 0
	;; [unrolled: 1-line block ×4, first 2 shown]
	s_and_saveexec_b64 s[6:7], s[0:1]
	s_cbranch_execz .LBB31_17
; %bb.14:
	v_mov_b32_e32 v3, 0
	v_lshlrev_b32_e32 v2, 5, v0
	s_mov_b64 s[0:1], 0
	v_mov_b32_e32 v5, s11
	v_mov_b32_e32 v6, s13
	;; [unrolled: 1-line block ×7, first 2 shown]
.LBB31_15:                              ; =>This Inner Loop Header: Depth=1
	v_lshlrev_b64 v[14:15], 2, v[2:3]
	v_ashrrev_i32_e32 v1, 31, v0
	v_lshlrev_b64 v[16:17], 2, v[0:1]
	v_add_co_u32_e32 v42, vcc, s12, v14
	v_addc_co_u32_e32 v43, vcc, v6, v15, vcc
	v_add_co_u32_e32 v20, vcc, s10, v16
	v_addc_co_u32_e32 v21, vcc, v5, v17, vcc
	global_load_dwordx4 v[14:17], v[42:43], off
	global_load_dword v1, v[20:21], off
	v_mov_b32_e32 v19, v3
	v_add_u32_e32 v0, 8, v0
	v_add_u32_e32 v2, 0x100, v2
	s_waitcnt vmcnt(0)
	v_subrev_u32_e32 v1, s18, v1
	v_lshlrev_b32_e32 v18, 3, v1
	v_lshlrev_b64 v[18:19], 2, v[18:19]
	v_add_co_u32_e32 v30, vcc, s14, v18
	v_addc_co_u32_e32 v31, vcc, v13, v19, vcc
	global_load_dwordx4 v[18:21], v[30:31], off
	global_load_dwordx4 v[22:25], v[30:31], off offset:16
	global_load_dwordx4 v[26:29], v[42:43], off offset:16
	v_cmp_ge_i32_e32 vcc, v0, v9
	s_or_b64 s[0:1], vcc, s[0:1]
	s_waitcnt vmcnt(2)
	v_fmac_f32_e32 v10, v14, v18
	v_fmac_f32_e32 v10, v15, v19
	v_fmac_f32_e32 v10, v16, v20
	v_fmac_f32_e32 v10, v17, v21
	global_load_dwordx4 v[14:17], v[42:43], off offset:32
	global_load_dwordx4 v[30:33], v[42:43], off offset:48
	s_waitcnt vmcnt(2)
	v_fmac_f32_e32 v10, v26, v22
	v_fmac_f32_e32 v10, v27, v23
	v_fmac_f32_e32 v10, v28, v24
	v_fmac_f32_e32 v10, v29, v25
	s_waitcnt vmcnt(1)
	v_fmac_f32_e32 v12, v14, v18
	v_fmac_f32_e32 v12, v15, v19
	v_fmac_f32_e32 v12, v16, v20
	v_fmac_f32_e32 v12, v17, v21
	global_load_dwordx4 v[14:17], v[42:43], off offset:64
	global_load_dwordx4 v[34:37], v[42:43], off offset:80
	s_waitcnt vmcnt(2)
	v_fmac_f32_e32 v12, v30, v22
	v_fmac_f32_e32 v12, v31, v23
	v_fmac_f32_e32 v12, v32, v24
	v_fmac_f32_e32 v12, v33, v25
	;; [unrolled: 12-line block ×3, first 2 shown]
	s_waitcnt vmcnt(1)
	v_fmac_f32_e32 v8, v14, v18
	v_fmac_f32_e32 v8, v15, v19
	;; [unrolled: 1-line block ×4, first 2 shown]
	s_waitcnt vmcnt(0)
	v_fmac_f32_e32 v8, v38, v22
	v_fmac_f32_e32 v8, v39, v23
	;; [unrolled: 1-line block ×4, first 2 shown]
	s_andn2_b64 exec, exec, s[0:1]
	s_cbranch_execnz .LBB31_15
; %bb.16:
	s_or_b64 exec, exec, s[0:1]
.LBB31_17:
	s_or_b64 exec, exec, s[6:7]
.LBB31_18:
	v_mov_b32_dpp v0, v10 row_shr:1 row_mask:0xf bank_mask:0xf
	v_mov_b32_dpp v2, v12 row_shr:1 row_mask:0xf bank_mask:0xf
	v_mov_b32_dpp v5, v11 row_shr:1 row_mask:0xf bank_mask:0xf
	v_mov_b32_dpp v9, v8 row_shr:1 row_mask:0xf bank_mask:0xf
	v_add_f32_e32 v0, v10, v0
	v_add_f32_e32 v2, v12, v2
	;; [unrolled: 1-line block ×4, first 2 shown]
	v_mov_b32_dpp v1, v0 row_shr:2 row_mask:0xf bank_mask:0xf
	v_mov_b32_dpp v3, v2 row_shr:2 row_mask:0xf bank_mask:0xf
	;; [unrolled: 1-line block ×4, first 2 shown]
	v_add_f32_e32 v0, v0, v1
	v_add_f32_e32 v2, v2, v3
	;; [unrolled: 1-line block ×4, first 2 shown]
	v_mov_b32_dpp v1, v0 row_shr:4 row_mask:0xf bank_mask:0xe
	v_mov_b32_dpp v3, v2 row_shr:4 row_mask:0xf bank_mask:0xe
	;; [unrolled: 1-line block ×4, first 2 shown]
	v_cmp_eq_u32_e32 vcc, 7, v7
	s_and_b64 exec, exec, vcc
	s_cbranch_execz .LBB31_22
; %bb.19:
	s_load_dwordx2 s[0:1], s[4:5], 0x38
	v_add_f32_e32 v0, v0, v1
	v_add_f32_e32 v1, v2, v3
	;; [unrolled: 1-line block ×4, first 2 shown]
	v_cmp_eq_f32_e64 s[4:5], s2, 0
	s_and_b64 vcc, exec, s[4:5]
	v_mul_f32_e32 v0, s16, v0
	v_mul_f32_e32 v1, s16, v1
	;; [unrolled: 1-line block ×4, first 2 shown]
	v_lshlrev_b32_e32 v4, 2, v4
	s_cbranch_vccz .LBB31_23
; %bb.20:
	v_ashrrev_i32_e32 v5, 31, v4
	v_lshlrev_b64 v[5:6], 2, v[4:5]
	s_waitcnt lgkmcnt(0)
	v_mov_b32_e32 v7, s1
	v_add_co_u32_e32 v5, vcc, s0, v5
	v_addc_co_u32_e32 v6, vcc, v7, v6, vcc
	global_store_dwordx4 v[5:6], v[0:3], off
	s_cbranch_execnz .LBB31_22
.LBB31_21:
	v_ashrrev_i32_e32 v5, 31, v4
	v_lshlrev_b64 v[4:5], 2, v[4:5]
	s_waitcnt lgkmcnt(0)
	v_mov_b32_e32 v6, s1
	v_add_co_u32_e32 v8, vcc, s0, v4
	v_addc_co_u32_e32 v9, vcc, v6, v5, vcc
	global_load_dwordx4 v[4:7], v[8:9], off
	s_waitcnt vmcnt(0)
	v_fmac_f32_e32 v0, s2, v4
	v_fmac_f32_e32 v1, s2, v5
	;; [unrolled: 1-line block ×4, first 2 shown]
	global_store_dwordx4 v[8:9], v[0:3], off
.LBB31_22:
	s_endpgm
.LBB31_23:
	s_branch .LBB31_21
	.section	.rodata,"a",@progbits
	.p2align	6, 0x0
	.amdhsa_kernel _ZN9rocsparseL19gebsrmvn_4xn_kernelILj128ELj8ELj8EfEEvi20rocsparse_direction_NS_24const_host_device_scalarIT2_EEPKiS6_PKS3_S8_S4_PS3_21rocsparse_index_base_b
		.amdhsa_group_segment_fixed_size 0
		.amdhsa_private_segment_fixed_size 0
		.amdhsa_kernarg_size 72
		.amdhsa_user_sgpr_count 6
		.amdhsa_user_sgpr_private_segment_buffer 1
		.amdhsa_user_sgpr_dispatch_ptr 0
		.amdhsa_user_sgpr_queue_ptr 0
		.amdhsa_user_sgpr_kernarg_segment_ptr 1
		.amdhsa_user_sgpr_dispatch_id 0
		.amdhsa_user_sgpr_flat_scratch_init 0
		.amdhsa_user_sgpr_private_segment_size 0
		.amdhsa_uses_dynamic_stack 0
		.amdhsa_system_sgpr_private_segment_wavefront_offset 0
		.amdhsa_system_sgpr_workgroup_id_x 1
		.amdhsa_system_sgpr_workgroup_id_y 0
		.amdhsa_system_sgpr_workgroup_id_z 0
		.amdhsa_system_sgpr_workgroup_info 0
		.amdhsa_system_vgpr_workitem_id 0
		.amdhsa_next_free_vgpr 49
		.amdhsa_next_free_sgpr 20
		.amdhsa_reserve_vcc 1
		.amdhsa_reserve_flat_scratch 0
		.amdhsa_float_round_mode_32 0
		.amdhsa_float_round_mode_16_64 0
		.amdhsa_float_denorm_mode_32 3
		.amdhsa_float_denorm_mode_16_64 3
		.amdhsa_dx10_clamp 1
		.amdhsa_ieee_mode 1
		.amdhsa_fp16_overflow 0
		.amdhsa_exception_fp_ieee_invalid_op 0
		.amdhsa_exception_fp_denorm_src 0
		.amdhsa_exception_fp_ieee_div_zero 0
		.amdhsa_exception_fp_ieee_overflow 0
		.amdhsa_exception_fp_ieee_underflow 0
		.amdhsa_exception_fp_ieee_inexact 0
		.amdhsa_exception_int_div_zero 0
	.end_amdhsa_kernel
	.section	.text._ZN9rocsparseL19gebsrmvn_4xn_kernelILj128ELj8ELj8EfEEvi20rocsparse_direction_NS_24const_host_device_scalarIT2_EEPKiS6_PKS3_S8_S4_PS3_21rocsparse_index_base_b,"axG",@progbits,_ZN9rocsparseL19gebsrmvn_4xn_kernelILj128ELj8ELj8EfEEvi20rocsparse_direction_NS_24const_host_device_scalarIT2_EEPKiS6_PKS3_S8_S4_PS3_21rocsparse_index_base_b,comdat
.Lfunc_end31:
	.size	_ZN9rocsparseL19gebsrmvn_4xn_kernelILj128ELj8ELj8EfEEvi20rocsparse_direction_NS_24const_host_device_scalarIT2_EEPKiS6_PKS3_S8_S4_PS3_21rocsparse_index_base_b, .Lfunc_end31-_ZN9rocsparseL19gebsrmvn_4xn_kernelILj128ELj8ELj8EfEEvi20rocsparse_direction_NS_24const_host_device_scalarIT2_EEPKiS6_PKS3_S8_S4_PS3_21rocsparse_index_base_b
                                        ; -- End function
	.set _ZN9rocsparseL19gebsrmvn_4xn_kernelILj128ELj8ELj8EfEEvi20rocsparse_direction_NS_24const_host_device_scalarIT2_EEPKiS6_PKS3_S8_S4_PS3_21rocsparse_index_base_b.num_vgpr, 49
	.set _ZN9rocsparseL19gebsrmvn_4xn_kernelILj128ELj8ELj8EfEEvi20rocsparse_direction_NS_24const_host_device_scalarIT2_EEPKiS6_PKS3_S8_S4_PS3_21rocsparse_index_base_b.num_agpr, 0
	.set _ZN9rocsparseL19gebsrmvn_4xn_kernelILj128ELj8ELj8EfEEvi20rocsparse_direction_NS_24const_host_device_scalarIT2_EEPKiS6_PKS3_S8_S4_PS3_21rocsparse_index_base_b.numbered_sgpr, 20
	.set _ZN9rocsparseL19gebsrmvn_4xn_kernelILj128ELj8ELj8EfEEvi20rocsparse_direction_NS_24const_host_device_scalarIT2_EEPKiS6_PKS3_S8_S4_PS3_21rocsparse_index_base_b.num_named_barrier, 0
	.set _ZN9rocsparseL19gebsrmvn_4xn_kernelILj128ELj8ELj8EfEEvi20rocsparse_direction_NS_24const_host_device_scalarIT2_EEPKiS6_PKS3_S8_S4_PS3_21rocsparse_index_base_b.private_seg_size, 0
	.set _ZN9rocsparseL19gebsrmvn_4xn_kernelILj128ELj8ELj8EfEEvi20rocsparse_direction_NS_24const_host_device_scalarIT2_EEPKiS6_PKS3_S8_S4_PS3_21rocsparse_index_base_b.uses_vcc, 1
	.set _ZN9rocsparseL19gebsrmvn_4xn_kernelILj128ELj8ELj8EfEEvi20rocsparse_direction_NS_24const_host_device_scalarIT2_EEPKiS6_PKS3_S8_S4_PS3_21rocsparse_index_base_b.uses_flat_scratch, 0
	.set _ZN9rocsparseL19gebsrmvn_4xn_kernelILj128ELj8ELj8EfEEvi20rocsparse_direction_NS_24const_host_device_scalarIT2_EEPKiS6_PKS3_S8_S4_PS3_21rocsparse_index_base_b.has_dyn_sized_stack, 0
	.set _ZN9rocsparseL19gebsrmvn_4xn_kernelILj128ELj8ELj8EfEEvi20rocsparse_direction_NS_24const_host_device_scalarIT2_EEPKiS6_PKS3_S8_S4_PS3_21rocsparse_index_base_b.has_recursion, 0
	.set _ZN9rocsparseL19gebsrmvn_4xn_kernelILj128ELj8ELj8EfEEvi20rocsparse_direction_NS_24const_host_device_scalarIT2_EEPKiS6_PKS3_S8_S4_PS3_21rocsparse_index_base_b.has_indirect_call, 0
	.section	.AMDGPU.csdata,"",@progbits
; Kernel info:
; codeLenInByte = 1364
; TotalNumSgprs: 24
; NumVgprs: 49
; ScratchSize: 0
; MemoryBound: 0
; FloatMode: 240
; IeeeMode: 1
; LDSByteSize: 0 bytes/workgroup (compile time only)
; SGPRBlocks: 2
; VGPRBlocks: 12
; NumSGPRsForWavesPerEU: 24
; NumVGPRsForWavesPerEU: 49
; Occupancy: 4
; WaveLimiterHint : 1
; COMPUTE_PGM_RSRC2:SCRATCH_EN: 0
; COMPUTE_PGM_RSRC2:USER_SGPR: 6
; COMPUTE_PGM_RSRC2:TRAP_HANDLER: 0
; COMPUTE_PGM_RSRC2:TGID_X_EN: 1
; COMPUTE_PGM_RSRC2:TGID_Y_EN: 0
; COMPUTE_PGM_RSRC2:TGID_Z_EN: 0
; COMPUTE_PGM_RSRC2:TIDIG_COMP_CNT: 0
	.section	.text._ZN9rocsparseL19gebsrmvn_4xn_kernelILj128ELj8ELj16EfEEvi20rocsparse_direction_NS_24const_host_device_scalarIT2_EEPKiS6_PKS3_S8_S4_PS3_21rocsparse_index_base_b,"axG",@progbits,_ZN9rocsparseL19gebsrmvn_4xn_kernelILj128ELj8ELj16EfEEvi20rocsparse_direction_NS_24const_host_device_scalarIT2_EEPKiS6_PKS3_S8_S4_PS3_21rocsparse_index_base_b,comdat
	.globl	_ZN9rocsparseL19gebsrmvn_4xn_kernelILj128ELj8ELj16EfEEvi20rocsparse_direction_NS_24const_host_device_scalarIT2_EEPKiS6_PKS3_S8_S4_PS3_21rocsparse_index_base_b ; -- Begin function _ZN9rocsparseL19gebsrmvn_4xn_kernelILj128ELj8ELj16EfEEvi20rocsparse_direction_NS_24const_host_device_scalarIT2_EEPKiS6_PKS3_S8_S4_PS3_21rocsparse_index_base_b
	.p2align	8
	.type	_ZN9rocsparseL19gebsrmvn_4xn_kernelILj128ELj8ELj16EfEEvi20rocsparse_direction_NS_24const_host_device_scalarIT2_EEPKiS6_PKS3_S8_S4_PS3_21rocsparse_index_base_b,@function
_ZN9rocsparseL19gebsrmvn_4xn_kernelILj128ELj8ELj16EfEEvi20rocsparse_direction_NS_24const_host_device_scalarIT2_EEPKiS6_PKS3_S8_S4_PS3_21rocsparse_index_base_b: ; @_ZN9rocsparseL19gebsrmvn_4xn_kernelILj128ELj8ELj16EfEEvi20rocsparse_direction_NS_24const_host_device_scalarIT2_EEPKiS6_PKS3_S8_S4_PS3_21rocsparse_index_base_b
; %bb.0:
	s_load_dwordx2 s[18:19], s[4:5], 0x40
	s_load_dwordx2 s[16:17], s[4:5], 0x8
	;; [unrolled: 1-line block ×3, first 2 shown]
	s_waitcnt lgkmcnt(0)
	s_bitcmp1_b32 s19, 0
	s_cselect_b64 s[8:9], -1, 0
	s_xor_b64 s[0:1], s[8:9], -1
	s_and_b64 vcc, exec, s[8:9]
	s_cbranch_vccnz .LBB32_2
; %bb.1:
	s_load_dword s16, s[16:17], 0x0
.LBB32_2:
	s_andn2_b64 vcc, exec, s[0:1]
	s_cbranch_vccnz .LBB32_4
; %bb.3:
	s_load_dword s2, s[2:3], 0x0
.LBB32_4:
	s_waitcnt lgkmcnt(0)
	v_cmp_eq_f32_e64 s[0:1], s16, 0
	v_cmp_eq_f32_e64 s[8:9], s2, 1.0
	s_and_b64 s[0:1], s[0:1], s[8:9]
	s_and_b64 vcc, exec, s[0:1]
	s_cbranch_vccnz .LBB32_22
; %bb.5:
	s_load_dwordx2 s[0:1], s[4:5], 0x0
	v_lshrrev_b32_e32 v1, 4, v0
	v_lshl_or_b32 v4, s6, 3, v1
	s_waitcnt lgkmcnt(0)
	v_cmp_gt_i32_e32 vcc, s0, v4
	s_and_saveexec_b64 s[6:7], vcc
	s_cbranch_execz .LBB32_22
; %bb.6:
	s_load_dwordx8 s[8:15], s[4:5], 0x10
	v_ashrrev_i32_e32 v5, 31, v4
	v_lshlrev_b64 v[1:2], 2, v[4:5]
	v_and_b32_e32 v7, 15, v0
	s_cmp_lg_u32 s1, 0
	s_waitcnt lgkmcnt(0)
	v_mov_b32_e32 v3, s9
	v_add_co_u32_e32 v1, vcc, s8, v1
	v_addc_co_u32_e32 v2, vcc, v3, v2, vcc
	global_load_dwordx2 v[1:2], v[1:2], off
	s_waitcnt vmcnt(0)
	v_subrev_u32_e32 v0, s18, v1
	v_subrev_u32_e32 v9, s18, v2
	v_add_u32_e32 v0, v0, v7
	v_cmp_lt_i32_e64 s[0:1], v0, v9
	s_cbranch_scc0 .LBB32_12
; %bb.7:
	v_mov_b32_e32 v11, 0
	v_mov_b32_e32 v8, 0
	;; [unrolled: 1-line block ×4, first 2 shown]
	s_and_saveexec_b64 s[6:7], s[0:1]
	s_cbranch_execz .LBB32_11
; %bb.8:
	v_mov_b32_e32 v2, 0
	v_lshlrev_b32_e32 v1, 5, v0
	s_mov_b64 s[8:9], 0
	v_mov_b32_e32 v3, s11
	v_mov_b32_e32 v13, s13
	;; [unrolled: 1-line block ×8, first 2 shown]
.LBB32_9:                               ; =>This Inner Loop Header: Depth=1
	v_lshlrev_b64 v[15:16], 2, v[1:2]
	v_ashrrev_i32_e32 v6, 31, v5
	v_lshlrev_b64 v[17:18], 2, v[5:6]
	v_add_co_u32_e32 v47, vcc, s12, v15
	v_addc_co_u32_e32 v48, vcc, v13, v16, vcc
	v_add_co_u32_e32 v37, vcc, s10, v17
	v_addc_co_u32_e32 v38, vcc, v3, v18, vcc
	global_load_dwordx4 v[15:18], v[47:48], off
	global_load_dwordx4 v[19:22], v[47:48], off offset:16
	global_load_dwordx4 v[23:26], v[47:48], off offset:32
	;; [unrolled: 1-line block ×4, first 2 shown]
	global_load_dword v6, v[37:38], off
	v_mov_b32_e32 v36, v2
	v_add_u32_e32 v5, 16, v5
	v_add_u32_e32 v1, 0x200, v1
	s_waitcnt vmcnt(0)
	v_subrev_u32_e32 v6, s18, v6
	v_lshlrev_b32_e32 v35, 3, v6
	v_lshlrev_b64 v[35:36], 2, v[35:36]
	v_add_co_u32_e32 v43, vcc, s14, v35
	v_addc_co_u32_e32 v44, vcc, v14, v36, vcc
	global_load_dwordx4 v[35:38], v[43:44], off
	global_load_dwordx4 v[39:42], v[43:44], off offset:16
	v_cmp_ge_i32_e32 vcc, v5, v9
	s_or_b64 s[8:9], vcc, s[8:9]
	s_waitcnt vmcnt(1)
	v_fmac_f32_e32 v11, v15, v35
	v_fmac_f32_e32 v12, v16, v35
	;; [unrolled: 1-line block ×4, first 2 shown]
	global_load_dwordx4 v[15:18], v[47:48], off offset:80
	v_fmac_f32_e32 v11, v19, v36
	v_fmac_f32_e32 v12, v20, v36
	;; [unrolled: 1-line block ×4, first 2 shown]
	global_load_dwordx4 v[19:22], v[47:48], off offset:96
	global_load_dwordx4 v[43:46], v[47:48], off offset:112
	v_fmac_f32_e32 v11, v23, v37
	v_fmac_f32_e32 v12, v24, v37
	;; [unrolled: 1-line block ×8, first 2 shown]
	s_waitcnt vmcnt(3)
	v_fmac_f32_e32 v11, v31, v39
	v_fmac_f32_e32 v12, v32, v39
	v_fmac_f32_e32 v10, v33, v39
	v_fmac_f32_e32 v8, v34, v39
	s_waitcnt vmcnt(2)
	v_fmac_f32_e32 v11, v15, v40
	v_fmac_f32_e32 v12, v16, v40
	v_fmac_f32_e32 v10, v17, v40
	v_fmac_f32_e32 v8, v18, v40
	;; [unrolled: 5-line block ×4, first 2 shown]
	s_andn2_b64 exec, exec, s[8:9]
	s_cbranch_execnz .LBB32_9
; %bb.10:
	s_or_b64 exec, exec, s[8:9]
.LBB32_11:
	s_or_b64 exec, exec, s[6:7]
	s_cbranch_execz .LBB32_13
	s_branch .LBB32_18
.LBB32_12:
                                        ; implicit-def: $vgpr11
                                        ; implicit-def: $vgpr8
                                        ; implicit-def: $vgpr10
                                        ; implicit-def: $vgpr12
.LBB32_13:
	v_mov_b32_e32 v11, 0
	v_mov_b32_e32 v8, 0
	;; [unrolled: 1-line block ×4, first 2 shown]
	s_and_saveexec_b64 s[6:7], s[0:1]
	s_cbranch_execz .LBB32_17
; %bb.14:
	v_mov_b32_e32 v3, 0
	v_lshlrev_b32_e32 v2, 5, v0
	s_mov_b64 s[0:1], 0
	v_mov_b32_e32 v5, s11
	v_mov_b32_e32 v6, s13
	;; [unrolled: 1-line block ×7, first 2 shown]
.LBB32_15:                              ; =>This Inner Loop Header: Depth=1
	v_lshlrev_b64 v[14:15], 2, v[2:3]
	v_ashrrev_i32_e32 v1, 31, v0
	v_lshlrev_b64 v[16:17], 2, v[0:1]
	v_add_co_u32_e32 v42, vcc, s12, v14
	v_addc_co_u32_e32 v43, vcc, v6, v15, vcc
	v_add_co_u32_e32 v20, vcc, s10, v16
	v_addc_co_u32_e32 v21, vcc, v5, v17, vcc
	global_load_dwordx4 v[14:17], v[42:43], off
	global_load_dword v1, v[20:21], off
	v_mov_b32_e32 v19, v3
	v_add_u32_e32 v0, 16, v0
	v_add_u32_e32 v2, 0x200, v2
	s_waitcnt vmcnt(0)
	v_subrev_u32_e32 v1, s18, v1
	v_lshlrev_b32_e32 v18, 3, v1
	v_lshlrev_b64 v[18:19], 2, v[18:19]
	v_add_co_u32_e32 v30, vcc, s14, v18
	v_addc_co_u32_e32 v31, vcc, v13, v19, vcc
	global_load_dwordx4 v[18:21], v[30:31], off
	global_load_dwordx4 v[22:25], v[30:31], off offset:16
	global_load_dwordx4 v[26:29], v[42:43], off offset:16
	v_cmp_ge_i32_e32 vcc, v0, v9
	s_or_b64 s[0:1], vcc, s[0:1]
	s_waitcnt vmcnt(2)
	v_fmac_f32_e32 v11, v14, v18
	v_fmac_f32_e32 v11, v15, v19
	v_fmac_f32_e32 v11, v16, v20
	v_fmac_f32_e32 v11, v17, v21
	global_load_dwordx4 v[14:17], v[42:43], off offset:32
	global_load_dwordx4 v[30:33], v[42:43], off offset:48
	s_waitcnt vmcnt(2)
	v_fmac_f32_e32 v11, v26, v22
	v_fmac_f32_e32 v11, v27, v23
	v_fmac_f32_e32 v11, v28, v24
	v_fmac_f32_e32 v11, v29, v25
	s_waitcnt vmcnt(1)
	v_fmac_f32_e32 v12, v14, v18
	v_fmac_f32_e32 v12, v15, v19
	v_fmac_f32_e32 v12, v16, v20
	v_fmac_f32_e32 v12, v17, v21
	global_load_dwordx4 v[14:17], v[42:43], off offset:64
	global_load_dwordx4 v[34:37], v[42:43], off offset:80
	s_waitcnt vmcnt(2)
	v_fmac_f32_e32 v12, v30, v22
	v_fmac_f32_e32 v12, v31, v23
	v_fmac_f32_e32 v12, v32, v24
	v_fmac_f32_e32 v12, v33, v25
	;; [unrolled: 12-line block ×3, first 2 shown]
	s_waitcnt vmcnt(1)
	v_fmac_f32_e32 v8, v14, v18
	v_fmac_f32_e32 v8, v15, v19
	;; [unrolled: 1-line block ×4, first 2 shown]
	s_waitcnt vmcnt(0)
	v_fmac_f32_e32 v8, v38, v22
	v_fmac_f32_e32 v8, v39, v23
	;; [unrolled: 1-line block ×4, first 2 shown]
	s_andn2_b64 exec, exec, s[0:1]
	s_cbranch_execnz .LBB32_15
; %bb.16:
	s_or_b64 exec, exec, s[0:1]
.LBB32_17:
	s_or_b64 exec, exec, s[6:7]
.LBB32_18:
	v_mov_b32_dpp v0, v11 row_shr:1 row_mask:0xf bank_mask:0xf
	v_mov_b32_dpp v2, v12 row_shr:1 row_mask:0xf bank_mask:0xf
	v_mov_b32_dpp v5, v10 row_shr:1 row_mask:0xf bank_mask:0xf
	v_mov_b32_dpp v9, v8 row_shr:1 row_mask:0xf bank_mask:0xf
	v_add_f32_e32 v0, v11, v0
	v_add_f32_e32 v2, v12, v2
	v_add_f32_e32 v5, v10, v5
	v_add_f32_e32 v8, v8, v9
	v_mov_b32_dpp v1, v0 row_shr:2 row_mask:0xf bank_mask:0xf
	v_mov_b32_dpp v3, v2 row_shr:2 row_mask:0xf bank_mask:0xf
	v_mov_b32_dpp v6, v5 row_shr:2 row_mask:0xf bank_mask:0xf
	v_mov_b32_dpp v9, v8 row_shr:2 row_mask:0xf bank_mask:0xf
	v_add_f32_e32 v0, v0, v1
	v_add_f32_e32 v2, v2, v3
	v_add_f32_e32 v5, v5, v6
	v_add_f32_e32 v8, v8, v9
	;; [unrolled: 8-line block ×3, first 2 shown]
	v_mov_b32_dpp v1, v0 row_shr:8 row_mask:0xf bank_mask:0xc
	v_mov_b32_dpp v3, v2 row_shr:8 row_mask:0xf bank_mask:0xc
	;; [unrolled: 1-line block ×4, first 2 shown]
	v_cmp_eq_u32_e32 vcc, 15, v7
	s_and_b64 exec, exec, vcc
	s_cbranch_execz .LBB32_22
; %bb.19:
	s_load_dwordx2 s[0:1], s[4:5], 0x38
	v_add_f32_e32 v0, v0, v1
	v_add_f32_e32 v1, v2, v3
	;; [unrolled: 1-line block ×4, first 2 shown]
	v_cmp_eq_f32_e64 s[4:5], s2, 0
	s_and_b64 vcc, exec, s[4:5]
	v_mul_f32_e32 v0, s16, v0
	v_mul_f32_e32 v1, s16, v1
	;; [unrolled: 1-line block ×4, first 2 shown]
	v_lshlrev_b32_e32 v4, 2, v4
	s_cbranch_vccz .LBB32_23
; %bb.20:
	v_ashrrev_i32_e32 v5, 31, v4
	v_lshlrev_b64 v[5:6], 2, v[4:5]
	s_waitcnt lgkmcnt(0)
	v_mov_b32_e32 v7, s1
	v_add_co_u32_e32 v5, vcc, s0, v5
	v_addc_co_u32_e32 v6, vcc, v7, v6, vcc
	global_store_dwordx4 v[5:6], v[0:3], off
	s_cbranch_execnz .LBB32_22
.LBB32_21:
	v_ashrrev_i32_e32 v5, 31, v4
	v_lshlrev_b64 v[4:5], 2, v[4:5]
	s_waitcnt lgkmcnt(0)
	v_mov_b32_e32 v6, s1
	v_add_co_u32_e32 v8, vcc, s0, v4
	v_addc_co_u32_e32 v9, vcc, v6, v5, vcc
	global_load_dwordx4 v[4:7], v[8:9], off
	s_waitcnt vmcnt(0)
	v_fmac_f32_e32 v0, s2, v4
	v_fmac_f32_e32 v1, s2, v5
	;; [unrolled: 1-line block ×4, first 2 shown]
	global_store_dwordx4 v[8:9], v[0:3], off
.LBB32_22:
	s_endpgm
.LBB32_23:
	s_branch .LBB32_21
	.section	.rodata,"a",@progbits
	.p2align	6, 0x0
	.amdhsa_kernel _ZN9rocsparseL19gebsrmvn_4xn_kernelILj128ELj8ELj16EfEEvi20rocsparse_direction_NS_24const_host_device_scalarIT2_EEPKiS6_PKS3_S8_S4_PS3_21rocsparse_index_base_b
		.amdhsa_group_segment_fixed_size 0
		.amdhsa_private_segment_fixed_size 0
		.amdhsa_kernarg_size 72
		.amdhsa_user_sgpr_count 6
		.amdhsa_user_sgpr_private_segment_buffer 1
		.amdhsa_user_sgpr_dispatch_ptr 0
		.amdhsa_user_sgpr_queue_ptr 0
		.amdhsa_user_sgpr_kernarg_segment_ptr 1
		.amdhsa_user_sgpr_dispatch_id 0
		.amdhsa_user_sgpr_flat_scratch_init 0
		.amdhsa_user_sgpr_private_segment_size 0
		.amdhsa_uses_dynamic_stack 0
		.amdhsa_system_sgpr_private_segment_wavefront_offset 0
		.amdhsa_system_sgpr_workgroup_id_x 1
		.amdhsa_system_sgpr_workgroup_id_y 0
		.amdhsa_system_sgpr_workgroup_id_z 0
		.amdhsa_system_sgpr_workgroup_info 0
		.amdhsa_system_vgpr_workitem_id 0
		.amdhsa_next_free_vgpr 49
		.amdhsa_next_free_sgpr 20
		.amdhsa_reserve_vcc 1
		.amdhsa_reserve_flat_scratch 0
		.amdhsa_float_round_mode_32 0
		.amdhsa_float_round_mode_16_64 0
		.amdhsa_float_denorm_mode_32 3
		.amdhsa_float_denorm_mode_16_64 3
		.amdhsa_dx10_clamp 1
		.amdhsa_ieee_mode 1
		.amdhsa_fp16_overflow 0
		.amdhsa_exception_fp_ieee_invalid_op 0
		.amdhsa_exception_fp_denorm_src 0
		.amdhsa_exception_fp_ieee_div_zero 0
		.amdhsa_exception_fp_ieee_overflow 0
		.amdhsa_exception_fp_ieee_underflow 0
		.amdhsa_exception_fp_ieee_inexact 0
		.amdhsa_exception_int_div_zero 0
	.end_amdhsa_kernel
	.section	.text._ZN9rocsparseL19gebsrmvn_4xn_kernelILj128ELj8ELj16EfEEvi20rocsparse_direction_NS_24const_host_device_scalarIT2_EEPKiS6_PKS3_S8_S4_PS3_21rocsparse_index_base_b,"axG",@progbits,_ZN9rocsparseL19gebsrmvn_4xn_kernelILj128ELj8ELj16EfEEvi20rocsparse_direction_NS_24const_host_device_scalarIT2_EEPKiS6_PKS3_S8_S4_PS3_21rocsparse_index_base_b,comdat
.Lfunc_end32:
	.size	_ZN9rocsparseL19gebsrmvn_4xn_kernelILj128ELj8ELj16EfEEvi20rocsparse_direction_NS_24const_host_device_scalarIT2_EEPKiS6_PKS3_S8_S4_PS3_21rocsparse_index_base_b, .Lfunc_end32-_ZN9rocsparseL19gebsrmvn_4xn_kernelILj128ELj8ELj16EfEEvi20rocsparse_direction_NS_24const_host_device_scalarIT2_EEPKiS6_PKS3_S8_S4_PS3_21rocsparse_index_base_b
                                        ; -- End function
	.set _ZN9rocsparseL19gebsrmvn_4xn_kernelILj128ELj8ELj16EfEEvi20rocsparse_direction_NS_24const_host_device_scalarIT2_EEPKiS6_PKS3_S8_S4_PS3_21rocsparse_index_base_b.num_vgpr, 49
	.set _ZN9rocsparseL19gebsrmvn_4xn_kernelILj128ELj8ELj16EfEEvi20rocsparse_direction_NS_24const_host_device_scalarIT2_EEPKiS6_PKS3_S8_S4_PS3_21rocsparse_index_base_b.num_agpr, 0
	.set _ZN9rocsparseL19gebsrmvn_4xn_kernelILj128ELj8ELj16EfEEvi20rocsparse_direction_NS_24const_host_device_scalarIT2_EEPKiS6_PKS3_S8_S4_PS3_21rocsparse_index_base_b.numbered_sgpr, 20
	.set _ZN9rocsparseL19gebsrmvn_4xn_kernelILj128ELj8ELj16EfEEvi20rocsparse_direction_NS_24const_host_device_scalarIT2_EEPKiS6_PKS3_S8_S4_PS3_21rocsparse_index_base_b.num_named_barrier, 0
	.set _ZN9rocsparseL19gebsrmvn_4xn_kernelILj128ELj8ELj16EfEEvi20rocsparse_direction_NS_24const_host_device_scalarIT2_EEPKiS6_PKS3_S8_S4_PS3_21rocsparse_index_base_b.private_seg_size, 0
	.set _ZN9rocsparseL19gebsrmvn_4xn_kernelILj128ELj8ELj16EfEEvi20rocsparse_direction_NS_24const_host_device_scalarIT2_EEPKiS6_PKS3_S8_S4_PS3_21rocsparse_index_base_b.uses_vcc, 1
	.set _ZN9rocsparseL19gebsrmvn_4xn_kernelILj128ELj8ELj16EfEEvi20rocsparse_direction_NS_24const_host_device_scalarIT2_EEPKiS6_PKS3_S8_S4_PS3_21rocsparse_index_base_b.uses_flat_scratch, 0
	.set _ZN9rocsparseL19gebsrmvn_4xn_kernelILj128ELj8ELj16EfEEvi20rocsparse_direction_NS_24const_host_device_scalarIT2_EEPKiS6_PKS3_S8_S4_PS3_21rocsparse_index_base_b.has_dyn_sized_stack, 0
	.set _ZN9rocsparseL19gebsrmvn_4xn_kernelILj128ELj8ELj16EfEEvi20rocsparse_direction_NS_24const_host_device_scalarIT2_EEPKiS6_PKS3_S8_S4_PS3_21rocsparse_index_base_b.has_recursion, 0
	.set _ZN9rocsparseL19gebsrmvn_4xn_kernelILj128ELj8ELj16EfEEvi20rocsparse_direction_NS_24const_host_device_scalarIT2_EEPKiS6_PKS3_S8_S4_PS3_21rocsparse_index_base_b.has_indirect_call, 0
	.section	.AMDGPU.csdata,"",@progbits
; Kernel info:
; codeLenInByte = 1412
; TotalNumSgprs: 24
; NumVgprs: 49
; ScratchSize: 0
; MemoryBound: 0
; FloatMode: 240
; IeeeMode: 1
; LDSByteSize: 0 bytes/workgroup (compile time only)
; SGPRBlocks: 2
; VGPRBlocks: 12
; NumSGPRsForWavesPerEU: 24
; NumVGPRsForWavesPerEU: 49
; Occupancy: 4
; WaveLimiterHint : 1
; COMPUTE_PGM_RSRC2:SCRATCH_EN: 0
; COMPUTE_PGM_RSRC2:USER_SGPR: 6
; COMPUTE_PGM_RSRC2:TRAP_HANDLER: 0
; COMPUTE_PGM_RSRC2:TGID_X_EN: 1
; COMPUTE_PGM_RSRC2:TGID_Y_EN: 0
; COMPUTE_PGM_RSRC2:TGID_Z_EN: 0
; COMPUTE_PGM_RSRC2:TIDIG_COMP_CNT: 0
	.section	.text._ZN9rocsparseL19gebsrmvn_4xn_kernelILj128ELj8ELj32EfEEvi20rocsparse_direction_NS_24const_host_device_scalarIT2_EEPKiS6_PKS3_S8_S4_PS3_21rocsparse_index_base_b,"axG",@progbits,_ZN9rocsparseL19gebsrmvn_4xn_kernelILj128ELj8ELj32EfEEvi20rocsparse_direction_NS_24const_host_device_scalarIT2_EEPKiS6_PKS3_S8_S4_PS3_21rocsparse_index_base_b,comdat
	.globl	_ZN9rocsparseL19gebsrmvn_4xn_kernelILj128ELj8ELj32EfEEvi20rocsparse_direction_NS_24const_host_device_scalarIT2_EEPKiS6_PKS3_S8_S4_PS3_21rocsparse_index_base_b ; -- Begin function _ZN9rocsparseL19gebsrmvn_4xn_kernelILj128ELj8ELj32EfEEvi20rocsparse_direction_NS_24const_host_device_scalarIT2_EEPKiS6_PKS3_S8_S4_PS3_21rocsparse_index_base_b
	.p2align	8
	.type	_ZN9rocsparseL19gebsrmvn_4xn_kernelILj128ELj8ELj32EfEEvi20rocsparse_direction_NS_24const_host_device_scalarIT2_EEPKiS6_PKS3_S8_S4_PS3_21rocsparse_index_base_b,@function
_ZN9rocsparseL19gebsrmvn_4xn_kernelILj128ELj8ELj32EfEEvi20rocsparse_direction_NS_24const_host_device_scalarIT2_EEPKiS6_PKS3_S8_S4_PS3_21rocsparse_index_base_b: ; @_ZN9rocsparseL19gebsrmvn_4xn_kernelILj128ELj8ELj32EfEEvi20rocsparse_direction_NS_24const_host_device_scalarIT2_EEPKiS6_PKS3_S8_S4_PS3_21rocsparse_index_base_b
; %bb.0:
	s_load_dwordx2 s[18:19], s[4:5], 0x40
	s_load_dwordx2 s[16:17], s[4:5], 0x8
	;; [unrolled: 1-line block ×3, first 2 shown]
	s_waitcnt lgkmcnt(0)
	s_bitcmp1_b32 s19, 0
	s_cselect_b64 s[8:9], -1, 0
	s_xor_b64 s[0:1], s[8:9], -1
	s_and_b64 vcc, exec, s[8:9]
	s_cbranch_vccnz .LBB33_2
; %bb.1:
	s_load_dword s16, s[16:17], 0x0
.LBB33_2:
	s_andn2_b64 vcc, exec, s[0:1]
	s_cbranch_vccnz .LBB33_4
; %bb.3:
	s_load_dword s2, s[2:3], 0x0
.LBB33_4:
	s_waitcnt lgkmcnt(0)
	v_cmp_eq_f32_e64 s[0:1], s16, 0
	v_cmp_eq_f32_e64 s[8:9], s2, 1.0
	s_and_b64 s[0:1], s[0:1], s[8:9]
	s_and_b64 vcc, exec, s[0:1]
	s_cbranch_vccnz .LBB33_22
; %bb.5:
	s_load_dwordx2 s[0:1], s[4:5], 0x0
	v_lshrrev_b32_e32 v1, 5, v0
	v_lshl_or_b32 v4, s6, 2, v1
	s_waitcnt lgkmcnt(0)
	v_cmp_gt_i32_e32 vcc, s0, v4
	s_and_saveexec_b64 s[6:7], vcc
	s_cbranch_execz .LBB33_22
; %bb.6:
	s_load_dwordx8 s[8:15], s[4:5], 0x10
	v_ashrrev_i32_e32 v5, 31, v4
	v_lshlrev_b64 v[1:2], 2, v[4:5]
	v_and_b32_e32 v7, 31, v0
	s_cmp_lg_u32 s1, 0
	s_waitcnt lgkmcnt(0)
	v_mov_b32_e32 v3, s9
	v_add_co_u32_e32 v1, vcc, s8, v1
	v_addc_co_u32_e32 v2, vcc, v3, v2, vcc
	global_load_dwordx2 v[1:2], v[1:2], off
	s_waitcnt vmcnt(0)
	v_subrev_u32_e32 v0, s18, v1
	v_subrev_u32_e32 v10, s18, v2
	v_add_u32_e32 v0, v0, v7
	v_cmp_lt_i32_e64 s[0:1], v0, v10
	s_cbranch_scc0 .LBB33_12
; %bb.7:
	v_mov_b32_e32 v11, 0
	v_mov_b32_e32 v8, 0
	v_mov_b32_e32 v9, 0
	v_mov_b32_e32 v12, 0
	s_and_saveexec_b64 s[6:7], s[0:1]
	s_cbranch_execz .LBB33_11
; %bb.8:
	v_mov_b32_e32 v2, 0
	v_lshlrev_b32_e32 v1, 5, v0
	s_mov_b64 s[8:9], 0
	v_mov_b32_e32 v3, s11
	v_mov_b32_e32 v13, s13
	v_mov_b32_e32 v14, s15
	v_mov_b32_e32 v5, v0
	v_mov_b32_e32 v11, v2
	v_mov_b32_e32 v8, v2
	v_mov_b32_e32 v9, v2
	v_mov_b32_e32 v12, v2
.LBB33_9:                               ; =>This Inner Loop Header: Depth=1
	v_lshlrev_b64 v[15:16], 2, v[1:2]
	v_ashrrev_i32_e32 v6, 31, v5
	v_lshlrev_b64 v[17:18], 2, v[5:6]
	v_add_co_u32_e32 v47, vcc, s12, v15
	v_addc_co_u32_e32 v48, vcc, v13, v16, vcc
	v_add_co_u32_e32 v37, vcc, s10, v17
	v_addc_co_u32_e32 v38, vcc, v3, v18, vcc
	global_load_dwordx4 v[15:18], v[47:48], off
	global_load_dwordx4 v[19:22], v[47:48], off offset:16
	global_load_dwordx4 v[23:26], v[47:48], off offset:32
	;; [unrolled: 1-line block ×4, first 2 shown]
	global_load_dword v6, v[37:38], off
	v_mov_b32_e32 v36, v2
	v_add_u32_e32 v5, 32, v5
	v_add_u32_e32 v1, 0x400, v1
	s_waitcnt vmcnt(0)
	v_subrev_u32_e32 v6, s18, v6
	v_lshlrev_b32_e32 v35, 3, v6
	v_lshlrev_b64 v[35:36], 2, v[35:36]
	v_add_co_u32_e32 v43, vcc, s14, v35
	v_addc_co_u32_e32 v44, vcc, v14, v36, vcc
	global_load_dwordx4 v[35:38], v[43:44], off
	global_load_dwordx4 v[39:42], v[43:44], off offset:16
	v_cmp_ge_i32_e32 vcc, v5, v10
	s_or_b64 s[8:9], vcc, s[8:9]
	s_waitcnt vmcnt(1)
	v_fmac_f32_e32 v11, v15, v35
	v_fmac_f32_e32 v12, v16, v35
	;; [unrolled: 1-line block ×4, first 2 shown]
	global_load_dwordx4 v[15:18], v[47:48], off offset:80
	v_fmac_f32_e32 v11, v19, v36
	v_fmac_f32_e32 v12, v20, v36
	;; [unrolled: 1-line block ×4, first 2 shown]
	global_load_dwordx4 v[19:22], v[47:48], off offset:96
	global_load_dwordx4 v[43:46], v[47:48], off offset:112
	v_fmac_f32_e32 v11, v23, v37
	v_fmac_f32_e32 v12, v24, v37
	;; [unrolled: 1-line block ×8, first 2 shown]
	s_waitcnt vmcnt(3)
	v_fmac_f32_e32 v11, v31, v39
	v_fmac_f32_e32 v12, v32, v39
	v_fmac_f32_e32 v9, v33, v39
	v_fmac_f32_e32 v8, v34, v39
	s_waitcnt vmcnt(2)
	v_fmac_f32_e32 v11, v15, v40
	v_fmac_f32_e32 v12, v16, v40
	v_fmac_f32_e32 v9, v17, v40
	v_fmac_f32_e32 v8, v18, v40
	;; [unrolled: 5-line block ×4, first 2 shown]
	s_andn2_b64 exec, exec, s[8:9]
	s_cbranch_execnz .LBB33_9
; %bb.10:
	s_or_b64 exec, exec, s[8:9]
.LBB33_11:
	s_or_b64 exec, exec, s[6:7]
	s_cbranch_execz .LBB33_13
	s_branch .LBB33_18
.LBB33_12:
                                        ; implicit-def: $vgpr11
                                        ; implicit-def: $vgpr8
                                        ; implicit-def: $vgpr9
                                        ; implicit-def: $vgpr12
.LBB33_13:
	v_mov_b32_e32 v11, 0
	v_mov_b32_e32 v8, 0
	;; [unrolled: 1-line block ×4, first 2 shown]
	s_and_saveexec_b64 s[6:7], s[0:1]
	s_cbranch_execz .LBB33_17
; %bb.14:
	v_mov_b32_e32 v3, 0
	v_lshlrev_b32_e32 v2, 5, v0
	s_mov_b64 s[0:1], 0
	v_mov_b32_e32 v5, s11
	v_mov_b32_e32 v6, s13
	;; [unrolled: 1-line block ×7, first 2 shown]
.LBB33_15:                              ; =>This Inner Loop Header: Depth=1
	v_lshlrev_b64 v[14:15], 2, v[2:3]
	v_ashrrev_i32_e32 v1, 31, v0
	v_lshlrev_b64 v[16:17], 2, v[0:1]
	v_add_co_u32_e32 v42, vcc, s12, v14
	v_addc_co_u32_e32 v43, vcc, v6, v15, vcc
	v_add_co_u32_e32 v20, vcc, s10, v16
	v_addc_co_u32_e32 v21, vcc, v5, v17, vcc
	global_load_dwordx4 v[14:17], v[42:43], off
	global_load_dword v1, v[20:21], off
	v_mov_b32_e32 v19, v3
	v_add_u32_e32 v0, 32, v0
	v_add_u32_e32 v2, 0x400, v2
	s_waitcnt vmcnt(0)
	v_subrev_u32_e32 v1, s18, v1
	v_lshlrev_b32_e32 v18, 3, v1
	v_lshlrev_b64 v[18:19], 2, v[18:19]
	v_add_co_u32_e32 v30, vcc, s14, v18
	v_addc_co_u32_e32 v31, vcc, v13, v19, vcc
	global_load_dwordx4 v[18:21], v[30:31], off
	global_load_dwordx4 v[22:25], v[30:31], off offset:16
	global_load_dwordx4 v[26:29], v[42:43], off offset:16
	v_cmp_ge_i32_e32 vcc, v0, v10
	s_or_b64 s[0:1], vcc, s[0:1]
	s_waitcnt vmcnt(2)
	v_fmac_f32_e32 v11, v14, v18
	v_fmac_f32_e32 v11, v15, v19
	v_fmac_f32_e32 v11, v16, v20
	v_fmac_f32_e32 v11, v17, v21
	global_load_dwordx4 v[14:17], v[42:43], off offset:32
	global_load_dwordx4 v[30:33], v[42:43], off offset:48
	s_waitcnt vmcnt(2)
	v_fmac_f32_e32 v11, v26, v22
	v_fmac_f32_e32 v11, v27, v23
	v_fmac_f32_e32 v11, v28, v24
	v_fmac_f32_e32 v11, v29, v25
	s_waitcnt vmcnt(1)
	v_fmac_f32_e32 v12, v14, v18
	v_fmac_f32_e32 v12, v15, v19
	v_fmac_f32_e32 v12, v16, v20
	v_fmac_f32_e32 v12, v17, v21
	global_load_dwordx4 v[14:17], v[42:43], off offset:64
	global_load_dwordx4 v[34:37], v[42:43], off offset:80
	s_waitcnt vmcnt(2)
	v_fmac_f32_e32 v12, v30, v22
	v_fmac_f32_e32 v12, v31, v23
	v_fmac_f32_e32 v12, v32, v24
	v_fmac_f32_e32 v12, v33, v25
	;; [unrolled: 12-line block ×3, first 2 shown]
	s_waitcnt vmcnt(1)
	v_fmac_f32_e32 v8, v14, v18
	v_fmac_f32_e32 v8, v15, v19
	;; [unrolled: 1-line block ×4, first 2 shown]
	s_waitcnt vmcnt(0)
	v_fmac_f32_e32 v8, v38, v22
	v_fmac_f32_e32 v8, v39, v23
	;; [unrolled: 1-line block ×4, first 2 shown]
	s_andn2_b64 exec, exec, s[0:1]
	s_cbranch_execnz .LBB33_15
; %bb.16:
	s_or_b64 exec, exec, s[0:1]
.LBB33_17:
	s_or_b64 exec, exec, s[6:7]
.LBB33_18:
	v_mov_b32_dpp v5, v9 row_shr:1 row_mask:0xf bank_mask:0xf
	v_mov_b32_dpp v0, v11 row_shr:1 row_mask:0xf bank_mask:0xf
	;; [unrolled: 1-line block ×3, first 2 shown]
	v_add_f32_e32 v5, v9, v5
	v_mov_b32_dpp v9, v8 row_shr:1 row_mask:0xf bank_mask:0xf
	v_add_f32_e32 v0, v11, v0
	v_add_f32_e32 v2, v12, v2
	v_add_f32_e32 v8, v8, v9
	v_mov_b32_dpp v1, v0 row_shr:2 row_mask:0xf bank_mask:0xf
	v_mov_b32_dpp v3, v2 row_shr:2 row_mask:0xf bank_mask:0xf
	v_mov_b32_dpp v6, v5 row_shr:2 row_mask:0xf bank_mask:0xf
	v_mov_b32_dpp v9, v8 row_shr:2 row_mask:0xf bank_mask:0xf
	v_add_f32_e32 v0, v0, v1
	v_add_f32_e32 v2, v2, v3
	v_add_f32_e32 v5, v5, v6
	v_add_f32_e32 v8, v8, v9
	v_mov_b32_dpp v1, v0 row_shr:4 row_mask:0xf bank_mask:0xe
	v_mov_b32_dpp v3, v2 row_shr:4 row_mask:0xf bank_mask:0xe
	v_mov_b32_dpp v6, v5 row_shr:4 row_mask:0xf bank_mask:0xe
	v_mov_b32_dpp v9, v8 row_shr:4 row_mask:0xf bank_mask:0xe
	v_add_f32_e32 v0, v0, v1
	;; [unrolled: 8-line block ×3, first 2 shown]
	v_add_f32_e32 v2, v2, v3
	v_add_f32_e32 v5, v5, v6
	;; [unrolled: 1-line block ×3, first 2 shown]
	v_mov_b32_dpp v1, v0 row_bcast:15 row_mask:0xa bank_mask:0xf
	v_mov_b32_dpp v3, v2 row_bcast:15 row_mask:0xa bank_mask:0xf
	;; [unrolled: 1-line block ×4, first 2 shown]
	v_cmp_eq_u32_e32 vcc, 31, v7
	s_and_b64 exec, exec, vcc
	s_cbranch_execz .LBB33_22
; %bb.19:
	s_load_dwordx2 s[0:1], s[4:5], 0x38
	v_add_f32_e32 v0, v0, v1
	v_add_f32_e32 v1, v2, v3
	;; [unrolled: 1-line block ×4, first 2 shown]
	v_cmp_eq_f32_e64 s[4:5], s2, 0
	s_and_b64 vcc, exec, s[4:5]
	v_mul_f32_e32 v0, s16, v0
	v_mul_f32_e32 v1, s16, v1
	;; [unrolled: 1-line block ×4, first 2 shown]
	v_lshlrev_b32_e32 v4, 2, v4
	s_cbranch_vccz .LBB33_23
; %bb.20:
	v_ashrrev_i32_e32 v5, 31, v4
	v_lshlrev_b64 v[5:6], 2, v[4:5]
	s_waitcnt lgkmcnt(0)
	v_mov_b32_e32 v7, s1
	v_add_co_u32_e32 v5, vcc, s0, v5
	v_addc_co_u32_e32 v6, vcc, v7, v6, vcc
	global_store_dwordx4 v[5:6], v[0:3], off
	s_cbranch_execnz .LBB33_22
.LBB33_21:
	v_ashrrev_i32_e32 v5, 31, v4
	v_lshlrev_b64 v[4:5], 2, v[4:5]
	s_waitcnt lgkmcnt(0)
	v_mov_b32_e32 v6, s1
	v_add_co_u32_e32 v8, vcc, s0, v4
	v_addc_co_u32_e32 v9, vcc, v6, v5, vcc
	global_load_dwordx4 v[4:7], v[8:9], off
	s_waitcnt vmcnt(0)
	v_fmac_f32_e32 v0, s2, v4
	v_fmac_f32_e32 v1, s2, v5
	;; [unrolled: 1-line block ×4, first 2 shown]
	global_store_dwordx4 v[8:9], v[0:3], off
.LBB33_22:
	s_endpgm
.LBB33_23:
	s_branch .LBB33_21
	.section	.rodata,"a",@progbits
	.p2align	6, 0x0
	.amdhsa_kernel _ZN9rocsparseL19gebsrmvn_4xn_kernelILj128ELj8ELj32EfEEvi20rocsparse_direction_NS_24const_host_device_scalarIT2_EEPKiS6_PKS3_S8_S4_PS3_21rocsparse_index_base_b
		.amdhsa_group_segment_fixed_size 0
		.amdhsa_private_segment_fixed_size 0
		.amdhsa_kernarg_size 72
		.amdhsa_user_sgpr_count 6
		.amdhsa_user_sgpr_private_segment_buffer 1
		.amdhsa_user_sgpr_dispatch_ptr 0
		.amdhsa_user_sgpr_queue_ptr 0
		.amdhsa_user_sgpr_kernarg_segment_ptr 1
		.amdhsa_user_sgpr_dispatch_id 0
		.amdhsa_user_sgpr_flat_scratch_init 0
		.amdhsa_user_sgpr_private_segment_size 0
		.amdhsa_uses_dynamic_stack 0
		.amdhsa_system_sgpr_private_segment_wavefront_offset 0
		.amdhsa_system_sgpr_workgroup_id_x 1
		.amdhsa_system_sgpr_workgroup_id_y 0
		.amdhsa_system_sgpr_workgroup_id_z 0
		.amdhsa_system_sgpr_workgroup_info 0
		.amdhsa_system_vgpr_workitem_id 0
		.amdhsa_next_free_vgpr 49
		.amdhsa_next_free_sgpr 20
		.amdhsa_reserve_vcc 1
		.amdhsa_reserve_flat_scratch 0
		.amdhsa_float_round_mode_32 0
		.amdhsa_float_round_mode_16_64 0
		.amdhsa_float_denorm_mode_32 3
		.amdhsa_float_denorm_mode_16_64 3
		.amdhsa_dx10_clamp 1
		.amdhsa_ieee_mode 1
		.amdhsa_fp16_overflow 0
		.amdhsa_exception_fp_ieee_invalid_op 0
		.amdhsa_exception_fp_denorm_src 0
		.amdhsa_exception_fp_ieee_div_zero 0
		.amdhsa_exception_fp_ieee_overflow 0
		.amdhsa_exception_fp_ieee_underflow 0
		.amdhsa_exception_fp_ieee_inexact 0
		.amdhsa_exception_int_div_zero 0
	.end_amdhsa_kernel
	.section	.text._ZN9rocsparseL19gebsrmvn_4xn_kernelILj128ELj8ELj32EfEEvi20rocsparse_direction_NS_24const_host_device_scalarIT2_EEPKiS6_PKS3_S8_S4_PS3_21rocsparse_index_base_b,"axG",@progbits,_ZN9rocsparseL19gebsrmvn_4xn_kernelILj128ELj8ELj32EfEEvi20rocsparse_direction_NS_24const_host_device_scalarIT2_EEPKiS6_PKS3_S8_S4_PS3_21rocsparse_index_base_b,comdat
.Lfunc_end33:
	.size	_ZN9rocsparseL19gebsrmvn_4xn_kernelILj128ELj8ELj32EfEEvi20rocsparse_direction_NS_24const_host_device_scalarIT2_EEPKiS6_PKS3_S8_S4_PS3_21rocsparse_index_base_b, .Lfunc_end33-_ZN9rocsparseL19gebsrmvn_4xn_kernelILj128ELj8ELj32EfEEvi20rocsparse_direction_NS_24const_host_device_scalarIT2_EEPKiS6_PKS3_S8_S4_PS3_21rocsparse_index_base_b
                                        ; -- End function
	.set _ZN9rocsparseL19gebsrmvn_4xn_kernelILj128ELj8ELj32EfEEvi20rocsparse_direction_NS_24const_host_device_scalarIT2_EEPKiS6_PKS3_S8_S4_PS3_21rocsparse_index_base_b.num_vgpr, 49
	.set _ZN9rocsparseL19gebsrmvn_4xn_kernelILj128ELj8ELj32EfEEvi20rocsparse_direction_NS_24const_host_device_scalarIT2_EEPKiS6_PKS3_S8_S4_PS3_21rocsparse_index_base_b.num_agpr, 0
	.set _ZN9rocsparseL19gebsrmvn_4xn_kernelILj128ELj8ELj32EfEEvi20rocsparse_direction_NS_24const_host_device_scalarIT2_EEPKiS6_PKS3_S8_S4_PS3_21rocsparse_index_base_b.numbered_sgpr, 20
	.set _ZN9rocsparseL19gebsrmvn_4xn_kernelILj128ELj8ELj32EfEEvi20rocsparse_direction_NS_24const_host_device_scalarIT2_EEPKiS6_PKS3_S8_S4_PS3_21rocsparse_index_base_b.num_named_barrier, 0
	.set _ZN9rocsparseL19gebsrmvn_4xn_kernelILj128ELj8ELj32EfEEvi20rocsparse_direction_NS_24const_host_device_scalarIT2_EEPKiS6_PKS3_S8_S4_PS3_21rocsparse_index_base_b.private_seg_size, 0
	.set _ZN9rocsparseL19gebsrmvn_4xn_kernelILj128ELj8ELj32EfEEvi20rocsparse_direction_NS_24const_host_device_scalarIT2_EEPKiS6_PKS3_S8_S4_PS3_21rocsparse_index_base_b.uses_vcc, 1
	.set _ZN9rocsparseL19gebsrmvn_4xn_kernelILj128ELj8ELj32EfEEvi20rocsparse_direction_NS_24const_host_device_scalarIT2_EEPKiS6_PKS3_S8_S4_PS3_21rocsparse_index_base_b.uses_flat_scratch, 0
	.set _ZN9rocsparseL19gebsrmvn_4xn_kernelILj128ELj8ELj32EfEEvi20rocsparse_direction_NS_24const_host_device_scalarIT2_EEPKiS6_PKS3_S8_S4_PS3_21rocsparse_index_base_b.has_dyn_sized_stack, 0
	.set _ZN9rocsparseL19gebsrmvn_4xn_kernelILj128ELj8ELj32EfEEvi20rocsparse_direction_NS_24const_host_device_scalarIT2_EEPKiS6_PKS3_S8_S4_PS3_21rocsparse_index_base_b.has_recursion, 0
	.set _ZN9rocsparseL19gebsrmvn_4xn_kernelILj128ELj8ELj32EfEEvi20rocsparse_direction_NS_24const_host_device_scalarIT2_EEPKiS6_PKS3_S8_S4_PS3_21rocsparse_index_base_b.has_indirect_call, 0
	.section	.AMDGPU.csdata,"",@progbits
; Kernel info:
; codeLenInByte = 1460
; TotalNumSgprs: 24
; NumVgprs: 49
; ScratchSize: 0
; MemoryBound: 0
; FloatMode: 240
; IeeeMode: 1
; LDSByteSize: 0 bytes/workgroup (compile time only)
; SGPRBlocks: 2
; VGPRBlocks: 12
; NumSGPRsForWavesPerEU: 24
; NumVGPRsForWavesPerEU: 49
; Occupancy: 4
; WaveLimiterHint : 1
; COMPUTE_PGM_RSRC2:SCRATCH_EN: 0
; COMPUTE_PGM_RSRC2:USER_SGPR: 6
; COMPUTE_PGM_RSRC2:TRAP_HANDLER: 0
; COMPUTE_PGM_RSRC2:TGID_X_EN: 1
; COMPUTE_PGM_RSRC2:TGID_Y_EN: 0
; COMPUTE_PGM_RSRC2:TGID_Z_EN: 0
; COMPUTE_PGM_RSRC2:TIDIG_COMP_CNT: 0
	.section	.text._ZN9rocsparseL19gebsrmvn_4xn_kernelILj128ELj8ELj64EfEEvi20rocsparse_direction_NS_24const_host_device_scalarIT2_EEPKiS6_PKS3_S8_S4_PS3_21rocsparse_index_base_b,"axG",@progbits,_ZN9rocsparseL19gebsrmvn_4xn_kernelILj128ELj8ELj64EfEEvi20rocsparse_direction_NS_24const_host_device_scalarIT2_EEPKiS6_PKS3_S8_S4_PS3_21rocsparse_index_base_b,comdat
	.globl	_ZN9rocsparseL19gebsrmvn_4xn_kernelILj128ELj8ELj64EfEEvi20rocsparse_direction_NS_24const_host_device_scalarIT2_EEPKiS6_PKS3_S8_S4_PS3_21rocsparse_index_base_b ; -- Begin function _ZN9rocsparseL19gebsrmvn_4xn_kernelILj128ELj8ELj64EfEEvi20rocsparse_direction_NS_24const_host_device_scalarIT2_EEPKiS6_PKS3_S8_S4_PS3_21rocsparse_index_base_b
	.p2align	8
	.type	_ZN9rocsparseL19gebsrmvn_4xn_kernelILj128ELj8ELj64EfEEvi20rocsparse_direction_NS_24const_host_device_scalarIT2_EEPKiS6_PKS3_S8_S4_PS3_21rocsparse_index_base_b,@function
_ZN9rocsparseL19gebsrmvn_4xn_kernelILj128ELj8ELj64EfEEvi20rocsparse_direction_NS_24const_host_device_scalarIT2_EEPKiS6_PKS3_S8_S4_PS3_21rocsparse_index_base_b: ; @_ZN9rocsparseL19gebsrmvn_4xn_kernelILj128ELj8ELj64EfEEvi20rocsparse_direction_NS_24const_host_device_scalarIT2_EEPKiS6_PKS3_S8_S4_PS3_21rocsparse_index_base_b
; %bb.0:
	s_load_dwordx2 s[18:19], s[4:5], 0x40
	s_load_dwordx2 s[16:17], s[4:5], 0x8
	;; [unrolled: 1-line block ×3, first 2 shown]
	s_waitcnt lgkmcnt(0)
	s_bitcmp1_b32 s19, 0
	s_cselect_b64 s[8:9], -1, 0
	s_xor_b64 s[0:1], s[8:9], -1
	s_and_b64 vcc, exec, s[8:9]
	s_cbranch_vccnz .LBB34_2
; %bb.1:
	s_load_dword s16, s[16:17], 0x0
.LBB34_2:
	s_andn2_b64 vcc, exec, s[0:1]
	s_cbranch_vccnz .LBB34_4
; %bb.3:
	s_load_dword s2, s[2:3], 0x0
.LBB34_4:
	s_waitcnt lgkmcnt(0)
	v_cmp_eq_f32_e64 s[0:1], s16, 0
	v_cmp_eq_f32_e64 s[8:9], s2, 1.0
	s_and_b64 s[0:1], s[0:1], s[8:9]
	s_and_b64 vcc, exec, s[0:1]
	s_cbranch_vccnz .LBB34_22
; %bb.5:
	s_load_dwordx2 s[0:1], s[4:5], 0x0
	v_lshrrev_b32_e32 v1, 6, v0
	v_lshl_or_b32 v4, s6, 1, v1
	s_waitcnt lgkmcnt(0)
	v_cmp_gt_i32_e32 vcc, s0, v4
	s_and_saveexec_b64 s[6:7], vcc
	s_cbranch_execz .LBB34_22
; %bb.6:
	s_load_dwordx8 s[8:15], s[4:5], 0x10
	v_ashrrev_i32_e32 v5, 31, v4
	v_lshlrev_b64 v[1:2], 2, v[4:5]
	v_and_b32_e32 v7, 63, v0
	s_cmp_lg_u32 s1, 0
	s_waitcnt lgkmcnt(0)
	v_mov_b32_e32 v3, s9
	v_add_co_u32_e32 v1, vcc, s8, v1
	v_addc_co_u32_e32 v2, vcc, v3, v2, vcc
	global_load_dwordx2 v[1:2], v[1:2], off
	s_waitcnt vmcnt(0)
	v_subrev_u32_e32 v0, s18, v1
	v_subrev_u32_e32 v10, s18, v2
	v_add_u32_e32 v0, v0, v7
	v_cmp_lt_i32_e64 s[0:1], v0, v10
	s_cbranch_scc0 .LBB34_12
; %bb.7:
	v_mov_b32_e32 v11, 0
	v_mov_b32_e32 v8, 0
	v_mov_b32_e32 v9, 0
	v_mov_b32_e32 v12, 0
	s_and_saveexec_b64 s[6:7], s[0:1]
	s_cbranch_execz .LBB34_11
; %bb.8:
	v_mov_b32_e32 v2, 0
	v_lshlrev_b32_e32 v1, 5, v0
	s_mov_b64 s[8:9], 0
	v_mov_b32_e32 v3, s11
	v_mov_b32_e32 v13, s13
	;; [unrolled: 1-line block ×8, first 2 shown]
.LBB34_9:                               ; =>This Inner Loop Header: Depth=1
	v_lshlrev_b64 v[15:16], 2, v[1:2]
	v_ashrrev_i32_e32 v6, 31, v5
	v_lshlrev_b64 v[17:18], 2, v[5:6]
	v_add_co_u32_e32 v47, vcc, s12, v15
	v_addc_co_u32_e32 v48, vcc, v13, v16, vcc
	v_add_co_u32_e32 v37, vcc, s10, v17
	v_addc_co_u32_e32 v38, vcc, v3, v18, vcc
	global_load_dwordx4 v[15:18], v[47:48], off
	global_load_dwordx4 v[19:22], v[47:48], off offset:16
	global_load_dwordx4 v[23:26], v[47:48], off offset:32
	;; [unrolled: 1-line block ×4, first 2 shown]
	global_load_dword v6, v[37:38], off
	v_mov_b32_e32 v36, v2
	v_add_u32_e32 v5, 64, v5
	v_add_u32_e32 v1, 0x800, v1
	s_waitcnt vmcnt(0)
	v_subrev_u32_e32 v6, s18, v6
	v_lshlrev_b32_e32 v35, 3, v6
	v_lshlrev_b64 v[35:36], 2, v[35:36]
	v_add_co_u32_e32 v43, vcc, s14, v35
	v_addc_co_u32_e32 v44, vcc, v14, v36, vcc
	global_load_dwordx4 v[35:38], v[43:44], off
	global_load_dwordx4 v[39:42], v[43:44], off offset:16
	v_cmp_ge_i32_e32 vcc, v5, v10
	s_or_b64 s[8:9], vcc, s[8:9]
	s_waitcnt vmcnt(1)
	v_fmac_f32_e32 v11, v15, v35
	v_fmac_f32_e32 v12, v16, v35
	;; [unrolled: 1-line block ×4, first 2 shown]
	global_load_dwordx4 v[15:18], v[47:48], off offset:80
	v_fmac_f32_e32 v11, v19, v36
	v_fmac_f32_e32 v12, v20, v36
	;; [unrolled: 1-line block ×4, first 2 shown]
	global_load_dwordx4 v[19:22], v[47:48], off offset:96
	global_load_dwordx4 v[43:46], v[47:48], off offset:112
	v_fmac_f32_e32 v11, v23, v37
	v_fmac_f32_e32 v12, v24, v37
	;; [unrolled: 1-line block ×8, first 2 shown]
	s_waitcnt vmcnt(3)
	v_fmac_f32_e32 v11, v31, v39
	v_fmac_f32_e32 v12, v32, v39
	v_fmac_f32_e32 v9, v33, v39
	v_fmac_f32_e32 v8, v34, v39
	s_waitcnt vmcnt(2)
	v_fmac_f32_e32 v11, v15, v40
	v_fmac_f32_e32 v12, v16, v40
	v_fmac_f32_e32 v9, v17, v40
	v_fmac_f32_e32 v8, v18, v40
	s_waitcnt vmcnt(1)
	v_fmac_f32_e32 v11, v19, v41
	v_fmac_f32_e32 v12, v20, v41
	v_fmac_f32_e32 v9, v21, v41
	v_fmac_f32_e32 v8, v22, v41
	s_waitcnt vmcnt(0)
	v_fmac_f32_e32 v11, v43, v42
	v_fmac_f32_e32 v12, v44, v42
	v_fmac_f32_e32 v9, v45, v42
	v_fmac_f32_e32 v8, v46, v42
	s_andn2_b64 exec, exec, s[8:9]
	s_cbranch_execnz .LBB34_9
; %bb.10:
	s_or_b64 exec, exec, s[8:9]
.LBB34_11:
	s_or_b64 exec, exec, s[6:7]
	s_cbranch_execz .LBB34_13
	s_branch .LBB34_18
.LBB34_12:
                                        ; implicit-def: $vgpr11
                                        ; implicit-def: $vgpr8
                                        ; implicit-def: $vgpr9
                                        ; implicit-def: $vgpr12
.LBB34_13:
	v_mov_b32_e32 v11, 0
	v_mov_b32_e32 v8, 0
	;; [unrolled: 1-line block ×4, first 2 shown]
	s_and_saveexec_b64 s[6:7], s[0:1]
	s_cbranch_execz .LBB34_17
; %bb.14:
	v_mov_b32_e32 v3, 0
	v_lshlrev_b32_e32 v2, 5, v0
	s_mov_b64 s[0:1], 0
	v_mov_b32_e32 v5, s11
	v_mov_b32_e32 v6, s13
	;; [unrolled: 1-line block ×7, first 2 shown]
.LBB34_15:                              ; =>This Inner Loop Header: Depth=1
	v_lshlrev_b64 v[14:15], 2, v[2:3]
	v_ashrrev_i32_e32 v1, 31, v0
	v_lshlrev_b64 v[16:17], 2, v[0:1]
	v_add_co_u32_e32 v42, vcc, s12, v14
	v_addc_co_u32_e32 v43, vcc, v6, v15, vcc
	v_add_co_u32_e32 v20, vcc, s10, v16
	v_addc_co_u32_e32 v21, vcc, v5, v17, vcc
	global_load_dwordx4 v[14:17], v[42:43], off
	global_load_dword v1, v[20:21], off
	v_mov_b32_e32 v19, v3
	v_add_u32_e32 v0, 64, v0
	v_add_u32_e32 v2, 0x800, v2
	s_waitcnt vmcnt(0)
	v_subrev_u32_e32 v1, s18, v1
	v_lshlrev_b32_e32 v18, 3, v1
	v_lshlrev_b64 v[18:19], 2, v[18:19]
	v_add_co_u32_e32 v30, vcc, s14, v18
	v_addc_co_u32_e32 v31, vcc, v13, v19, vcc
	global_load_dwordx4 v[18:21], v[30:31], off
	global_load_dwordx4 v[22:25], v[30:31], off offset:16
	global_load_dwordx4 v[26:29], v[42:43], off offset:16
	v_cmp_ge_i32_e32 vcc, v0, v10
	s_or_b64 s[0:1], vcc, s[0:1]
	s_waitcnt vmcnt(2)
	v_fmac_f32_e32 v11, v14, v18
	v_fmac_f32_e32 v11, v15, v19
	v_fmac_f32_e32 v11, v16, v20
	v_fmac_f32_e32 v11, v17, v21
	global_load_dwordx4 v[14:17], v[42:43], off offset:32
	global_load_dwordx4 v[30:33], v[42:43], off offset:48
	s_waitcnt vmcnt(2)
	v_fmac_f32_e32 v11, v26, v22
	v_fmac_f32_e32 v11, v27, v23
	v_fmac_f32_e32 v11, v28, v24
	v_fmac_f32_e32 v11, v29, v25
	s_waitcnt vmcnt(1)
	v_fmac_f32_e32 v12, v14, v18
	v_fmac_f32_e32 v12, v15, v19
	v_fmac_f32_e32 v12, v16, v20
	v_fmac_f32_e32 v12, v17, v21
	global_load_dwordx4 v[14:17], v[42:43], off offset:64
	global_load_dwordx4 v[34:37], v[42:43], off offset:80
	s_waitcnt vmcnt(2)
	v_fmac_f32_e32 v12, v30, v22
	v_fmac_f32_e32 v12, v31, v23
	v_fmac_f32_e32 v12, v32, v24
	v_fmac_f32_e32 v12, v33, v25
	;; [unrolled: 12-line block ×3, first 2 shown]
	s_waitcnt vmcnt(1)
	v_fmac_f32_e32 v8, v14, v18
	v_fmac_f32_e32 v8, v15, v19
	;; [unrolled: 1-line block ×4, first 2 shown]
	s_waitcnt vmcnt(0)
	v_fmac_f32_e32 v8, v38, v22
	v_fmac_f32_e32 v8, v39, v23
	;; [unrolled: 1-line block ×4, first 2 shown]
	s_andn2_b64 exec, exec, s[0:1]
	s_cbranch_execnz .LBB34_15
; %bb.16:
	s_or_b64 exec, exec, s[0:1]
.LBB34_17:
	s_or_b64 exec, exec, s[6:7]
.LBB34_18:
	v_mov_b32_dpp v5, v9 row_shr:1 row_mask:0xf bank_mask:0xf
	v_mov_b32_dpp v0, v11 row_shr:1 row_mask:0xf bank_mask:0xf
	;; [unrolled: 1-line block ×3, first 2 shown]
	v_add_f32_e32 v5, v9, v5
	v_mov_b32_dpp v9, v8 row_shr:1 row_mask:0xf bank_mask:0xf
	v_add_f32_e32 v0, v11, v0
	v_add_f32_e32 v2, v12, v2
	v_add_f32_e32 v8, v8, v9
	v_mov_b32_dpp v1, v0 row_shr:2 row_mask:0xf bank_mask:0xf
	v_mov_b32_dpp v3, v2 row_shr:2 row_mask:0xf bank_mask:0xf
	v_mov_b32_dpp v6, v5 row_shr:2 row_mask:0xf bank_mask:0xf
	v_mov_b32_dpp v9, v8 row_shr:2 row_mask:0xf bank_mask:0xf
	v_add_f32_e32 v0, v0, v1
	v_add_f32_e32 v2, v2, v3
	v_add_f32_e32 v5, v5, v6
	v_add_f32_e32 v8, v8, v9
	v_mov_b32_dpp v1, v0 row_shr:4 row_mask:0xf bank_mask:0xe
	v_mov_b32_dpp v3, v2 row_shr:4 row_mask:0xf bank_mask:0xe
	v_mov_b32_dpp v6, v5 row_shr:4 row_mask:0xf bank_mask:0xe
	v_mov_b32_dpp v9, v8 row_shr:4 row_mask:0xf bank_mask:0xe
	v_add_f32_e32 v0, v0, v1
	;; [unrolled: 8-line block ×3, first 2 shown]
	v_add_f32_e32 v2, v2, v3
	v_add_f32_e32 v5, v5, v6
	;; [unrolled: 1-line block ×3, first 2 shown]
	v_mov_b32_dpp v1, v0 row_bcast:15 row_mask:0xa bank_mask:0xf
	v_mov_b32_dpp v3, v2 row_bcast:15 row_mask:0xa bank_mask:0xf
	;; [unrolled: 1-line block ×4, first 2 shown]
	v_add_f32_e32 v0, v0, v1
	v_add_f32_e32 v2, v2, v3
	;; [unrolled: 1-line block ×4, first 2 shown]
	v_mov_b32_dpp v1, v0 row_bcast:31 row_mask:0xc bank_mask:0xf
	v_mov_b32_dpp v3, v2 row_bcast:31 row_mask:0xc bank_mask:0xf
	;; [unrolled: 1-line block ×4, first 2 shown]
	v_cmp_eq_u32_e32 vcc, 63, v7
	s_and_b64 exec, exec, vcc
	s_cbranch_execz .LBB34_22
; %bb.19:
	s_load_dwordx2 s[0:1], s[4:5], 0x38
	v_add_f32_e32 v0, v0, v1
	v_add_f32_e32 v1, v2, v3
	;; [unrolled: 1-line block ×4, first 2 shown]
	v_cmp_eq_f32_e64 s[4:5], s2, 0
	s_and_b64 vcc, exec, s[4:5]
	v_mul_f32_e32 v0, s16, v0
	v_mul_f32_e32 v1, s16, v1
	;; [unrolled: 1-line block ×4, first 2 shown]
	v_lshlrev_b32_e32 v4, 2, v4
	s_cbranch_vccz .LBB34_23
; %bb.20:
	v_ashrrev_i32_e32 v5, 31, v4
	v_lshlrev_b64 v[5:6], 2, v[4:5]
	s_waitcnt lgkmcnt(0)
	v_mov_b32_e32 v7, s1
	v_add_co_u32_e32 v5, vcc, s0, v5
	v_addc_co_u32_e32 v6, vcc, v7, v6, vcc
	global_store_dwordx4 v[5:6], v[0:3], off
	s_cbranch_execnz .LBB34_22
.LBB34_21:
	v_ashrrev_i32_e32 v5, 31, v4
	v_lshlrev_b64 v[4:5], 2, v[4:5]
	s_waitcnt lgkmcnt(0)
	v_mov_b32_e32 v6, s1
	v_add_co_u32_e32 v8, vcc, s0, v4
	v_addc_co_u32_e32 v9, vcc, v6, v5, vcc
	global_load_dwordx4 v[4:7], v[8:9], off
	s_waitcnt vmcnt(0)
	v_fmac_f32_e32 v0, s2, v4
	v_fmac_f32_e32 v1, s2, v5
	;; [unrolled: 1-line block ×4, first 2 shown]
	global_store_dwordx4 v[8:9], v[0:3], off
.LBB34_22:
	s_endpgm
.LBB34_23:
	s_branch .LBB34_21
	.section	.rodata,"a",@progbits
	.p2align	6, 0x0
	.amdhsa_kernel _ZN9rocsparseL19gebsrmvn_4xn_kernelILj128ELj8ELj64EfEEvi20rocsparse_direction_NS_24const_host_device_scalarIT2_EEPKiS6_PKS3_S8_S4_PS3_21rocsparse_index_base_b
		.amdhsa_group_segment_fixed_size 0
		.amdhsa_private_segment_fixed_size 0
		.amdhsa_kernarg_size 72
		.amdhsa_user_sgpr_count 6
		.amdhsa_user_sgpr_private_segment_buffer 1
		.amdhsa_user_sgpr_dispatch_ptr 0
		.amdhsa_user_sgpr_queue_ptr 0
		.amdhsa_user_sgpr_kernarg_segment_ptr 1
		.amdhsa_user_sgpr_dispatch_id 0
		.amdhsa_user_sgpr_flat_scratch_init 0
		.amdhsa_user_sgpr_private_segment_size 0
		.amdhsa_uses_dynamic_stack 0
		.amdhsa_system_sgpr_private_segment_wavefront_offset 0
		.amdhsa_system_sgpr_workgroup_id_x 1
		.amdhsa_system_sgpr_workgroup_id_y 0
		.amdhsa_system_sgpr_workgroup_id_z 0
		.amdhsa_system_sgpr_workgroup_info 0
		.amdhsa_system_vgpr_workitem_id 0
		.amdhsa_next_free_vgpr 49
		.amdhsa_next_free_sgpr 20
		.amdhsa_reserve_vcc 1
		.amdhsa_reserve_flat_scratch 0
		.amdhsa_float_round_mode_32 0
		.amdhsa_float_round_mode_16_64 0
		.amdhsa_float_denorm_mode_32 3
		.amdhsa_float_denorm_mode_16_64 3
		.amdhsa_dx10_clamp 1
		.amdhsa_ieee_mode 1
		.amdhsa_fp16_overflow 0
		.amdhsa_exception_fp_ieee_invalid_op 0
		.amdhsa_exception_fp_denorm_src 0
		.amdhsa_exception_fp_ieee_div_zero 0
		.amdhsa_exception_fp_ieee_overflow 0
		.amdhsa_exception_fp_ieee_underflow 0
		.amdhsa_exception_fp_ieee_inexact 0
		.amdhsa_exception_int_div_zero 0
	.end_amdhsa_kernel
	.section	.text._ZN9rocsparseL19gebsrmvn_4xn_kernelILj128ELj8ELj64EfEEvi20rocsparse_direction_NS_24const_host_device_scalarIT2_EEPKiS6_PKS3_S8_S4_PS3_21rocsparse_index_base_b,"axG",@progbits,_ZN9rocsparseL19gebsrmvn_4xn_kernelILj128ELj8ELj64EfEEvi20rocsparse_direction_NS_24const_host_device_scalarIT2_EEPKiS6_PKS3_S8_S4_PS3_21rocsparse_index_base_b,comdat
.Lfunc_end34:
	.size	_ZN9rocsparseL19gebsrmvn_4xn_kernelILj128ELj8ELj64EfEEvi20rocsparse_direction_NS_24const_host_device_scalarIT2_EEPKiS6_PKS3_S8_S4_PS3_21rocsparse_index_base_b, .Lfunc_end34-_ZN9rocsparseL19gebsrmvn_4xn_kernelILj128ELj8ELj64EfEEvi20rocsparse_direction_NS_24const_host_device_scalarIT2_EEPKiS6_PKS3_S8_S4_PS3_21rocsparse_index_base_b
                                        ; -- End function
	.set _ZN9rocsparseL19gebsrmvn_4xn_kernelILj128ELj8ELj64EfEEvi20rocsparse_direction_NS_24const_host_device_scalarIT2_EEPKiS6_PKS3_S8_S4_PS3_21rocsparse_index_base_b.num_vgpr, 49
	.set _ZN9rocsparseL19gebsrmvn_4xn_kernelILj128ELj8ELj64EfEEvi20rocsparse_direction_NS_24const_host_device_scalarIT2_EEPKiS6_PKS3_S8_S4_PS3_21rocsparse_index_base_b.num_agpr, 0
	.set _ZN9rocsparseL19gebsrmvn_4xn_kernelILj128ELj8ELj64EfEEvi20rocsparse_direction_NS_24const_host_device_scalarIT2_EEPKiS6_PKS3_S8_S4_PS3_21rocsparse_index_base_b.numbered_sgpr, 20
	.set _ZN9rocsparseL19gebsrmvn_4xn_kernelILj128ELj8ELj64EfEEvi20rocsparse_direction_NS_24const_host_device_scalarIT2_EEPKiS6_PKS3_S8_S4_PS3_21rocsparse_index_base_b.num_named_barrier, 0
	.set _ZN9rocsparseL19gebsrmvn_4xn_kernelILj128ELj8ELj64EfEEvi20rocsparse_direction_NS_24const_host_device_scalarIT2_EEPKiS6_PKS3_S8_S4_PS3_21rocsparse_index_base_b.private_seg_size, 0
	.set _ZN9rocsparseL19gebsrmvn_4xn_kernelILj128ELj8ELj64EfEEvi20rocsparse_direction_NS_24const_host_device_scalarIT2_EEPKiS6_PKS3_S8_S4_PS3_21rocsparse_index_base_b.uses_vcc, 1
	.set _ZN9rocsparseL19gebsrmvn_4xn_kernelILj128ELj8ELj64EfEEvi20rocsparse_direction_NS_24const_host_device_scalarIT2_EEPKiS6_PKS3_S8_S4_PS3_21rocsparse_index_base_b.uses_flat_scratch, 0
	.set _ZN9rocsparseL19gebsrmvn_4xn_kernelILj128ELj8ELj64EfEEvi20rocsparse_direction_NS_24const_host_device_scalarIT2_EEPKiS6_PKS3_S8_S4_PS3_21rocsparse_index_base_b.has_dyn_sized_stack, 0
	.set _ZN9rocsparseL19gebsrmvn_4xn_kernelILj128ELj8ELj64EfEEvi20rocsparse_direction_NS_24const_host_device_scalarIT2_EEPKiS6_PKS3_S8_S4_PS3_21rocsparse_index_base_b.has_recursion, 0
	.set _ZN9rocsparseL19gebsrmvn_4xn_kernelILj128ELj8ELj64EfEEvi20rocsparse_direction_NS_24const_host_device_scalarIT2_EEPKiS6_PKS3_S8_S4_PS3_21rocsparse_index_base_b.has_indirect_call, 0
	.section	.AMDGPU.csdata,"",@progbits
; Kernel info:
; codeLenInByte = 1508
; TotalNumSgprs: 24
; NumVgprs: 49
; ScratchSize: 0
; MemoryBound: 0
; FloatMode: 240
; IeeeMode: 1
; LDSByteSize: 0 bytes/workgroup (compile time only)
; SGPRBlocks: 2
; VGPRBlocks: 12
; NumSGPRsForWavesPerEU: 24
; NumVGPRsForWavesPerEU: 49
; Occupancy: 4
; WaveLimiterHint : 1
; COMPUTE_PGM_RSRC2:SCRATCH_EN: 0
; COMPUTE_PGM_RSRC2:USER_SGPR: 6
; COMPUTE_PGM_RSRC2:TRAP_HANDLER: 0
; COMPUTE_PGM_RSRC2:TGID_X_EN: 1
; COMPUTE_PGM_RSRC2:TGID_Y_EN: 0
; COMPUTE_PGM_RSRC2:TGID_Z_EN: 0
; COMPUTE_PGM_RSRC2:TIDIG_COMP_CNT: 0
	.section	.text._ZN9rocsparseL23gebsrmvn_general_kernelILj64ELj16EfEEvi20rocsparse_direction_NS_24const_host_device_scalarIT1_EEPKiS6_PKS3_iiS8_S4_PS3_21rocsparse_index_base_b,"axG",@progbits,_ZN9rocsparseL23gebsrmvn_general_kernelILj64ELj16EfEEvi20rocsparse_direction_NS_24const_host_device_scalarIT1_EEPKiS6_PKS3_iiS8_S4_PS3_21rocsparse_index_base_b,comdat
	.globl	_ZN9rocsparseL23gebsrmvn_general_kernelILj64ELj16EfEEvi20rocsparse_direction_NS_24const_host_device_scalarIT1_EEPKiS6_PKS3_iiS8_S4_PS3_21rocsparse_index_base_b ; -- Begin function _ZN9rocsparseL23gebsrmvn_general_kernelILj64ELj16EfEEvi20rocsparse_direction_NS_24const_host_device_scalarIT1_EEPKiS6_PKS3_iiS8_S4_PS3_21rocsparse_index_base_b
	.p2align	8
	.type	_ZN9rocsparseL23gebsrmvn_general_kernelILj64ELj16EfEEvi20rocsparse_direction_NS_24const_host_device_scalarIT1_EEPKiS6_PKS3_iiS8_S4_PS3_21rocsparse_index_base_b,@function
_ZN9rocsparseL23gebsrmvn_general_kernelILj64ELj16EfEEvi20rocsparse_direction_NS_24const_host_device_scalarIT1_EEPKiS6_PKS3_iiS8_S4_PS3_21rocsparse_index_base_b: ; @_ZN9rocsparseL23gebsrmvn_general_kernelILj64ELj16EfEEvi20rocsparse_direction_NS_24const_host_device_scalarIT1_EEPKiS6_PKS3_iiS8_S4_PS3_21rocsparse_index_base_b
; %bb.0:
	s_load_dwordx2 s[12:13], s[4:5], 0x48
	s_load_dwordx2 s[14:15], s[4:5], 0x8
	;; [unrolled: 1-line block ×3, first 2 shown]
	s_waitcnt lgkmcnt(0)
	s_bitcmp1_b32 s13, 0
	s_cselect_b64 s[2:3], -1, 0
	s_xor_b64 s[0:1], s[2:3], -1
	s_and_b64 vcc, exec, s[2:3]
	s_cbranch_vccnz .LBB35_2
; %bb.1:
	s_load_dword s14, s[14:15], 0x0
.LBB35_2:
	s_andn2_b64 vcc, exec, s[0:1]
	s_cbranch_vccnz .LBB35_4
; %bb.3:
	s_load_dword s16, s[16:17], 0x0
.LBB35_4:
	s_waitcnt lgkmcnt(0)
	v_cmp_eq_f32_e64 s[0:1], s14, 0
	v_cmp_eq_f32_e64 s[2:3], s16, 1.0
	s_and_b64 s[0:1], s[0:1], s[2:3]
	s_and_b64 vcc, exec, s[0:1]
	s_cbranch_vccnz .LBB35_24
; %bb.5:
	s_load_dwordx2 s[18:19], s[4:5], 0x28
	v_lshrrev_b32_e32 v1, 4, v0
	s_waitcnt lgkmcnt(0)
	v_cmp_gt_i32_e32 vcc, s18, v1
	s_and_saveexec_b64 s[0:1], vcc
	s_cbranch_execz .LBB35_24
; %bb.6:
	s_load_dwordx4 s[8:11], s[4:5], 0x10
	s_load_dword s17, s[4:5], 0x4
	s_ashr_i32 s7, s6, 31
	s_lshl_b64 s[0:1], s[6:7], 2
	v_and_b32_e32 v0, 15, v0
	s_waitcnt lgkmcnt(0)
	s_add_u32 s0, s8, s0
	s_addc_u32 s1, s9, s1
	s_load_dwordx2 s[2:3], s[0:1], 0x0
	s_load_dwordx2 s[8:9], s[4:5], 0x20
	;; [unrolled: 1-line block ×4, first 2 shown]
	v_cmp_gt_i32_e64 s[0:1], s19, v0
	s_waitcnt lgkmcnt(0)
	s_sub_i32 s13, s2, s12
	s_sub_i32 s15, s3, s12
	s_cmp_lt_i32 s2, s3
	s_cselect_b64 s[4:5], -1, 0
	s_cmp_lg_u32 s17, 0
	s_mul_i32 s17, s18, s6
	s_mul_i32 s6, s18, s13
	v_add_u32_e32 v2, s6, v1
	v_mul_lo_u32 v4, s19, v2
	v_cndmask_b32_e64 v2, 0, 1, s[4:5]
	s_cselect_b64 s[24:25], -1, 0
	v_cmp_eq_u32_e64 s[2:3], 15, v0
	v_cmp_eq_f32_e64 s[26:27], s16, 0
	s_lshl_b32 s33, s19, 2
	s_mul_i32 s38, s19, s18
	s_mov_b64 s[6:7], 0
	v_cmp_ne_u32_e64 s[4:5], 1, v2
	s_branch .LBB35_8
.LBB35_7:                               ;   in Loop: Header=BB35_8 Depth=1
	s_or_b64 exec, exec, s[28:29]
	v_add_u32_e32 v1, 4, v1
	v_cmp_le_i32_e32 vcc, s18, v1
	s_or_b64 s[6:7], vcc, s[6:7]
	v_add_u32_e32 v4, s33, v4
	s_andn2_b64 exec, exec, s[6:7]
	s_cbranch_execz .LBB35_24
.LBB35_8:                               ; =>This Loop Header: Depth=1
                                        ;     Child Loop BB35_12 Depth 2
                                        ;       Child Loop BB35_15 Depth 3
	s_and_b64 vcc, exec, s[4:5]
	v_mov_b32_e32 v5, 0
	s_cbranch_vccnz .LBB35_19
; %bb.9:                                ;   in Loop: Header=BB35_8 Depth=1
	v_mov_b32_e32 v5, 0
	v_mov_b32_e32 v6, v4
	s_mov_b32 s28, s13
	s_branch .LBB35_12
.LBB35_10:                              ;   in Loop: Header=BB35_12 Depth=2
	s_or_b64 exec, exec, s[34:35]
.LBB35_11:                              ;   in Loop: Header=BB35_12 Depth=2
	s_or_b64 exec, exec, s[30:31]
	s_add_i32 s28, s28, 1
	s_cmp_ge_i32 s28, s15
	v_add_u32_e32 v6, s38, v6
	s_cbranch_scc1 .LBB35_19
.LBB35_12:                              ;   Parent Loop BB35_8 Depth=1
                                        ; =>  This Loop Header: Depth=2
                                        ;       Child Loop BB35_15 Depth 3
	s_and_saveexec_b64 s[30:31], s[0:1]
	s_cbranch_execz .LBB35_11
; %bb.13:                               ;   in Loop: Header=BB35_12 Depth=2
	s_ashr_i32 s29, s28, 31
	s_lshl_b64 s[34:35], s[28:29], 2
	s_add_u32 s34, s10, s34
	s_addc_u32 s35, s11, s35
	s_load_dword s36, s[34:35], 0x0
	s_mul_i32 s29, s28, s19
	s_mov_b64 s[34:35], 0
	v_mov_b32_e32 v7, v0
	s_waitcnt lgkmcnt(0)
	s_sub_i32 s39, s36, s12
	s_mul_i32 s39, s39, s19
	s_branch .LBB35_15
.LBB35_14:                              ;   in Loop: Header=BB35_15 Depth=3
	v_ashrrev_i32_e32 v3, 31, v2
	v_lshlrev_b64 v[2:3], 2, v[2:3]
	v_mov_b32_e32 v8, s9
	v_add_co_u32_e32 v2, vcc, s8, v2
	v_addc_co_u32_e32 v3, vcc, v8, v3, vcc
	global_load_dword v8, v[2:3], off
	v_add_u32_e32 v2, s39, v7
	v_ashrrev_i32_e32 v3, 31, v2
	v_lshlrev_b64 v[2:3], 2, v[2:3]
	v_mov_b32_e32 v9, s21
	v_add_co_u32_e32 v2, vcc, s20, v2
	v_addc_co_u32_e32 v3, vcc, v9, v3, vcc
	global_load_dword v2, v[2:3], off
	v_add_u32_e32 v7, 16, v7
	v_cmp_le_i32_e32 vcc, s19, v7
	s_or_b64 s[34:35], vcc, s[34:35]
	s_waitcnt vmcnt(0)
	v_fmac_f32_e32 v5, v8, v2
	s_andn2_b64 exec, exec, s[34:35]
	s_cbranch_execz .LBB35_10
.LBB35_15:                              ;   Parent Loop BB35_8 Depth=1
                                        ;     Parent Loop BB35_12 Depth=2
                                        ; =>    This Inner Loop Header: Depth=3
	s_and_b64 vcc, exec, s[24:25]
	s_cbranch_vccz .LBB35_17
; %bb.16:                               ;   in Loop: Header=BB35_15 Depth=3
	v_add_u32_e32 v2, s29, v7
	v_mad_u64_u32 v[2:3], s[36:37], v2, s18, v[1:2]
	s_cbranch_execnz .LBB35_14
	s_branch .LBB35_18
.LBB35_17:                              ;   in Loop: Header=BB35_15 Depth=3
                                        ; implicit-def: $vgpr2
.LBB35_18:                              ;   in Loop: Header=BB35_15 Depth=3
	v_add_u32_e32 v2, v6, v7
	s_branch .LBB35_14
.LBB35_19:                              ;   in Loop: Header=BB35_8 Depth=1
	s_nop 0
	v_mov_b32_dpp v2, v5 row_shr:1 row_mask:0xf bank_mask:0xf
	v_add_f32_e32 v2, v5, v2
	s_nop 1
	v_mov_b32_dpp v3, v2 row_shr:2 row_mask:0xf bank_mask:0xf
	v_add_f32_e32 v2, v2, v3
	;; [unrolled: 3-line block ×3, first 2 shown]
	s_nop 1
	v_mov_b32_dpp v3, v2 row_shr:8 row_mask:0xf bank_mask:0xc
	s_and_saveexec_b64 s[28:29], s[2:3]
	s_cbranch_execz .LBB35_7
; %bb.20:                               ;   in Loop: Header=BB35_8 Depth=1
	v_add_f32_e32 v2, v2, v3
	v_mul_f32_e32 v5, s14, v2
	v_add_u32_e32 v2, s17, v1
	s_and_b64 vcc, exec, s[26:27]
	v_ashrrev_i32_e32 v3, 31, v2
	s_cbranch_vccz .LBB35_22
; %bb.21:                               ;   in Loop: Header=BB35_8 Depth=1
	v_lshlrev_b64 v[6:7], 2, v[2:3]
	v_mov_b32_e32 v8, s23
	v_add_co_u32_e32 v6, vcc, s22, v6
	v_addc_co_u32_e32 v7, vcc, v8, v7, vcc
	global_store_dword v[6:7], v5, off
	s_cbranch_execnz .LBB35_7
	s_branch .LBB35_23
.LBB35_22:                              ;   in Loop: Header=BB35_8 Depth=1
.LBB35_23:                              ;   in Loop: Header=BB35_8 Depth=1
	v_lshlrev_b64 v[2:3], 2, v[2:3]
	v_mov_b32_e32 v6, s23
	v_add_co_u32_e32 v2, vcc, s22, v2
	v_addc_co_u32_e32 v3, vcc, v6, v3, vcc
	global_load_dword v6, v[2:3], off
	s_waitcnt vmcnt(0)
	v_fmac_f32_e32 v5, s16, v6
	global_store_dword v[2:3], v5, off
	s_branch .LBB35_7
.LBB35_24:
	s_endpgm
	.section	.rodata,"a",@progbits
	.p2align	6, 0x0
	.amdhsa_kernel _ZN9rocsparseL23gebsrmvn_general_kernelILj64ELj16EfEEvi20rocsparse_direction_NS_24const_host_device_scalarIT1_EEPKiS6_PKS3_iiS8_S4_PS3_21rocsparse_index_base_b
		.amdhsa_group_segment_fixed_size 0
		.amdhsa_private_segment_fixed_size 0
		.amdhsa_kernarg_size 80
		.amdhsa_user_sgpr_count 6
		.amdhsa_user_sgpr_private_segment_buffer 1
		.amdhsa_user_sgpr_dispatch_ptr 0
		.amdhsa_user_sgpr_queue_ptr 0
		.amdhsa_user_sgpr_kernarg_segment_ptr 1
		.amdhsa_user_sgpr_dispatch_id 0
		.amdhsa_user_sgpr_flat_scratch_init 0
		.amdhsa_user_sgpr_private_segment_size 0
		.amdhsa_uses_dynamic_stack 0
		.amdhsa_system_sgpr_private_segment_wavefront_offset 0
		.amdhsa_system_sgpr_workgroup_id_x 1
		.amdhsa_system_sgpr_workgroup_id_y 0
		.amdhsa_system_sgpr_workgroup_id_z 0
		.amdhsa_system_sgpr_workgroup_info 0
		.amdhsa_system_vgpr_workitem_id 0
		.amdhsa_next_free_vgpr 10
		.amdhsa_next_free_sgpr 40
		.amdhsa_reserve_vcc 1
		.amdhsa_reserve_flat_scratch 0
		.amdhsa_float_round_mode_32 0
		.amdhsa_float_round_mode_16_64 0
		.amdhsa_float_denorm_mode_32 3
		.amdhsa_float_denorm_mode_16_64 3
		.amdhsa_dx10_clamp 1
		.amdhsa_ieee_mode 1
		.amdhsa_fp16_overflow 0
		.amdhsa_exception_fp_ieee_invalid_op 0
		.amdhsa_exception_fp_denorm_src 0
		.amdhsa_exception_fp_ieee_div_zero 0
		.amdhsa_exception_fp_ieee_overflow 0
		.amdhsa_exception_fp_ieee_underflow 0
		.amdhsa_exception_fp_ieee_inexact 0
		.amdhsa_exception_int_div_zero 0
	.end_amdhsa_kernel
	.section	.text._ZN9rocsparseL23gebsrmvn_general_kernelILj64ELj16EfEEvi20rocsparse_direction_NS_24const_host_device_scalarIT1_EEPKiS6_PKS3_iiS8_S4_PS3_21rocsparse_index_base_b,"axG",@progbits,_ZN9rocsparseL23gebsrmvn_general_kernelILj64ELj16EfEEvi20rocsparse_direction_NS_24const_host_device_scalarIT1_EEPKiS6_PKS3_iiS8_S4_PS3_21rocsparse_index_base_b,comdat
.Lfunc_end35:
	.size	_ZN9rocsparseL23gebsrmvn_general_kernelILj64ELj16EfEEvi20rocsparse_direction_NS_24const_host_device_scalarIT1_EEPKiS6_PKS3_iiS8_S4_PS3_21rocsparse_index_base_b, .Lfunc_end35-_ZN9rocsparseL23gebsrmvn_general_kernelILj64ELj16EfEEvi20rocsparse_direction_NS_24const_host_device_scalarIT1_EEPKiS6_PKS3_iiS8_S4_PS3_21rocsparse_index_base_b
                                        ; -- End function
	.set _ZN9rocsparseL23gebsrmvn_general_kernelILj64ELj16EfEEvi20rocsparse_direction_NS_24const_host_device_scalarIT1_EEPKiS6_PKS3_iiS8_S4_PS3_21rocsparse_index_base_b.num_vgpr, 10
	.set _ZN9rocsparseL23gebsrmvn_general_kernelILj64ELj16EfEEvi20rocsparse_direction_NS_24const_host_device_scalarIT1_EEPKiS6_PKS3_iiS8_S4_PS3_21rocsparse_index_base_b.num_agpr, 0
	.set _ZN9rocsparseL23gebsrmvn_general_kernelILj64ELj16EfEEvi20rocsparse_direction_NS_24const_host_device_scalarIT1_EEPKiS6_PKS3_iiS8_S4_PS3_21rocsparse_index_base_b.numbered_sgpr, 40
	.set _ZN9rocsparseL23gebsrmvn_general_kernelILj64ELj16EfEEvi20rocsparse_direction_NS_24const_host_device_scalarIT1_EEPKiS6_PKS3_iiS8_S4_PS3_21rocsparse_index_base_b.num_named_barrier, 0
	.set _ZN9rocsparseL23gebsrmvn_general_kernelILj64ELj16EfEEvi20rocsparse_direction_NS_24const_host_device_scalarIT1_EEPKiS6_PKS3_iiS8_S4_PS3_21rocsparse_index_base_b.private_seg_size, 0
	.set _ZN9rocsparseL23gebsrmvn_general_kernelILj64ELj16EfEEvi20rocsparse_direction_NS_24const_host_device_scalarIT1_EEPKiS6_PKS3_iiS8_S4_PS3_21rocsparse_index_base_b.uses_vcc, 1
	.set _ZN9rocsparseL23gebsrmvn_general_kernelILj64ELj16EfEEvi20rocsparse_direction_NS_24const_host_device_scalarIT1_EEPKiS6_PKS3_iiS8_S4_PS3_21rocsparse_index_base_b.uses_flat_scratch, 0
	.set _ZN9rocsparseL23gebsrmvn_general_kernelILj64ELj16EfEEvi20rocsparse_direction_NS_24const_host_device_scalarIT1_EEPKiS6_PKS3_iiS8_S4_PS3_21rocsparse_index_base_b.has_dyn_sized_stack, 0
	.set _ZN9rocsparseL23gebsrmvn_general_kernelILj64ELj16EfEEvi20rocsparse_direction_NS_24const_host_device_scalarIT1_EEPKiS6_PKS3_iiS8_S4_PS3_21rocsparse_index_base_b.has_recursion, 0
	.set _ZN9rocsparseL23gebsrmvn_general_kernelILj64ELj16EfEEvi20rocsparse_direction_NS_24const_host_device_scalarIT1_EEPKiS6_PKS3_iiS8_S4_PS3_21rocsparse_index_base_b.has_indirect_call, 0
	.section	.AMDGPU.csdata,"",@progbits
; Kernel info:
; codeLenInByte = 760
; TotalNumSgprs: 44
; NumVgprs: 10
; ScratchSize: 0
; MemoryBound: 0
; FloatMode: 240
; IeeeMode: 1
; LDSByteSize: 0 bytes/workgroup (compile time only)
; SGPRBlocks: 5
; VGPRBlocks: 2
; NumSGPRsForWavesPerEU: 44
; NumVGPRsForWavesPerEU: 10
; Occupancy: 10
; WaveLimiterHint : 1
; COMPUTE_PGM_RSRC2:SCRATCH_EN: 0
; COMPUTE_PGM_RSRC2:USER_SGPR: 6
; COMPUTE_PGM_RSRC2:TRAP_HANDLER: 0
; COMPUTE_PGM_RSRC2:TGID_X_EN: 1
; COMPUTE_PGM_RSRC2:TGID_Y_EN: 0
; COMPUTE_PGM_RSRC2:TGID_Z_EN: 0
; COMPUTE_PGM_RSRC2:TIDIG_COMP_CNT: 0
	.section	.text._ZN9rocsparseL23gebsrmvn_general_kernelILj128ELj32EfEEvi20rocsparse_direction_NS_24const_host_device_scalarIT1_EEPKiS6_PKS3_iiS8_S4_PS3_21rocsparse_index_base_b,"axG",@progbits,_ZN9rocsparseL23gebsrmvn_general_kernelILj128ELj32EfEEvi20rocsparse_direction_NS_24const_host_device_scalarIT1_EEPKiS6_PKS3_iiS8_S4_PS3_21rocsparse_index_base_b,comdat
	.globl	_ZN9rocsparseL23gebsrmvn_general_kernelILj128ELj32EfEEvi20rocsparse_direction_NS_24const_host_device_scalarIT1_EEPKiS6_PKS3_iiS8_S4_PS3_21rocsparse_index_base_b ; -- Begin function _ZN9rocsparseL23gebsrmvn_general_kernelILj128ELj32EfEEvi20rocsparse_direction_NS_24const_host_device_scalarIT1_EEPKiS6_PKS3_iiS8_S4_PS3_21rocsparse_index_base_b
	.p2align	8
	.type	_ZN9rocsparseL23gebsrmvn_general_kernelILj128ELj32EfEEvi20rocsparse_direction_NS_24const_host_device_scalarIT1_EEPKiS6_PKS3_iiS8_S4_PS3_21rocsparse_index_base_b,@function
_ZN9rocsparseL23gebsrmvn_general_kernelILj128ELj32EfEEvi20rocsparse_direction_NS_24const_host_device_scalarIT1_EEPKiS6_PKS3_iiS8_S4_PS3_21rocsparse_index_base_b: ; @_ZN9rocsparseL23gebsrmvn_general_kernelILj128ELj32EfEEvi20rocsparse_direction_NS_24const_host_device_scalarIT1_EEPKiS6_PKS3_iiS8_S4_PS3_21rocsparse_index_base_b
; %bb.0:
	s_load_dwordx2 s[12:13], s[4:5], 0x48
	s_load_dwordx2 s[14:15], s[4:5], 0x8
	;; [unrolled: 1-line block ×3, first 2 shown]
	s_waitcnt lgkmcnt(0)
	s_bitcmp1_b32 s13, 0
	s_cselect_b64 s[2:3], -1, 0
	s_xor_b64 s[0:1], s[2:3], -1
	s_and_b64 vcc, exec, s[2:3]
	s_cbranch_vccnz .LBB36_2
; %bb.1:
	s_load_dword s14, s[14:15], 0x0
.LBB36_2:
	s_andn2_b64 vcc, exec, s[0:1]
	s_cbranch_vccnz .LBB36_4
; %bb.3:
	s_load_dword s16, s[16:17], 0x0
.LBB36_4:
	s_waitcnt lgkmcnt(0)
	v_cmp_eq_f32_e64 s[0:1], s14, 0
	v_cmp_eq_f32_e64 s[2:3], s16, 1.0
	s_and_b64 s[0:1], s[0:1], s[2:3]
	s_and_b64 vcc, exec, s[0:1]
	s_cbranch_vccnz .LBB36_24
; %bb.5:
	s_load_dwordx2 s[18:19], s[4:5], 0x28
	v_lshrrev_b32_e32 v1, 5, v0
	s_waitcnt lgkmcnt(0)
	v_cmp_gt_i32_e32 vcc, s18, v1
	s_and_saveexec_b64 s[0:1], vcc
	s_cbranch_execz .LBB36_24
; %bb.6:
	s_load_dwordx4 s[8:11], s[4:5], 0x10
	s_load_dword s17, s[4:5], 0x4
	s_ashr_i32 s7, s6, 31
	s_lshl_b64 s[0:1], s[6:7], 2
	v_and_b32_e32 v0, 31, v0
	s_waitcnt lgkmcnt(0)
	s_add_u32 s0, s8, s0
	s_addc_u32 s1, s9, s1
	s_load_dwordx2 s[2:3], s[0:1], 0x0
	s_load_dwordx2 s[8:9], s[4:5], 0x20
	;; [unrolled: 1-line block ×4, first 2 shown]
	v_cmp_gt_i32_e64 s[0:1], s19, v0
	s_waitcnt lgkmcnt(0)
	s_sub_i32 s13, s2, s12
	s_sub_i32 s15, s3, s12
	s_cmp_lt_i32 s2, s3
	s_cselect_b64 s[4:5], -1, 0
	s_cmp_lg_u32 s17, 0
	s_mul_i32 s17, s18, s6
	s_mul_i32 s6, s18, s13
	v_add_u32_e32 v2, s6, v1
	v_mul_lo_u32 v4, s19, v2
	v_cndmask_b32_e64 v2, 0, 1, s[4:5]
	s_cselect_b64 s[24:25], -1, 0
	v_cmp_eq_u32_e64 s[2:3], 31, v0
	v_cmp_eq_f32_e64 s[26:27], s16, 0
	s_lshl_b32 s33, s19, 2
	s_mul_i32 s38, s19, s18
	s_mov_b64 s[6:7], 0
	v_cmp_ne_u32_e64 s[4:5], 1, v2
	s_branch .LBB36_8
.LBB36_7:                               ;   in Loop: Header=BB36_8 Depth=1
	s_or_b64 exec, exec, s[28:29]
	v_add_u32_e32 v1, 4, v1
	v_cmp_le_i32_e32 vcc, s18, v1
	s_or_b64 s[6:7], vcc, s[6:7]
	v_add_u32_e32 v4, s33, v4
	s_andn2_b64 exec, exec, s[6:7]
	s_cbranch_execz .LBB36_24
.LBB36_8:                               ; =>This Loop Header: Depth=1
                                        ;     Child Loop BB36_12 Depth 2
                                        ;       Child Loop BB36_15 Depth 3
	s_and_b64 vcc, exec, s[4:5]
	v_mov_b32_e32 v5, 0
	s_cbranch_vccnz .LBB36_19
; %bb.9:                                ;   in Loop: Header=BB36_8 Depth=1
	v_mov_b32_e32 v5, 0
	v_mov_b32_e32 v6, v4
	s_mov_b32 s28, s13
	s_branch .LBB36_12
.LBB36_10:                              ;   in Loop: Header=BB36_12 Depth=2
	s_or_b64 exec, exec, s[34:35]
.LBB36_11:                              ;   in Loop: Header=BB36_12 Depth=2
	s_or_b64 exec, exec, s[30:31]
	s_add_i32 s28, s28, 1
	s_cmp_ge_i32 s28, s15
	v_add_u32_e32 v6, s38, v6
	s_cbranch_scc1 .LBB36_19
.LBB36_12:                              ;   Parent Loop BB36_8 Depth=1
                                        ; =>  This Loop Header: Depth=2
                                        ;       Child Loop BB36_15 Depth 3
	s_and_saveexec_b64 s[30:31], s[0:1]
	s_cbranch_execz .LBB36_11
; %bb.13:                               ;   in Loop: Header=BB36_12 Depth=2
	s_ashr_i32 s29, s28, 31
	s_lshl_b64 s[34:35], s[28:29], 2
	s_add_u32 s34, s10, s34
	s_addc_u32 s35, s11, s35
	s_load_dword s36, s[34:35], 0x0
	s_mul_i32 s29, s28, s19
	s_mov_b64 s[34:35], 0
	v_mov_b32_e32 v7, v0
	s_waitcnt lgkmcnt(0)
	s_sub_i32 s39, s36, s12
	s_mul_i32 s39, s39, s19
	s_branch .LBB36_15
.LBB36_14:                              ;   in Loop: Header=BB36_15 Depth=3
	v_ashrrev_i32_e32 v3, 31, v2
	v_lshlrev_b64 v[2:3], 2, v[2:3]
	v_mov_b32_e32 v8, s9
	v_add_co_u32_e32 v2, vcc, s8, v2
	v_addc_co_u32_e32 v3, vcc, v8, v3, vcc
	global_load_dword v8, v[2:3], off
	v_add_u32_e32 v2, s39, v7
	v_ashrrev_i32_e32 v3, 31, v2
	v_lshlrev_b64 v[2:3], 2, v[2:3]
	v_mov_b32_e32 v9, s21
	v_add_co_u32_e32 v2, vcc, s20, v2
	v_addc_co_u32_e32 v3, vcc, v9, v3, vcc
	global_load_dword v2, v[2:3], off
	v_add_u32_e32 v7, 32, v7
	v_cmp_le_i32_e32 vcc, s19, v7
	s_or_b64 s[34:35], vcc, s[34:35]
	s_waitcnt vmcnt(0)
	v_fmac_f32_e32 v5, v8, v2
	s_andn2_b64 exec, exec, s[34:35]
	s_cbranch_execz .LBB36_10
.LBB36_15:                              ;   Parent Loop BB36_8 Depth=1
                                        ;     Parent Loop BB36_12 Depth=2
                                        ; =>    This Inner Loop Header: Depth=3
	s_and_b64 vcc, exec, s[24:25]
	s_cbranch_vccz .LBB36_17
; %bb.16:                               ;   in Loop: Header=BB36_15 Depth=3
	v_add_u32_e32 v2, s29, v7
	v_mad_u64_u32 v[2:3], s[36:37], v2, s18, v[1:2]
	s_cbranch_execnz .LBB36_14
	s_branch .LBB36_18
.LBB36_17:                              ;   in Loop: Header=BB36_15 Depth=3
                                        ; implicit-def: $vgpr2
.LBB36_18:                              ;   in Loop: Header=BB36_15 Depth=3
	v_add_u32_e32 v2, v6, v7
	s_branch .LBB36_14
.LBB36_19:                              ;   in Loop: Header=BB36_8 Depth=1
	s_nop 0
	v_mov_b32_dpp v2, v5 row_shr:1 row_mask:0xf bank_mask:0xf
	v_add_f32_e32 v2, v5, v2
	s_nop 1
	v_mov_b32_dpp v3, v2 row_shr:2 row_mask:0xf bank_mask:0xf
	v_add_f32_e32 v2, v2, v3
	;; [unrolled: 3-line block ×4, first 2 shown]
	s_nop 1
	v_mov_b32_dpp v3, v2 row_bcast:15 row_mask:0xa bank_mask:0xf
	s_and_saveexec_b64 s[28:29], s[2:3]
	s_cbranch_execz .LBB36_7
; %bb.20:                               ;   in Loop: Header=BB36_8 Depth=1
	v_add_f32_e32 v2, v2, v3
	v_mul_f32_e32 v5, s14, v2
	v_add_u32_e32 v2, s17, v1
	s_and_b64 vcc, exec, s[26:27]
	v_ashrrev_i32_e32 v3, 31, v2
	s_cbranch_vccz .LBB36_22
; %bb.21:                               ;   in Loop: Header=BB36_8 Depth=1
	v_lshlrev_b64 v[6:7], 2, v[2:3]
	v_mov_b32_e32 v8, s23
	v_add_co_u32_e32 v6, vcc, s22, v6
	v_addc_co_u32_e32 v7, vcc, v8, v7, vcc
	global_store_dword v[6:7], v5, off
	s_cbranch_execnz .LBB36_7
	s_branch .LBB36_23
.LBB36_22:                              ;   in Loop: Header=BB36_8 Depth=1
.LBB36_23:                              ;   in Loop: Header=BB36_8 Depth=1
	v_lshlrev_b64 v[2:3], 2, v[2:3]
	v_mov_b32_e32 v6, s23
	v_add_co_u32_e32 v2, vcc, s22, v2
	v_addc_co_u32_e32 v3, vcc, v6, v3, vcc
	global_load_dword v6, v[2:3], off
	s_waitcnt vmcnt(0)
	v_fmac_f32_e32 v5, s16, v6
	global_store_dword v[2:3], v5, off
	s_branch .LBB36_7
.LBB36_24:
	s_endpgm
	.section	.rodata,"a",@progbits
	.p2align	6, 0x0
	.amdhsa_kernel _ZN9rocsparseL23gebsrmvn_general_kernelILj128ELj32EfEEvi20rocsparse_direction_NS_24const_host_device_scalarIT1_EEPKiS6_PKS3_iiS8_S4_PS3_21rocsparse_index_base_b
		.amdhsa_group_segment_fixed_size 0
		.amdhsa_private_segment_fixed_size 0
		.amdhsa_kernarg_size 80
		.amdhsa_user_sgpr_count 6
		.amdhsa_user_sgpr_private_segment_buffer 1
		.amdhsa_user_sgpr_dispatch_ptr 0
		.amdhsa_user_sgpr_queue_ptr 0
		.amdhsa_user_sgpr_kernarg_segment_ptr 1
		.amdhsa_user_sgpr_dispatch_id 0
		.amdhsa_user_sgpr_flat_scratch_init 0
		.amdhsa_user_sgpr_private_segment_size 0
		.amdhsa_uses_dynamic_stack 0
		.amdhsa_system_sgpr_private_segment_wavefront_offset 0
		.amdhsa_system_sgpr_workgroup_id_x 1
		.amdhsa_system_sgpr_workgroup_id_y 0
		.amdhsa_system_sgpr_workgroup_id_z 0
		.amdhsa_system_sgpr_workgroup_info 0
		.amdhsa_system_vgpr_workitem_id 0
		.amdhsa_next_free_vgpr 10
		.amdhsa_next_free_sgpr 40
		.amdhsa_reserve_vcc 1
		.amdhsa_reserve_flat_scratch 0
		.amdhsa_float_round_mode_32 0
		.amdhsa_float_round_mode_16_64 0
		.amdhsa_float_denorm_mode_32 3
		.amdhsa_float_denorm_mode_16_64 3
		.amdhsa_dx10_clamp 1
		.amdhsa_ieee_mode 1
		.amdhsa_fp16_overflow 0
		.amdhsa_exception_fp_ieee_invalid_op 0
		.amdhsa_exception_fp_denorm_src 0
		.amdhsa_exception_fp_ieee_div_zero 0
		.amdhsa_exception_fp_ieee_overflow 0
		.amdhsa_exception_fp_ieee_underflow 0
		.amdhsa_exception_fp_ieee_inexact 0
		.amdhsa_exception_int_div_zero 0
	.end_amdhsa_kernel
	.section	.text._ZN9rocsparseL23gebsrmvn_general_kernelILj128ELj32EfEEvi20rocsparse_direction_NS_24const_host_device_scalarIT1_EEPKiS6_PKS3_iiS8_S4_PS3_21rocsparse_index_base_b,"axG",@progbits,_ZN9rocsparseL23gebsrmvn_general_kernelILj128ELj32EfEEvi20rocsparse_direction_NS_24const_host_device_scalarIT1_EEPKiS6_PKS3_iiS8_S4_PS3_21rocsparse_index_base_b,comdat
.Lfunc_end36:
	.size	_ZN9rocsparseL23gebsrmvn_general_kernelILj128ELj32EfEEvi20rocsparse_direction_NS_24const_host_device_scalarIT1_EEPKiS6_PKS3_iiS8_S4_PS3_21rocsparse_index_base_b, .Lfunc_end36-_ZN9rocsparseL23gebsrmvn_general_kernelILj128ELj32EfEEvi20rocsparse_direction_NS_24const_host_device_scalarIT1_EEPKiS6_PKS3_iiS8_S4_PS3_21rocsparse_index_base_b
                                        ; -- End function
	.set _ZN9rocsparseL23gebsrmvn_general_kernelILj128ELj32EfEEvi20rocsparse_direction_NS_24const_host_device_scalarIT1_EEPKiS6_PKS3_iiS8_S4_PS3_21rocsparse_index_base_b.num_vgpr, 10
	.set _ZN9rocsparseL23gebsrmvn_general_kernelILj128ELj32EfEEvi20rocsparse_direction_NS_24const_host_device_scalarIT1_EEPKiS6_PKS3_iiS8_S4_PS3_21rocsparse_index_base_b.num_agpr, 0
	.set _ZN9rocsparseL23gebsrmvn_general_kernelILj128ELj32EfEEvi20rocsparse_direction_NS_24const_host_device_scalarIT1_EEPKiS6_PKS3_iiS8_S4_PS3_21rocsparse_index_base_b.numbered_sgpr, 40
	.set _ZN9rocsparseL23gebsrmvn_general_kernelILj128ELj32EfEEvi20rocsparse_direction_NS_24const_host_device_scalarIT1_EEPKiS6_PKS3_iiS8_S4_PS3_21rocsparse_index_base_b.num_named_barrier, 0
	.set _ZN9rocsparseL23gebsrmvn_general_kernelILj128ELj32EfEEvi20rocsparse_direction_NS_24const_host_device_scalarIT1_EEPKiS6_PKS3_iiS8_S4_PS3_21rocsparse_index_base_b.private_seg_size, 0
	.set _ZN9rocsparseL23gebsrmvn_general_kernelILj128ELj32EfEEvi20rocsparse_direction_NS_24const_host_device_scalarIT1_EEPKiS6_PKS3_iiS8_S4_PS3_21rocsparse_index_base_b.uses_vcc, 1
	.set _ZN9rocsparseL23gebsrmvn_general_kernelILj128ELj32EfEEvi20rocsparse_direction_NS_24const_host_device_scalarIT1_EEPKiS6_PKS3_iiS8_S4_PS3_21rocsparse_index_base_b.uses_flat_scratch, 0
	.set _ZN9rocsparseL23gebsrmvn_general_kernelILj128ELj32EfEEvi20rocsparse_direction_NS_24const_host_device_scalarIT1_EEPKiS6_PKS3_iiS8_S4_PS3_21rocsparse_index_base_b.has_dyn_sized_stack, 0
	.set _ZN9rocsparseL23gebsrmvn_general_kernelILj128ELj32EfEEvi20rocsparse_direction_NS_24const_host_device_scalarIT1_EEPKiS6_PKS3_iiS8_S4_PS3_21rocsparse_index_base_b.has_recursion, 0
	.set _ZN9rocsparseL23gebsrmvn_general_kernelILj128ELj32EfEEvi20rocsparse_direction_NS_24const_host_device_scalarIT1_EEPKiS6_PKS3_iiS8_S4_PS3_21rocsparse_index_base_b.has_indirect_call, 0
	.section	.AMDGPU.csdata,"",@progbits
; Kernel info:
; codeLenInByte = 776
; TotalNumSgprs: 44
; NumVgprs: 10
; ScratchSize: 0
; MemoryBound: 0
; FloatMode: 240
; IeeeMode: 1
; LDSByteSize: 0 bytes/workgroup (compile time only)
; SGPRBlocks: 5
; VGPRBlocks: 2
; NumSGPRsForWavesPerEU: 44
; NumVGPRsForWavesPerEU: 10
; Occupancy: 10
; WaveLimiterHint : 1
; COMPUTE_PGM_RSRC2:SCRATCH_EN: 0
; COMPUTE_PGM_RSRC2:USER_SGPR: 6
; COMPUTE_PGM_RSRC2:TRAP_HANDLER: 0
; COMPUTE_PGM_RSRC2:TGID_X_EN: 1
; COMPUTE_PGM_RSRC2:TGID_Y_EN: 0
; COMPUTE_PGM_RSRC2:TGID_Z_EN: 0
; COMPUTE_PGM_RSRC2:TIDIG_COMP_CNT: 0
	.section	.text._ZN9rocsparseL19gebsrmvn_4xn_kernelILj128ELj1ELj4EdEEvi20rocsparse_direction_NS_24const_host_device_scalarIT2_EEPKiS6_PKS3_S8_S4_PS3_21rocsparse_index_base_b,"axG",@progbits,_ZN9rocsparseL19gebsrmvn_4xn_kernelILj128ELj1ELj4EdEEvi20rocsparse_direction_NS_24const_host_device_scalarIT2_EEPKiS6_PKS3_S8_S4_PS3_21rocsparse_index_base_b,comdat
	.globl	_ZN9rocsparseL19gebsrmvn_4xn_kernelILj128ELj1ELj4EdEEvi20rocsparse_direction_NS_24const_host_device_scalarIT2_EEPKiS6_PKS3_S8_S4_PS3_21rocsparse_index_base_b ; -- Begin function _ZN9rocsparseL19gebsrmvn_4xn_kernelILj128ELj1ELj4EdEEvi20rocsparse_direction_NS_24const_host_device_scalarIT2_EEPKiS6_PKS3_S8_S4_PS3_21rocsparse_index_base_b
	.p2align	8
	.type	_ZN9rocsparseL19gebsrmvn_4xn_kernelILj128ELj1ELj4EdEEvi20rocsparse_direction_NS_24const_host_device_scalarIT2_EEPKiS6_PKS3_S8_S4_PS3_21rocsparse_index_base_b,@function
_ZN9rocsparseL19gebsrmvn_4xn_kernelILj128ELj1ELj4EdEEvi20rocsparse_direction_NS_24const_host_device_scalarIT2_EEPKiS6_PKS3_S8_S4_PS3_21rocsparse_index_base_b: ; @_ZN9rocsparseL19gebsrmvn_4xn_kernelILj128ELj1ELj4EdEEvi20rocsparse_direction_NS_24const_host_device_scalarIT2_EEPKiS6_PKS3_S8_S4_PS3_21rocsparse_index_base_b
; %bb.0:
	s_load_dwordx2 s[2:3], s[4:5], 0x40
	s_load_dwordx2 s[10:11], s[4:5], 0x8
	;; [unrolled: 1-line block ×3, first 2 shown]
	s_waitcnt lgkmcnt(0)
	s_bitcmp1_b32 s3, 0
	s_cselect_b64 s[12:13], -1, 0
	v_mov_b32_e32 v1, s10
	s_xor_b64 s[8:9], s[12:13], -1
	s_and_b64 vcc, exec, s[12:13]
	v_mov_b32_e32 v2, s11
	s_cbranch_vccnz .LBB37_2
; %bb.1:
	v_mov_b32_e32 v1, s10
	v_mov_b32_e32 v2, s11
	flat_load_dwordx2 v[1:2], v[1:2]
.LBB37_2:
	v_mov_b32_e32 v4, s1
	s_andn2_b64 vcc, exec, s[8:9]
	v_mov_b32_e32 v3, s0
	s_cbranch_vccnz .LBB37_4
; %bb.3:
	v_mov_b32_e32 v4, s1
	v_mov_b32_e32 v3, s0
	flat_load_dwordx2 v[3:4], v[3:4]
.LBB37_4:
	s_waitcnt vmcnt(0) lgkmcnt(0)
	v_cmp_neq_f64_e32 vcc, 0, v[1:2]
	v_cmp_neq_f64_e64 s[0:1], 1.0, v[3:4]
	s_or_b64 s[0:1], vcc, s[0:1]
	s_and_saveexec_b64 s[8:9], s[0:1]
	s_cbranch_execz .LBB37_23
; %bb.5:
	s_load_dwordx2 s[0:1], s[4:5], 0x0
	v_lshrrev_b32_e32 v5, 2, v0
	v_lshl_or_b32 v5, s6, 5, v5
	s_waitcnt lgkmcnt(0)
	v_cmp_gt_i32_e32 vcc, s0, v5
	s_and_b64 exec, exec, vcc
	s_cbranch_execz .LBB37_23
; %bb.6:
	s_load_dwordx8 s[8:15], s[4:5], 0x10
	v_ashrrev_i32_e32 v6, 31, v5
	v_lshlrev_b64 v[6:7], 2, v[5:6]
	v_and_b32_e32 v0, 3, v0
	s_cmp_lg_u32 s1, 0
	s_waitcnt lgkmcnt(0)
	v_mov_b32_e32 v8, s9
	v_add_co_u32_e32 v6, vcc, s8, v6
	v_addc_co_u32_e32 v7, vcc, v8, v7, vcc
	global_load_dwordx2 v[6:7], v[6:7], off
	s_waitcnt vmcnt(0)
	v_subrev_u32_e32 v6, s2, v6
	v_subrev_u32_e32 v20, s2, v7
	v_add_u32_e32 v10, v6, v0
	v_cmp_lt_i32_e64 s[0:1], v10, v20
	s_cbranch_scc0 .LBB37_12
; %bb.7:
	v_mov_b32_e32 v6, 0
	v_mov_b32_e32 v8, 0
	;; [unrolled: 1-line block ×8, first 2 shown]
	s_and_saveexec_b64 s[6:7], s[0:1]
	s_cbranch_execz .LBB37_11
; %bb.8:
	v_mov_b32_e32 v6, 0
	v_mov_b32_e32 v8, 0
	;; [unrolled: 1-line block ×4, first 2 shown]
	v_lshlrev_b32_e32 v16, 2, v10
	v_mov_b32_e32 v7, 0
	s_mov_b64 s[8:9], 0
	v_mov_b32_e32 v11, s11
	v_mov_b32_e32 v17, 0
	;; [unrolled: 1-line block ×8, first 2 shown]
.LBB37_9:                               ; =>This Inner Loop Header: Depth=1
	v_ashrrev_i32_e32 v19, 31, v18
	v_lshlrev_b64 v[23:24], 2, v[18:19]
	v_mov_b32_e32 v32, v17
	v_add_co_u32_e32 v23, vcc, s10, v23
	v_addc_co_u32_e32 v24, vcc, v11, v24, vcc
	global_load_dword v19, v[23:24], off
	v_lshlrev_b64 v[23:24], 3, v[16:17]
	v_add_u32_e32 v18, 4, v18
	v_add_co_u32_e32 v33, vcc, s12, v23
	v_addc_co_u32_e32 v34, vcc, v21, v24, vcc
	global_load_dwordx4 v[23:26], v[33:34], off
	global_load_dwordx4 v[27:30], v[33:34], off offset:16
	v_add_u32_e32 v16, 16, v16
	s_waitcnt vmcnt(2)
	v_subrev_u32_e32 v31, s2, v19
	v_lshlrev_b64 v[31:32], 3, v[31:32]
	v_add_co_u32_e32 v31, vcc, s14, v31
	v_addc_co_u32_e32 v32, vcc, v22, v32, vcc
	global_load_dwordx2 v[31:32], v[31:32], off
	v_cmp_ge_i32_e32 vcc, v18, v20
	s_or_b64 s[8:9], vcc, s[8:9]
	s_waitcnt vmcnt(0)
	v_fma_f64 v[6:7], v[23:24], v[31:32], v[6:7]
	v_fma_f64 v[14:15], v[25:26], v[31:32], v[14:15]
	;; [unrolled: 1-line block ×4, first 2 shown]
	s_andn2_b64 exec, exec, s[8:9]
	s_cbranch_execnz .LBB37_9
; %bb.10:
	s_or_b64 exec, exec, s[8:9]
.LBB37_11:
	s_or_b64 exec, exec, s[6:7]
	s_cbranch_execz .LBB37_13
	s_branch .LBB37_18
.LBB37_12:
                                        ; implicit-def: $vgpr6_vgpr7
                                        ; implicit-def: $vgpr8_vgpr9
                                        ; implicit-def: $vgpr12_vgpr13
                                        ; implicit-def: $vgpr14_vgpr15
.LBB37_13:
	v_mov_b32_e32 v6, 0
	v_mov_b32_e32 v8, 0
	;; [unrolled: 1-line block ×8, first 2 shown]
	s_and_saveexec_b64 s[6:7], s[0:1]
	s_cbranch_execz .LBB37_17
; %bb.14:
	v_mov_b32_e32 v6, 0
	v_mov_b32_e32 v8, 0
	;; [unrolled: 1-line block ×4, first 2 shown]
	v_lshlrev_b32_e32 v16, 2, v10
	v_mov_b32_e32 v7, 0
	s_mov_b64 s[0:1], 0
	v_mov_b32_e32 v18, s11
	v_mov_b32_e32 v17, 0
	;; [unrolled: 1-line block ×7, first 2 shown]
.LBB37_15:                              ; =>This Inner Loop Header: Depth=1
	v_ashrrev_i32_e32 v11, 31, v10
	v_lshlrev_b64 v[22:23], 2, v[10:11]
	v_mov_b32_e32 v31, v17
	v_add_co_u32_e32 v22, vcc, s10, v22
	v_addc_co_u32_e32 v23, vcc, v18, v23, vcc
	global_load_dword v11, v[22:23], off
	v_lshlrev_b64 v[22:23], 3, v[16:17]
	v_add_u32_e32 v10, 4, v10
	v_add_co_u32_e32 v32, vcc, s12, v22
	v_addc_co_u32_e32 v33, vcc, v19, v23, vcc
	global_load_dwordx4 v[22:25], v[32:33], off
	global_load_dwordx4 v[26:29], v[32:33], off offset:16
	v_add_u32_e32 v16, 16, v16
	s_waitcnt vmcnt(2)
	v_subrev_u32_e32 v30, s2, v11
	v_lshlrev_b64 v[30:31], 3, v[30:31]
	v_add_co_u32_e32 v30, vcc, s14, v30
	v_addc_co_u32_e32 v31, vcc, v21, v31, vcc
	global_load_dwordx2 v[30:31], v[30:31], off
	v_cmp_ge_i32_e32 vcc, v10, v20
	s_or_b64 s[0:1], vcc, s[0:1]
	s_waitcnt vmcnt(0)
	v_fma_f64 v[6:7], v[22:23], v[30:31], v[6:7]
	v_fma_f64 v[14:15], v[24:25], v[30:31], v[14:15]
	;; [unrolled: 1-line block ×4, first 2 shown]
	s_andn2_b64 exec, exec, s[0:1]
	s_cbranch_execnz .LBB37_15
; %bb.16:
	s_or_b64 exec, exec, s[0:1]
.LBB37_17:
	s_or_b64 exec, exec, s[6:7]
.LBB37_18:
	v_mov_b32_dpp v10, v6 row_shr:1 row_mask:0xf bank_mask:0xf
	v_mov_b32_dpp v11, v7 row_shr:1 row_mask:0xf bank_mask:0xf
	v_add_f64 v[6:7], v[6:7], v[10:11]
	v_mov_b32_dpp v10, v14 row_shr:1 row_mask:0xf bank_mask:0xf
	v_mov_b32_dpp v11, v15 row_shr:1 row_mask:0xf bank_mask:0xf
	v_add_f64 v[10:11], v[14:15], v[10:11]
	;; [unrolled: 3-line block ×4, first 2 shown]
	v_mov_b32_dpp v12, v6 row_shr:2 row_mask:0xf bank_mask:0xf
	v_mov_b32_dpp v13, v7 row_shr:2 row_mask:0xf bank_mask:0xf
	;; [unrolled: 1-line block ×6, first 2 shown]
	v_cmp_eq_u32_e32 vcc, 3, v0
	v_mov_b32_dpp v16, v8 row_shr:2 row_mask:0xf bank_mask:0xf
	v_mov_b32_dpp v17, v9 row_shr:2 row_mask:0xf bank_mask:0xf
	s_and_b64 exec, exec, vcc
	s_cbranch_execz .LBB37_23
; %bb.19:
	v_add_f64 v[12:13], v[6:7], v[12:13]
	v_add_f64 v[10:11], v[10:11], v[20:21]
	v_add_f64 v[6:7], v[14:15], v[18:19]
	v_add_f64 v[8:9], v[8:9], v[16:17]
	v_cmp_eq_f64_e32 vcc, 0, v[3:4]
	s_load_dwordx2 s[0:1], s[4:5], 0x38
	s_and_saveexec_b64 s[2:3], vcc
	s_xor_b64 s[2:3], exec, s[2:3]
	s_cbranch_execz .LBB37_21
; %bb.20:
	v_mul_f64 v[12:13], v[1:2], v[12:13]
	v_mul_f64 v[14:15], v[1:2], v[10:11]
	v_lshlrev_b32_e32 v16, 2, v5
	v_mul_f64 v[3:4], v[1:2], v[6:7]
	v_mul_f64 v[5:6], v[1:2], v[8:9]
	v_ashrrev_i32_e32 v17, 31, v16
	v_lshlrev_b64 v[0:1], 3, v[16:17]
	s_waitcnt lgkmcnt(0)
	v_mov_b32_e32 v2, s1
	v_add_co_u32_e32 v0, vcc, s0, v0
	v_addc_co_u32_e32 v1, vcc, v2, v1, vcc
	global_store_dwordx4 v[0:1], v[12:15], off
	global_store_dwordx4 v[0:1], v[3:6], off offset:16
                                        ; implicit-def: $vgpr5
                                        ; implicit-def: $vgpr1_vgpr2
                                        ; implicit-def: $vgpr12_vgpr13
                                        ; implicit-def: $vgpr3_vgpr4
                                        ; implicit-def: $vgpr10_vgpr11
                                        ; implicit-def: $vgpr6_vgpr7
                                        ; implicit-def: $vgpr8_vgpr9
.LBB37_21:
	s_andn2_saveexec_b64 s[2:3], s[2:3]
	s_cbranch_execz .LBB37_23
; %bb.22:
	v_lshlrev_b32_e32 v14, 2, v5
	v_ashrrev_i32_e32 v15, 31, v14
	v_lshlrev_b64 v[14:15], 3, v[14:15]
	s_waitcnt lgkmcnt(0)
	v_mov_b32_e32 v0, s1
	v_add_co_u32_e32 v22, vcc, s0, v14
	v_addc_co_u32_e32 v23, vcc, v0, v15, vcc
	global_load_dwordx4 v[14:17], v[22:23], off
	global_load_dwordx4 v[18:21], v[22:23], off offset:16
	v_mul_f64 v[12:13], v[1:2], v[12:13]
	v_mul_f64 v[10:11], v[1:2], v[10:11]
	;; [unrolled: 1-line block ×4, first 2 shown]
	s_waitcnt vmcnt(1)
	v_fma_f64 v[5:6], v[3:4], v[14:15], v[12:13]
	v_fma_f64 v[7:8], v[3:4], v[16:17], v[10:11]
	s_waitcnt vmcnt(0)
	v_fma_f64 v[0:1], v[3:4], v[18:19], v[24:25]
	v_fma_f64 v[2:3], v[3:4], v[20:21], v[26:27]
	global_store_dwordx4 v[22:23], v[5:8], off
	global_store_dwordx4 v[22:23], v[0:3], off offset:16
.LBB37_23:
	s_endpgm
	.section	.rodata,"a",@progbits
	.p2align	6, 0x0
	.amdhsa_kernel _ZN9rocsparseL19gebsrmvn_4xn_kernelILj128ELj1ELj4EdEEvi20rocsparse_direction_NS_24const_host_device_scalarIT2_EEPKiS6_PKS3_S8_S4_PS3_21rocsparse_index_base_b
		.amdhsa_group_segment_fixed_size 0
		.amdhsa_private_segment_fixed_size 0
		.amdhsa_kernarg_size 72
		.amdhsa_user_sgpr_count 6
		.amdhsa_user_sgpr_private_segment_buffer 1
		.amdhsa_user_sgpr_dispatch_ptr 0
		.amdhsa_user_sgpr_queue_ptr 0
		.amdhsa_user_sgpr_kernarg_segment_ptr 1
		.amdhsa_user_sgpr_dispatch_id 0
		.amdhsa_user_sgpr_flat_scratch_init 0
		.amdhsa_user_sgpr_private_segment_size 0
		.amdhsa_uses_dynamic_stack 0
		.amdhsa_system_sgpr_private_segment_wavefront_offset 0
		.amdhsa_system_sgpr_workgroup_id_x 1
		.amdhsa_system_sgpr_workgroup_id_y 0
		.amdhsa_system_sgpr_workgroup_id_z 0
		.amdhsa_system_sgpr_workgroup_info 0
		.amdhsa_system_vgpr_workitem_id 0
		.amdhsa_next_free_vgpr 35
		.amdhsa_next_free_sgpr 16
		.amdhsa_reserve_vcc 1
		.amdhsa_reserve_flat_scratch 0
		.amdhsa_float_round_mode_32 0
		.amdhsa_float_round_mode_16_64 0
		.amdhsa_float_denorm_mode_32 3
		.amdhsa_float_denorm_mode_16_64 3
		.amdhsa_dx10_clamp 1
		.amdhsa_ieee_mode 1
		.amdhsa_fp16_overflow 0
		.amdhsa_exception_fp_ieee_invalid_op 0
		.amdhsa_exception_fp_denorm_src 0
		.amdhsa_exception_fp_ieee_div_zero 0
		.amdhsa_exception_fp_ieee_overflow 0
		.amdhsa_exception_fp_ieee_underflow 0
		.amdhsa_exception_fp_ieee_inexact 0
		.amdhsa_exception_int_div_zero 0
	.end_amdhsa_kernel
	.section	.text._ZN9rocsparseL19gebsrmvn_4xn_kernelILj128ELj1ELj4EdEEvi20rocsparse_direction_NS_24const_host_device_scalarIT2_EEPKiS6_PKS3_S8_S4_PS3_21rocsparse_index_base_b,"axG",@progbits,_ZN9rocsparseL19gebsrmvn_4xn_kernelILj128ELj1ELj4EdEEvi20rocsparse_direction_NS_24const_host_device_scalarIT2_EEPKiS6_PKS3_S8_S4_PS3_21rocsparse_index_base_b,comdat
.Lfunc_end37:
	.size	_ZN9rocsparseL19gebsrmvn_4xn_kernelILj128ELj1ELj4EdEEvi20rocsparse_direction_NS_24const_host_device_scalarIT2_EEPKiS6_PKS3_S8_S4_PS3_21rocsparse_index_base_b, .Lfunc_end37-_ZN9rocsparseL19gebsrmvn_4xn_kernelILj128ELj1ELj4EdEEvi20rocsparse_direction_NS_24const_host_device_scalarIT2_EEPKiS6_PKS3_S8_S4_PS3_21rocsparse_index_base_b
                                        ; -- End function
	.set _ZN9rocsparseL19gebsrmvn_4xn_kernelILj128ELj1ELj4EdEEvi20rocsparse_direction_NS_24const_host_device_scalarIT2_EEPKiS6_PKS3_S8_S4_PS3_21rocsparse_index_base_b.num_vgpr, 35
	.set _ZN9rocsparseL19gebsrmvn_4xn_kernelILj128ELj1ELj4EdEEvi20rocsparse_direction_NS_24const_host_device_scalarIT2_EEPKiS6_PKS3_S8_S4_PS3_21rocsparse_index_base_b.num_agpr, 0
	.set _ZN9rocsparseL19gebsrmvn_4xn_kernelILj128ELj1ELj4EdEEvi20rocsparse_direction_NS_24const_host_device_scalarIT2_EEPKiS6_PKS3_S8_S4_PS3_21rocsparse_index_base_b.numbered_sgpr, 16
	.set _ZN9rocsparseL19gebsrmvn_4xn_kernelILj128ELj1ELj4EdEEvi20rocsparse_direction_NS_24const_host_device_scalarIT2_EEPKiS6_PKS3_S8_S4_PS3_21rocsparse_index_base_b.num_named_barrier, 0
	.set _ZN9rocsparseL19gebsrmvn_4xn_kernelILj128ELj1ELj4EdEEvi20rocsparse_direction_NS_24const_host_device_scalarIT2_EEPKiS6_PKS3_S8_S4_PS3_21rocsparse_index_base_b.private_seg_size, 0
	.set _ZN9rocsparseL19gebsrmvn_4xn_kernelILj128ELj1ELj4EdEEvi20rocsparse_direction_NS_24const_host_device_scalarIT2_EEPKiS6_PKS3_S8_S4_PS3_21rocsparse_index_base_b.uses_vcc, 1
	.set _ZN9rocsparseL19gebsrmvn_4xn_kernelILj128ELj1ELj4EdEEvi20rocsparse_direction_NS_24const_host_device_scalarIT2_EEPKiS6_PKS3_S8_S4_PS3_21rocsparse_index_base_b.uses_flat_scratch, 0
	.set _ZN9rocsparseL19gebsrmvn_4xn_kernelILj128ELj1ELj4EdEEvi20rocsparse_direction_NS_24const_host_device_scalarIT2_EEPKiS6_PKS3_S8_S4_PS3_21rocsparse_index_base_b.has_dyn_sized_stack, 0
	.set _ZN9rocsparseL19gebsrmvn_4xn_kernelILj128ELj1ELj4EdEEvi20rocsparse_direction_NS_24const_host_device_scalarIT2_EEPKiS6_PKS3_S8_S4_PS3_21rocsparse_index_base_b.has_recursion, 0
	.set _ZN9rocsparseL19gebsrmvn_4xn_kernelILj128ELj1ELj4EdEEvi20rocsparse_direction_NS_24const_host_device_scalarIT2_EEPKiS6_PKS3_S8_S4_PS3_21rocsparse_index_base_b.has_indirect_call, 0
	.section	.AMDGPU.csdata,"",@progbits
; Kernel info:
; codeLenInByte = 1236
; TotalNumSgprs: 20
; NumVgprs: 35
; ScratchSize: 0
; MemoryBound: 0
; FloatMode: 240
; IeeeMode: 1
; LDSByteSize: 0 bytes/workgroup (compile time only)
; SGPRBlocks: 2
; VGPRBlocks: 8
; NumSGPRsForWavesPerEU: 20
; NumVGPRsForWavesPerEU: 35
; Occupancy: 7
; WaveLimiterHint : 1
; COMPUTE_PGM_RSRC2:SCRATCH_EN: 0
; COMPUTE_PGM_RSRC2:USER_SGPR: 6
; COMPUTE_PGM_RSRC2:TRAP_HANDLER: 0
; COMPUTE_PGM_RSRC2:TGID_X_EN: 1
; COMPUTE_PGM_RSRC2:TGID_Y_EN: 0
; COMPUTE_PGM_RSRC2:TGID_Z_EN: 0
; COMPUTE_PGM_RSRC2:TIDIG_COMP_CNT: 0
	.section	.text._ZN9rocsparseL19gebsrmvn_4xn_kernelILj128ELj1ELj8EdEEvi20rocsparse_direction_NS_24const_host_device_scalarIT2_EEPKiS6_PKS3_S8_S4_PS3_21rocsparse_index_base_b,"axG",@progbits,_ZN9rocsparseL19gebsrmvn_4xn_kernelILj128ELj1ELj8EdEEvi20rocsparse_direction_NS_24const_host_device_scalarIT2_EEPKiS6_PKS3_S8_S4_PS3_21rocsparse_index_base_b,comdat
	.globl	_ZN9rocsparseL19gebsrmvn_4xn_kernelILj128ELj1ELj8EdEEvi20rocsparse_direction_NS_24const_host_device_scalarIT2_EEPKiS6_PKS3_S8_S4_PS3_21rocsparse_index_base_b ; -- Begin function _ZN9rocsparseL19gebsrmvn_4xn_kernelILj128ELj1ELj8EdEEvi20rocsparse_direction_NS_24const_host_device_scalarIT2_EEPKiS6_PKS3_S8_S4_PS3_21rocsparse_index_base_b
	.p2align	8
	.type	_ZN9rocsparseL19gebsrmvn_4xn_kernelILj128ELj1ELj8EdEEvi20rocsparse_direction_NS_24const_host_device_scalarIT2_EEPKiS6_PKS3_S8_S4_PS3_21rocsparse_index_base_b,@function
_ZN9rocsparseL19gebsrmvn_4xn_kernelILj128ELj1ELj8EdEEvi20rocsparse_direction_NS_24const_host_device_scalarIT2_EEPKiS6_PKS3_S8_S4_PS3_21rocsparse_index_base_b: ; @_ZN9rocsparseL19gebsrmvn_4xn_kernelILj128ELj1ELj8EdEEvi20rocsparse_direction_NS_24const_host_device_scalarIT2_EEPKiS6_PKS3_S8_S4_PS3_21rocsparse_index_base_b
; %bb.0:
	s_load_dwordx2 s[2:3], s[4:5], 0x40
	s_load_dwordx2 s[10:11], s[4:5], 0x8
	;; [unrolled: 1-line block ×3, first 2 shown]
	s_waitcnt lgkmcnt(0)
	s_bitcmp1_b32 s3, 0
	s_cselect_b64 s[12:13], -1, 0
	v_mov_b32_e32 v1, s10
	s_xor_b64 s[8:9], s[12:13], -1
	s_and_b64 vcc, exec, s[12:13]
	v_mov_b32_e32 v2, s11
	s_cbranch_vccnz .LBB38_2
; %bb.1:
	v_mov_b32_e32 v1, s10
	v_mov_b32_e32 v2, s11
	flat_load_dwordx2 v[1:2], v[1:2]
.LBB38_2:
	v_mov_b32_e32 v4, s1
	s_andn2_b64 vcc, exec, s[8:9]
	v_mov_b32_e32 v3, s0
	s_cbranch_vccnz .LBB38_4
; %bb.3:
	v_mov_b32_e32 v4, s1
	v_mov_b32_e32 v3, s0
	flat_load_dwordx2 v[3:4], v[3:4]
.LBB38_4:
	s_waitcnt vmcnt(0) lgkmcnt(0)
	v_cmp_neq_f64_e32 vcc, 0, v[1:2]
	v_cmp_neq_f64_e64 s[0:1], 1.0, v[3:4]
	s_or_b64 s[0:1], vcc, s[0:1]
	s_and_saveexec_b64 s[8:9], s[0:1]
	s_cbranch_execz .LBB38_23
; %bb.5:
	s_load_dwordx2 s[0:1], s[4:5], 0x0
	v_lshrrev_b32_e32 v5, 3, v0
	v_lshl_or_b32 v5, s6, 4, v5
	s_waitcnt lgkmcnt(0)
	v_cmp_gt_i32_e32 vcc, s0, v5
	s_and_b64 exec, exec, vcc
	s_cbranch_execz .LBB38_23
; %bb.6:
	s_load_dwordx8 s[8:15], s[4:5], 0x10
	v_ashrrev_i32_e32 v6, 31, v5
	v_lshlrev_b64 v[6:7], 2, v[5:6]
	v_and_b32_e32 v0, 7, v0
	s_cmp_lg_u32 s1, 0
	s_waitcnt lgkmcnt(0)
	v_mov_b32_e32 v8, s9
	v_add_co_u32_e32 v6, vcc, s8, v6
	v_addc_co_u32_e32 v7, vcc, v8, v7, vcc
	global_load_dwordx2 v[6:7], v[6:7], off
	s_waitcnt vmcnt(0)
	v_subrev_u32_e32 v6, s2, v6
	v_subrev_u32_e32 v19, s2, v7
	v_add_u32_e32 v14, v6, v0
	v_cmp_lt_i32_e64 s[0:1], v14, v19
	s_cbranch_scc0 .LBB38_12
; %bb.7:
	v_mov_b32_e32 v8, 0
	v_mov_b32_e32 v6, 0
	;; [unrolled: 1-line block ×8, first 2 shown]
	s_and_saveexec_b64 s[6:7], s[0:1]
	s_cbranch_execz .LBB38_11
; %bb.8:
	v_mov_b32_e32 v8, 0
	v_mov_b32_e32 v6, 0
	;; [unrolled: 1-line block ×4, first 2 shown]
	v_lshlrev_b32_e32 v15, 2, v14
	v_mov_b32_e32 v9, 0
	s_mov_b64 s[8:9], 0
	v_mov_b32_e32 v20, s11
	v_mov_b32_e32 v16, 0
	;; [unrolled: 1-line block ×8, first 2 shown]
.LBB38_9:                               ; =>This Inner Loop Header: Depth=1
	v_ashrrev_i32_e32 v18, 31, v17
	v_lshlrev_b64 v[23:24], 2, v[17:18]
	v_mov_b32_e32 v32, v16
	v_add_co_u32_e32 v23, vcc, s10, v23
	v_addc_co_u32_e32 v24, vcc, v20, v24, vcc
	global_load_dword v18, v[23:24], off
	v_lshlrev_b64 v[23:24], 3, v[15:16]
	v_add_u32_e32 v17, 8, v17
	v_add_co_u32_e32 v33, vcc, s12, v23
	v_addc_co_u32_e32 v34, vcc, v21, v24, vcc
	global_load_dwordx4 v[23:26], v[33:34], off
	global_load_dwordx4 v[27:30], v[33:34], off offset:16
	v_add_u32_e32 v15, 32, v15
	s_waitcnt vmcnt(2)
	v_subrev_u32_e32 v31, s2, v18
	v_lshlrev_b64 v[31:32], 3, v[31:32]
	v_add_co_u32_e32 v31, vcc, s14, v31
	v_addc_co_u32_e32 v32, vcc, v22, v32, vcc
	global_load_dwordx2 v[31:32], v[31:32], off
	v_cmp_ge_i32_e32 vcc, v17, v19
	s_or_b64 s[8:9], vcc, s[8:9]
	s_waitcnt vmcnt(0)
	v_fma_f64 v[8:9], v[23:24], v[31:32], v[8:9]
	v_fma_f64 v[12:13], v[25:26], v[31:32], v[12:13]
	;; [unrolled: 1-line block ×4, first 2 shown]
	s_andn2_b64 exec, exec, s[8:9]
	s_cbranch_execnz .LBB38_9
; %bb.10:
	s_or_b64 exec, exec, s[8:9]
.LBB38_11:
	s_or_b64 exec, exec, s[6:7]
	s_cbranch_execz .LBB38_13
	s_branch .LBB38_18
.LBB38_12:
                                        ; implicit-def: $vgpr8_vgpr9
                                        ; implicit-def: $vgpr6_vgpr7
                                        ; implicit-def: $vgpr10_vgpr11
                                        ; implicit-def: $vgpr12_vgpr13
.LBB38_13:
	v_mov_b32_e32 v8, 0
	v_mov_b32_e32 v6, 0
	;; [unrolled: 1-line block ×8, first 2 shown]
	s_and_saveexec_b64 s[6:7], s[0:1]
	s_cbranch_execz .LBB38_17
; %bb.14:
	v_mov_b32_e32 v8, 0
	v_mov_b32_e32 v6, 0
	;; [unrolled: 1-line block ×4, first 2 shown]
	v_lshlrev_b32_e32 v16, 2, v14
	v_mov_b32_e32 v9, 0
	s_mov_b64 s[0:1], 0
	v_mov_b32_e32 v18, s11
	v_mov_b32_e32 v17, 0
	;; [unrolled: 1-line block ×7, first 2 shown]
.LBB38_15:                              ; =>This Inner Loop Header: Depth=1
	v_ashrrev_i32_e32 v15, 31, v14
	v_lshlrev_b64 v[22:23], 2, v[14:15]
	v_mov_b32_e32 v31, v17
	v_add_co_u32_e32 v22, vcc, s10, v22
	v_addc_co_u32_e32 v23, vcc, v18, v23, vcc
	global_load_dword v15, v[22:23], off
	v_lshlrev_b64 v[22:23], 3, v[16:17]
	v_add_u32_e32 v14, 8, v14
	v_add_co_u32_e32 v32, vcc, s12, v22
	v_addc_co_u32_e32 v33, vcc, v20, v23, vcc
	global_load_dwordx4 v[22:25], v[32:33], off
	global_load_dwordx4 v[26:29], v[32:33], off offset:16
	v_add_u32_e32 v16, 32, v16
	s_waitcnt vmcnt(2)
	v_subrev_u32_e32 v30, s2, v15
	v_lshlrev_b64 v[30:31], 3, v[30:31]
	v_add_co_u32_e32 v30, vcc, s14, v30
	v_addc_co_u32_e32 v31, vcc, v21, v31, vcc
	global_load_dwordx2 v[30:31], v[30:31], off
	v_cmp_ge_i32_e32 vcc, v14, v19
	s_or_b64 s[0:1], vcc, s[0:1]
	s_waitcnt vmcnt(0)
	v_fma_f64 v[8:9], v[22:23], v[30:31], v[8:9]
	v_fma_f64 v[12:13], v[24:25], v[30:31], v[12:13]
	;; [unrolled: 1-line block ×4, first 2 shown]
	s_andn2_b64 exec, exec, s[0:1]
	s_cbranch_execnz .LBB38_15
; %bb.16:
	s_or_b64 exec, exec, s[0:1]
.LBB38_17:
	s_or_b64 exec, exec, s[6:7]
.LBB38_18:
	v_mov_b32_dpp v14, v8 row_shr:1 row_mask:0xf bank_mask:0xf
	v_mov_b32_dpp v15, v9 row_shr:1 row_mask:0xf bank_mask:0xf
	v_add_f64 v[8:9], v[8:9], v[14:15]
	v_mov_b32_dpp v14, v12 row_shr:1 row_mask:0xf bank_mask:0xf
	v_mov_b32_dpp v15, v13 row_shr:1 row_mask:0xf bank_mask:0xf
	;; [unrolled: 1-line block ×4, first 2 shown]
	v_add_f64 v[12:13], v[12:13], v[14:15]
	v_add_f64 v[10:11], v[10:11], v[16:17]
	v_mov_b32_dpp v16, v6 row_shr:1 row_mask:0xf bank_mask:0xf
	v_mov_b32_dpp v17, v7 row_shr:1 row_mask:0xf bank_mask:0xf
	v_add_f64 v[16:17], v[6:7], v[16:17]
	v_mov_b32_dpp v14, v8 row_shr:2 row_mask:0xf bank_mask:0xf
	v_mov_b32_dpp v15, v9 row_shr:2 row_mask:0xf bank_mask:0xf
	v_add_f64 v[6:7], v[8:9], v[14:15]
	v_mov_b32_dpp v8, v12 row_shr:2 row_mask:0xf bank_mask:0xf
	v_mov_b32_dpp v9, v13 row_shr:2 row_mask:0xf bank_mask:0xf
	v_add_f64 v[8:9], v[12:13], v[8:9]
	v_mov_b32_dpp v12, v10 row_shr:2 row_mask:0xf bank_mask:0xf
	v_mov_b32_dpp v13, v11 row_shr:2 row_mask:0xf bank_mask:0xf
	v_add_f64 v[14:15], v[10:11], v[12:13]
	v_mov_b32_dpp v10, v16 row_shr:2 row_mask:0xf bank_mask:0xf
	v_mov_b32_dpp v11, v17 row_shr:2 row_mask:0xf bank_mask:0xf
	v_add_f64 v[16:17], v[16:17], v[10:11]
	v_mov_b32_dpp v12, v6 row_shr:4 row_mask:0xf bank_mask:0xe
	v_mov_b32_dpp v13, v7 row_shr:4 row_mask:0xf bank_mask:0xe
	v_mov_b32_dpp v10, v8 row_shr:4 row_mask:0xf bank_mask:0xe
	v_mov_b32_dpp v11, v9 row_shr:4 row_mask:0xf bank_mask:0xe
	;; [unrolled: 1-line block ×4, first 2 shown]
	v_cmp_eq_u32_e32 vcc, 7, v0
	v_mov_b32_dpp v18, v16 row_shr:4 row_mask:0xf bank_mask:0xe
	v_mov_b32_dpp v19, v17 row_shr:4 row_mask:0xf bank_mask:0xe
	s_and_b64 exec, exec, vcc
	s_cbranch_execz .LBB38_23
; %bb.19:
	v_add_f64 v[12:13], v[6:7], v[12:13]
	v_add_f64 v[10:11], v[8:9], v[10:11]
	;; [unrolled: 1-line block ×4, first 2 shown]
	v_cmp_eq_f64_e32 vcc, 0, v[3:4]
	s_load_dwordx2 s[0:1], s[4:5], 0x38
	s_and_saveexec_b64 s[2:3], vcc
	s_xor_b64 s[2:3], exec, s[2:3]
	s_cbranch_execz .LBB38_21
; %bb.20:
	v_mul_f64 v[12:13], v[1:2], v[12:13]
	v_mul_f64 v[14:15], v[1:2], v[10:11]
	v_lshlrev_b32_e32 v16, 2, v5
	v_mul_f64 v[3:4], v[1:2], v[6:7]
	v_mul_f64 v[5:6], v[1:2], v[8:9]
	v_ashrrev_i32_e32 v17, 31, v16
	v_lshlrev_b64 v[0:1], 3, v[16:17]
	s_waitcnt lgkmcnt(0)
	v_mov_b32_e32 v2, s1
	v_add_co_u32_e32 v0, vcc, s0, v0
	v_addc_co_u32_e32 v1, vcc, v2, v1, vcc
	global_store_dwordx4 v[0:1], v[12:15], off
	global_store_dwordx4 v[0:1], v[3:6], off offset:16
                                        ; implicit-def: $vgpr5
                                        ; implicit-def: $vgpr1_vgpr2
                                        ; implicit-def: $vgpr12_vgpr13
                                        ; implicit-def: $vgpr3_vgpr4
                                        ; implicit-def: $vgpr10_vgpr11
                                        ; implicit-def: $vgpr6_vgpr7
                                        ; implicit-def: $vgpr8_vgpr9
.LBB38_21:
	s_andn2_saveexec_b64 s[2:3], s[2:3]
	s_cbranch_execz .LBB38_23
; %bb.22:
	v_lshlrev_b32_e32 v14, 2, v5
	v_ashrrev_i32_e32 v15, 31, v14
	v_lshlrev_b64 v[14:15], 3, v[14:15]
	s_waitcnt lgkmcnt(0)
	v_mov_b32_e32 v0, s1
	v_add_co_u32_e32 v22, vcc, s0, v14
	v_addc_co_u32_e32 v23, vcc, v0, v15, vcc
	global_load_dwordx4 v[14:17], v[22:23], off
	global_load_dwordx4 v[18:21], v[22:23], off offset:16
	v_mul_f64 v[12:13], v[1:2], v[12:13]
	v_mul_f64 v[10:11], v[1:2], v[10:11]
	;; [unrolled: 1-line block ×4, first 2 shown]
	s_waitcnt vmcnt(1)
	v_fma_f64 v[5:6], v[3:4], v[14:15], v[12:13]
	v_fma_f64 v[7:8], v[3:4], v[16:17], v[10:11]
	s_waitcnt vmcnt(0)
	v_fma_f64 v[0:1], v[3:4], v[18:19], v[24:25]
	v_fma_f64 v[2:3], v[3:4], v[20:21], v[26:27]
	global_store_dwordx4 v[22:23], v[5:8], off
	global_store_dwordx4 v[22:23], v[0:3], off offset:16
.LBB38_23:
	s_endpgm
	.section	.rodata,"a",@progbits
	.p2align	6, 0x0
	.amdhsa_kernel _ZN9rocsparseL19gebsrmvn_4xn_kernelILj128ELj1ELj8EdEEvi20rocsparse_direction_NS_24const_host_device_scalarIT2_EEPKiS6_PKS3_S8_S4_PS3_21rocsparse_index_base_b
		.amdhsa_group_segment_fixed_size 0
		.amdhsa_private_segment_fixed_size 0
		.amdhsa_kernarg_size 72
		.amdhsa_user_sgpr_count 6
		.amdhsa_user_sgpr_private_segment_buffer 1
		.amdhsa_user_sgpr_dispatch_ptr 0
		.amdhsa_user_sgpr_queue_ptr 0
		.amdhsa_user_sgpr_kernarg_segment_ptr 1
		.amdhsa_user_sgpr_dispatch_id 0
		.amdhsa_user_sgpr_flat_scratch_init 0
		.amdhsa_user_sgpr_private_segment_size 0
		.amdhsa_uses_dynamic_stack 0
		.amdhsa_system_sgpr_private_segment_wavefront_offset 0
		.amdhsa_system_sgpr_workgroup_id_x 1
		.amdhsa_system_sgpr_workgroup_id_y 0
		.amdhsa_system_sgpr_workgroup_id_z 0
		.amdhsa_system_sgpr_workgroup_info 0
		.amdhsa_system_vgpr_workitem_id 0
		.amdhsa_next_free_vgpr 35
		.amdhsa_next_free_sgpr 16
		.amdhsa_reserve_vcc 1
		.amdhsa_reserve_flat_scratch 0
		.amdhsa_float_round_mode_32 0
		.amdhsa_float_round_mode_16_64 0
		.amdhsa_float_denorm_mode_32 3
		.amdhsa_float_denorm_mode_16_64 3
		.amdhsa_dx10_clamp 1
		.amdhsa_ieee_mode 1
		.amdhsa_fp16_overflow 0
		.amdhsa_exception_fp_ieee_invalid_op 0
		.amdhsa_exception_fp_denorm_src 0
		.amdhsa_exception_fp_ieee_div_zero 0
		.amdhsa_exception_fp_ieee_overflow 0
		.amdhsa_exception_fp_ieee_underflow 0
		.amdhsa_exception_fp_ieee_inexact 0
		.amdhsa_exception_int_div_zero 0
	.end_amdhsa_kernel
	.section	.text._ZN9rocsparseL19gebsrmvn_4xn_kernelILj128ELj1ELj8EdEEvi20rocsparse_direction_NS_24const_host_device_scalarIT2_EEPKiS6_PKS3_S8_S4_PS3_21rocsparse_index_base_b,"axG",@progbits,_ZN9rocsparseL19gebsrmvn_4xn_kernelILj128ELj1ELj8EdEEvi20rocsparse_direction_NS_24const_host_device_scalarIT2_EEPKiS6_PKS3_S8_S4_PS3_21rocsparse_index_base_b,comdat
.Lfunc_end38:
	.size	_ZN9rocsparseL19gebsrmvn_4xn_kernelILj128ELj1ELj8EdEEvi20rocsparse_direction_NS_24const_host_device_scalarIT2_EEPKiS6_PKS3_S8_S4_PS3_21rocsparse_index_base_b, .Lfunc_end38-_ZN9rocsparseL19gebsrmvn_4xn_kernelILj128ELj1ELj8EdEEvi20rocsparse_direction_NS_24const_host_device_scalarIT2_EEPKiS6_PKS3_S8_S4_PS3_21rocsparse_index_base_b
                                        ; -- End function
	.set _ZN9rocsparseL19gebsrmvn_4xn_kernelILj128ELj1ELj8EdEEvi20rocsparse_direction_NS_24const_host_device_scalarIT2_EEPKiS6_PKS3_S8_S4_PS3_21rocsparse_index_base_b.num_vgpr, 35
	.set _ZN9rocsparseL19gebsrmvn_4xn_kernelILj128ELj1ELj8EdEEvi20rocsparse_direction_NS_24const_host_device_scalarIT2_EEPKiS6_PKS3_S8_S4_PS3_21rocsparse_index_base_b.num_agpr, 0
	.set _ZN9rocsparseL19gebsrmvn_4xn_kernelILj128ELj1ELj8EdEEvi20rocsparse_direction_NS_24const_host_device_scalarIT2_EEPKiS6_PKS3_S8_S4_PS3_21rocsparse_index_base_b.numbered_sgpr, 16
	.set _ZN9rocsparseL19gebsrmvn_4xn_kernelILj128ELj1ELj8EdEEvi20rocsparse_direction_NS_24const_host_device_scalarIT2_EEPKiS6_PKS3_S8_S4_PS3_21rocsparse_index_base_b.num_named_barrier, 0
	.set _ZN9rocsparseL19gebsrmvn_4xn_kernelILj128ELj1ELj8EdEEvi20rocsparse_direction_NS_24const_host_device_scalarIT2_EEPKiS6_PKS3_S8_S4_PS3_21rocsparse_index_base_b.private_seg_size, 0
	.set _ZN9rocsparseL19gebsrmvn_4xn_kernelILj128ELj1ELj8EdEEvi20rocsparse_direction_NS_24const_host_device_scalarIT2_EEPKiS6_PKS3_S8_S4_PS3_21rocsparse_index_base_b.uses_vcc, 1
	.set _ZN9rocsparseL19gebsrmvn_4xn_kernelILj128ELj1ELj8EdEEvi20rocsparse_direction_NS_24const_host_device_scalarIT2_EEPKiS6_PKS3_S8_S4_PS3_21rocsparse_index_base_b.uses_flat_scratch, 0
	.set _ZN9rocsparseL19gebsrmvn_4xn_kernelILj128ELj1ELj8EdEEvi20rocsparse_direction_NS_24const_host_device_scalarIT2_EEPKiS6_PKS3_S8_S4_PS3_21rocsparse_index_base_b.has_dyn_sized_stack, 0
	.set _ZN9rocsparseL19gebsrmvn_4xn_kernelILj128ELj1ELj8EdEEvi20rocsparse_direction_NS_24const_host_device_scalarIT2_EEPKiS6_PKS3_S8_S4_PS3_21rocsparse_index_base_b.has_recursion, 0
	.set _ZN9rocsparseL19gebsrmvn_4xn_kernelILj128ELj1ELj8EdEEvi20rocsparse_direction_NS_24const_host_device_scalarIT2_EEPKiS6_PKS3_S8_S4_PS3_21rocsparse_index_base_b.has_indirect_call, 0
	.section	.AMDGPU.csdata,"",@progbits
; Kernel info:
; codeLenInByte = 1332
; TotalNumSgprs: 20
; NumVgprs: 35
; ScratchSize: 0
; MemoryBound: 0
; FloatMode: 240
; IeeeMode: 1
; LDSByteSize: 0 bytes/workgroup (compile time only)
; SGPRBlocks: 2
; VGPRBlocks: 8
; NumSGPRsForWavesPerEU: 20
; NumVGPRsForWavesPerEU: 35
; Occupancy: 7
; WaveLimiterHint : 1
; COMPUTE_PGM_RSRC2:SCRATCH_EN: 0
; COMPUTE_PGM_RSRC2:USER_SGPR: 6
; COMPUTE_PGM_RSRC2:TRAP_HANDLER: 0
; COMPUTE_PGM_RSRC2:TGID_X_EN: 1
; COMPUTE_PGM_RSRC2:TGID_Y_EN: 0
; COMPUTE_PGM_RSRC2:TGID_Z_EN: 0
; COMPUTE_PGM_RSRC2:TIDIG_COMP_CNT: 0
	.section	.text._ZN9rocsparseL19gebsrmvn_4xn_kernelILj128ELj1ELj16EdEEvi20rocsparse_direction_NS_24const_host_device_scalarIT2_EEPKiS6_PKS3_S8_S4_PS3_21rocsparse_index_base_b,"axG",@progbits,_ZN9rocsparseL19gebsrmvn_4xn_kernelILj128ELj1ELj16EdEEvi20rocsparse_direction_NS_24const_host_device_scalarIT2_EEPKiS6_PKS3_S8_S4_PS3_21rocsparse_index_base_b,comdat
	.globl	_ZN9rocsparseL19gebsrmvn_4xn_kernelILj128ELj1ELj16EdEEvi20rocsparse_direction_NS_24const_host_device_scalarIT2_EEPKiS6_PKS3_S8_S4_PS3_21rocsparse_index_base_b ; -- Begin function _ZN9rocsparseL19gebsrmvn_4xn_kernelILj128ELj1ELj16EdEEvi20rocsparse_direction_NS_24const_host_device_scalarIT2_EEPKiS6_PKS3_S8_S4_PS3_21rocsparse_index_base_b
	.p2align	8
	.type	_ZN9rocsparseL19gebsrmvn_4xn_kernelILj128ELj1ELj16EdEEvi20rocsparse_direction_NS_24const_host_device_scalarIT2_EEPKiS6_PKS3_S8_S4_PS3_21rocsparse_index_base_b,@function
_ZN9rocsparseL19gebsrmvn_4xn_kernelILj128ELj1ELj16EdEEvi20rocsparse_direction_NS_24const_host_device_scalarIT2_EEPKiS6_PKS3_S8_S4_PS3_21rocsparse_index_base_b: ; @_ZN9rocsparseL19gebsrmvn_4xn_kernelILj128ELj1ELj16EdEEvi20rocsparse_direction_NS_24const_host_device_scalarIT2_EEPKiS6_PKS3_S8_S4_PS3_21rocsparse_index_base_b
; %bb.0:
	s_load_dwordx2 s[2:3], s[4:5], 0x40
	s_load_dwordx2 s[10:11], s[4:5], 0x8
	;; [unrolled: 1-line block ×3, first 2 shown]
	s_waitcnt lgkmcnt(0)
	s_bitcmp1_b32 s3, 0
	s_cselect_b64 s[12:13], -1, 0
	v_mov_b32_e32 v1, s10
	s_xor_b64 s[8:9], s[12:13], -1
	s_and_b64 vcc, exec, s[12:13]
	v_mov_b32_e32 v2, s11
	s_cbranch_vccnz .LBB39_2
; %bb.1:
	v_mov_b32_e32 v1, s10
	v_mov_b32_e32 v2, s11
	flat_load_dwordx2 v[1:2], v[1:2]
.LBB39_2:
	v_mov_b32_e32 v4, s1
	s_andn2_b64 vcc, exec, s[8:9]
	v_mov_b32_e32 v3, s0
	s_cbranch_vccnz .LBB39_4
; %bb.3:
	v_mov_b32_e32 v4, s1
	v_mov_b32_e32 v3, s0
	flat_load_dwordx2 v[3:4], v[3:4]
.LBB39_4:
	s_waitcnt vmcnt(0) lgkmcnt(0)
	v_cmp_neq_f64_e32 vcc, 0, v[1:2]
	v_cmp_neq_f64_e64 s[0:1], 1.0, v[3:4]
	s_or_b64 s[0:1], vcc, s[0:1]
	s_and_saveexec_b64 s[8:9], s[0:1]
	s_cbranch_execz .LBB39_23
; %bb.5:
	s_load_dwordx2 s[0:1], s[4:5], 0x0
	v_lshrrev_b32_e32 v5, 4, v0
	v_lshl_or_b32 v5, s6, 3, v5
	s_waitcnt lgkmcnt(0)
	v_cmp_gt_i32_e32 vcc, s0, v5
	s_and_b64 exec, exec, vcc
	s_cbranch_execz .LBB39_23
; %bb.6:
	s_load_dwordx8 s[8:15], s[4:5], 0x10
	v_ashrrev_i32_e32 v6, 31, v5
	v_lshlrev_b64 v[6:7], 2, v[5:6]
	v_and_b32_e32 v0, 15, v0
	s_cmp_lg_u32 s1, 0
	s_waitcnt lgkmcnt(0)
	v_mov_b32_e32 v8, s9
	v_add_co_u32_e32 v6, vcc, s8, v6
	v_addc_co_u32_e32 v7, vcc, v8, v7, vcc
	global_load_dwordx2 v[6:7], v[6:7], off
	s_waitcnt vmcnt(0)
	v_subrev_u32_e32 v6, s2, v6
	v_subrev_u32_e32 v19, s2, v7
	v_add_u32_e32 v14, v6, v0
	v_cmp_lt_i32_e64 s[0:1], v14, v19
	s_cbranch_scc0 .LBB39_12
; %bb.7:
	v_mov_b32_e32 v10, 0
	v_mov_b32_e32 v6, 0
	;; [unrolled: 1-line block ×8, first 2 shown]
	s_and_saveexec_b64 s[6:7], s[0:1]
	s_cbranch_execz .LBB39_11
; %bb.8:
	v_mov_b32_e32 v10, 0
	v_mov_b32_e32 v6, 0
	;; [unrolled: 1-line block ×4, first 2 shown]
	v_lshlrev_b32_e32 v15, 2, v14
	v_mov_b32_e32 v11, 0
	s_mov_b64 s[8:9], 0
	v_mov_b32_e32 v20, s11
	v_mov_b32_e32 v16, 0
	v_mov_b32_e32 v21, s13
	v_mov_b32_e32 v22, s15
	v_mov_b32_e32 v7, 0
	v_mov_b32_e32 v9, 0
	v_mov_b32_e32 v13, 0
	v_mov_b32_e32 v17, v14
.LBB39_9:                               ; =>This Inner Loop Header: Depth=1
	v_ashrrev_i32_e32 v18, 31, v17
	v_lshlrev_b64 v[23:24], 2, v[17:18]
	v_mov_b32_e32 v32, v16
	v_add_co_u32_e32 v23, vcc, s10, v23
	v_addc_co_u32_e32 v24, vcc, v20, v24, vcc
	global_load_dword v18, v[23:24], off
	v_lshlrev_b64 v[23:24], 3, v[15:16]
	v_add_u32_e32 v17, 16, v17
	v_add_co_u32_e32 v33, vcc, s12, v23
	v_addc_co_u32_e32 v34, vcc, v21, v24, vcc
	global_load_dwordx4 v[23:26], v[33:34], off
	global_load_dwordx4 v[27:30], v[33:34], off offset:16
	v_add_u32_e32 v15, 64, v15
	s_waitcnt vmcnt(2)
	v_subrev_u32_e32 v31, s2, v18
	v_lshlrev_b64 v[31:32], 3, v[31:32]
	v_add_co_u32_e32 v31, vcc, s14, v31
	v_addc_co_u32_e32 v32, vcc, v22, v32, vcc
	global_load_dwordx2 v[31:32], v[31:32], off
	v_cmp_ge_i32_e32 vcc, v17, v19
	s_or_b64 s[8:9], vcc, s[8:9]
	s_waitcnt vmcnt(0)
	v_fma_f64 v[10:11], v[23:24], v[31:32], v[10:11]
	v_fma_f64 v[12:13], v[25:26], v[31:32], v[12:13]
	;; [unrolled: 1-line block ×4, first 2 shown]
	s_andn2_b64 exec, exec, s[8:9]
	s_cbranch_execnz .LBB39_9
; %bb.10:
	s_or_b64 exec, exec, s[8:9]
.LBB39_11:
	s_or_b64 exec, exec, s[6:7]
	s_cbranch_execz .LBB39_13
	s_branch .LBB39_18
.LBB39_12:
                                        ; implicit-def: $vgpr10_vgpr11
                                        ; implicit-def: $vgpr6_vgpr7
                                        ; implicit-def: $vgpr8_vgpr9
                                        ; implicit-def: $vgpr12_vgpr13
.LBB39_13:
	v_mov_b32_e32 v10, 0
	v_mov_b32_e32 v6, 0
	v_mov_b32_e32 v8, 0
	v_mov_b32_e32 v12, 0
	v_mov_b32_e32 v11, 0
	v_mov_b32_e32 v7, 0
	v_mov_b32_e32 v9, 0
	v_mov_b32_e32 v13, 0
	s_and_saveexec_b64 s[6:7], s[0:1]
	s_cbranch_execz .LBB39_17
; %bb.14:
	v_mov_b32_e32 v10, 0
	v_mov_b32_e32 v6, 0
	;; [unrolled: 1-line block ×4, first 2 shown]
	v_lshlrev_b32_e32 v16, 2, v14
	v_mov_b32_e32 v11, 0
	s_mov_b64 s[0:1], 0
	v_mov_b32_e32 v18, s11
	v_mov_b32_e32 v17, 0
	;; [unrolled: 1-line block ×7, first 2 shown]
.LBB39_15:                              ; =>This Inner Loop Header: Depth=1
	v_ashrrev_i32_e32 v15, 31, v14
	v_lshlrev_b64 v[22:23], 2, v[14:15]
	v_mov_b32_e32 v31, v17
	v_add_co_u32_e32 v22, vcc, s10, v22
	v_addc_co_u32_e32 v23, vcc, v18, v23, vcc
	global_load_dword v15, v[22:23], off
	v_lshlrev_b64 v[22:23], 3, v[16:17]
	v_add_u32_e32 v14, 16, v14
	v_add_co_u32_e32 v32, vcc, s12, v22
	v_addc_co_u32_e32 v33, vcc, v20, v23, vcc
	global_load_dwordx4 v[22:25], v[32:33], off
	global_load_dwordx4 v[26:29], v[32:33], off offset:16
	v_add_u32_e32 v16, 64, v16
	s_waitcnt vmcnt(2)
	v_subrev_u32_e32 v30, s2, v15
	v_lshlrev_b64 v[30:31], 3, v[30:31]
	v_add_co_u32_e32 v30, vcc, s14, v30
	v_addc_co_u32_e32 v31, vcc, v21, v31, vcc
	global_load_dwordx2 v[30:31], v[30:31], off
	v_cmp_ge_i32_e32 vcc, v14, v19
	s_or_b64 s[0:1], vcc, s[0:1]
	s_waitcnt vmcnt(0)
	v_fma_f64 v[10:11], v[22:23], v[30:31], v[10:11]
	v_fma_f64 v[12:13], v[24:25], v[30:31], v[12:13]
	;; [unrolled: 1-line block ×4, first 2 shown]
	s_andn2_b64 exec, exec, s[0:1]
	s_cbranch_execnz .LBB39_15
; %bb.16:
	s_or_b64 exec, exec, s[0:1]
.LBB39_17:
	s_or_b64 exec, exec, s[6:7]
.LBB39_18:
	v_mov_b32_dpp v14, v10 row_shr:1 row_mask:0xf bank_mask:0xf
	v_mov_b32_dpp v15, v11 row_shr:1 row_mask:0xf bank_mask:0xf
	v_add_f64 v[10:11], v[10:11], v[14:15]
	v_mov_b32_dpp v14, v12 row_shr:1 row_mask:0xf bank_mask:0xf
	v_mov_b32_dpp v15, v13 row_shr:1 row_mask:0xf bank_mask:0xf
	;; [unrolled: 1-line block ×3, first 2 shown]
	v_add_f64 v[12:13], v[12:13], v[14:15]
	v_mov_b32_dpp v17, v9 row_shr:1 row_mask:0xf bank_mask:0xf
	v_add_f64 v[8:9], v[8:9], v[16:17]
	v_cmp_eq_u32_e32 vcc, 15, v0
	v_mov_b32_dpp v14, v10 row_shr:2 row_mask:0xf bank_mask:0xf
	v_mov_b32_dpp v15, v11 row_shr:2 row_mask:0xf bank_mask:0xf
	v_add_f64 v[10:11], v[10:11], v[14:15]
	v_mov_b32_dpp v14, v6 row_shr:1 row_mask:0xf bank_mask:0xf
	v_mov_b32_dpp v15, v7 row_shr:1 row_mask:0xf bank_mask:0xf
	v_add_f64 v[6:7], v[6:7], v[14:15]
	;; [unrolled: 3-line block ×4, first 2 shown]
	v_mov_b32_dpp v16, v10 row_shr:4 row_mask:0xf bank_mask:0xe
	v_mov_b32_dpp v8, v6 row_shr:2 row_mask:0xf bank_mask:0xf
	;; [unrolled: 1-line block ×3, first 2 shown]
	v_add_f64 v[18:19], v[6:7], v[8:9]
	v_mov_b32_dpp v17, v11 row_shr:4 row_mask:0xf bank_mask:0xe
	v_add_f64 v[6:7], v[10:11], v[16:17]
	v_mov_b32_dpp v8, v12 row_shr:4 row_mask:0xf bank_mask:0xe
	v_mov_b32_dpp v10, v14 row_shr:4 row_mask:0xf bank_mask:0xe
	;; [unrolled: 1-line block ×4, first 2 shown]
	v_add_f64 v[14:15], v[14:15], v[10:11]
	v_mov_b32_dpp v10, v18 row_shr:4 row_mask:0xf bank_mask:0xe
	v_mov_b32_dpp v11, v19 row_shr:4 row_mask:0xf bank_mask:0xe
	v_add_f64 v[8:9], v[12:13], v[8:9]
	v_add_f64 v[16:17], v[18:19], v[10:11]
	v_mov_b32_dpp v12, v6 row_shr:8 row_mask:0xf bank_mask:0xc
	v_mov_b32_dpp v13, v7 row_shr:8 row_mask:0xf bank_mask:0xc
	;; [unrolled: 1-line block ×8, first 2 shown]
	s_and_b64 exec, exec, vcc
	s_cbranch_execz .LBB39_23
; %bb.19:
	v_add_f64 v[12:13], v[6:7], v[12:13]
	v_add_f64 v[10:11], v[8:9], v[10:11]
	;; [unrolled: 1-line block ×4, first 2 shown]
	v_cmp_eq_f64_e32 vcc, 0, v[3:4]
	s_load_dwordx2 s[0:1], s[4:5], 0x38
	s_and_saveexec_b64 s[2:3], vcc
	s_xor_b64 s[2:3], exec, s[2:3]
	s_cbranch_execz .LBB39_21
; %bb.20:
	v_mul_f64 v[12:13], v[1:2], v[12:13]
	v_mul_f64 v[14:15], v[1:2], v[10:11]
	v_lshlrev_b32_e32 v16, 2, v5
	v_mul_f64 v[3:4], v[1:2], v[6:7]
	v_mul_f64 v[5:6], v[1:2], v[8:9]
	v_ashrrev_i32_e32 v17, 31, v16
	v_lshlrev_b64 v[0:1], 3, v[16:17]
	s_waitcnt lgkmcnt(0)
	v_mov_b32_e32 v2, s1
	v_add_co_u32_e32 v0, vcc, s0, v0
	v_addc_co_u32_e32 v1, vcc, v2, v1, vcc
	global_store_dwordx4 v[0:1], v[12:15], off
	global_store_dwordx4 v[0:1], v[3:6], off offset:16
                                        ; implicit-def: $vgpr5
                                        ; implicit-def: $vgpr1_vgpr2
                                        ; implicit-def: $vgpr12_vgpr13
                                        ; implicit-def: $vgpr3_vgpr4
                                        ; implicit-def: $vgpr10_vgpr11
                                        ; implicit-def: $vgpr6_vgpr7
                                        ; implicit-def: $vgpr8_vgpr9
.LBB39_21:
	s_andn2_saveexec_b64 s[2:3], s[2:3]
	s_cbranch_execz .LBB39_23
; %bb.22:
	v_lshlrev_b32_e32 v14, 2, v5
	v_ashrrev_i32_e32 v15, 31, v14
	v_lshlrev_b64 v[14:15], 3, v[14:15]
	s_waitcnt lgkmcnt(0)
	v_mov_b32_e32 v0, s1
	v_add_co_u32_e32 v22, vcc, s0, v14
	v_addc_co_u32_e32 v23, vcc, v0, v15, vcc
	global_load_dwordx4 v[14:17], v[22:23], off
	global_load_dwordx4 v[18:21], v[22:23], off offset:16
	v_mul_f64 v[12:13], v[1:2], v[12:13]
	v_mul_f64 v[10:11], v[1:2], v[10:11]
	;; [unrolled: 1-line block ×4, first 2 shown]
	s_waitcnt vmcnt(1)
	v_fma_f64 v[5:6], v[3:4], v[14:15], v[12:13]
	v_fma_f64 v[7:8], v[3:4], v[16:17], v[10:11]
	s_waitcnt vmcnt(0)
	v_fma_f64 v[0:1], v[3:4], v[18:19], v[24:25]
	v_fma_f64 v[2:3], v[3:4], v[20:21], v[26:27]
	global_store_dwordx4 v[22:23], v[5:8], off
	global_store_dwordx4 v[22:23], v[0:3], off offset:16
.LBB39_23:
	s_endpgm
	.section	.rodata,"a",@progbits
	.p2align	6, 0x0
	.amdhsa_kernel _ZN9rocsparseL19gebsrmvn_4xn_kernelILj128ELj1ELj16EdEEvi20rocsparse_direction_NS_24const_host_device_scalarIT2_EEPKiS6_PKS3_S8_S4_PS3_21rocsparse_index_base_b
		.amdhsa_group_segment_fixed_size 0
		.amdhsa_private_segment_fixed_size 0
		.amdhsa_kernarg_size 72
		.amdhsa_user_sgpr_count 6
		.amdhsa_user_sgpr_private_segment_buffer 1
		.amdhsa_user_sgpr_dispatch_ptr 0
		.amdhsa_user_sgpr_queue_ptr 0
		.amdhsa_user_sgpr_kernarg_segment_ptr 1
		.amdhsa_user_sgpr_dispatch_id 0
		.amdhsa_user_sgpr_flat_scratch_init 0
		.amdhsa_user_sgpr_private_segment_size 0
		.amdhsa_uses_dynamic_stack 0
		.amdhsa_system_sgpr_private_segment_wavefront_offset 0
		.amdhsa_system_sgpr_workgroup_id_x 1
		.amdhsa_system_sgpr_workgroup_id_y 0
		.amdhsa_system_sgpr_workgroup_id_z 0
		.amdhsa_system_sgpr_workgroup_info 0
		.amdhsa_system_vgpr_workitem_id 0
		.amdhsa_next_free_vgpr 35
		.amdhsa_next_free_sgpr 16
		.amdhsa_reserve_vcc 1
		.amdhsa_reserve_flat_scratch 0
		.amdhsa_float_round_mode_32 0
		.amdhsa_float_round_mode_16_64 0
		.amdhsa_float_denorm_mode_32 3
		.amdhsa_float_denorm_mode_16_64 3
		.amdhsa_dx10_clamp 1
		.amdhsa_ieee_mode 1
		.amdhsa_fp16_overflow 0
		.amdhsa_exception_fp_ieee_invalid_op 0
		.amdhsa_exception_fp_denorm_src 0
		.amdhsa_exception_fp_ieee_div_zero 0
		.amdhsa_exception_fp_ieee_overflow 0
		.amdhsa_exception_fp_ieee_underflow 0
		.amdhsa_exception_fp_ieee_inexact 0
		.amdhsa_exception_int_div_zero 0
	.end_amdhsa_kernel
	.section	.text._ZN9rocsparseL19gebsrmvn_4xn_kernelILj128ELj1ELj16EdEEvi20rocsparse_direction_NS_24const_host_device_scalarIT2_EEPKiS6_PKS3_S8_S4_PS3_21rocsparse_index_base_b,"axG",@progbits,_ZN9rocsparseL19gebsrmvn_4xn_kernelILj128ELj1ELj16EdEEvi20rocsparse_direction_NS_24const_host_device_scalarIT2_EEPKiS6_PKS3_S8_S4_PS3_21rocsparse_index_base_b,comdat
.Lfunc_end39:
	.size	_ZN9rocsparseL19gebsrmvn_4xn_kernelILj128ELj1ELj16EdEEvi20rocsparse_direction_NS_24const_host_device_scalarIT2_EEPKiS6_PKS3_S8_S4_PS3_21rocsparse_index_base_b, .Lfunc_end39-_ZN9rocsparseL19gebsrmvn_4xn_kernelILj128ELj1ELj16EdEEvi20rocsparse_direction_NS_24const_host_device_scalarIT2_EEPKiS6_PKS3_S8_S4_PS3_21rocsparse_index_base_b
                                        ; -- End function
	.set _ZN9rocsparseL19gebsrmvn_4xn_kernelILj128ELj1ELj16EdEEvi20rocsparse_direction_NS_24const_host_device_scalarIT2_EEPKiS6_PKS3_S8_S4_PS3_21rocsparse_index_base_b.num_vgpr, 35
	.set _ZN9rocsparseL19gebsrmvn_4xn_kernelILj128ELj1ELj16EdEEvi20rocsparse_direction_NS_24const_host_device_scalarIT2_EEPKiS6_PKS3_S8_S4_PS3_21rocsparse_index_base_b.num_agpr, 0
	.set _ZN9rocsparseL19gebsrmvn_4xn_kernelILj128ELj1ELj16EdEEvi20rocsparse_direction_NS_24const_host_device_scalarIT2_EEPKiS6_PKS3_S8_S4_PS3_21rocsparse_index_base_b.numbered_sgpr, 16
	.set _ZN9rocsparseL19gebsrmvn_4xn_kernelILj128ELj1ELj16EdEEvi20rocsparse_direction_NS_24const_host_device_scalarIT2_EEPKiS6_PKS3_S8_S4_PS3_21rocsparse_index_base_b.num_named_barrier, 0
	.set _ZN9rocsparseL19gebsrmvn_4xn_kernelILj128ELj1ELj16EdEEvi20rocsparse_direction_NS_24const_host_device_scalarIT2_EEPKiS6_PKS3_S8_S4_PS3_21rocsparse_index_base_b.private_seg_size, 0
	.set _ZN9rocsparseL19gebsrmvn_4xn_kernelILj128ELj1ELj16EdEEvi20rocsparse_direction_NS_24const_host_device_scalarIT2_EEPKiS6_PKS3_S8_S4_PS3_21rocsparse_index_base_b.uses_vcc, 1
	.set _ZN9rocsparseL19gebsrmvn_4xn_kernelILj128ELj1ELj16EdEEvi20rocsparse_direction_NS_24const_host_device_scalarIT2_EEPKiS6_PKS3_S8_S4_PS3_21rocsparse_index_base_b.uses_flat_scratch, 0
	.set _ZN9rocsparseL19gebsrmvn_4xn_kernelILj128ELj1ELj16EdEEvi20rocsparse_direction_NS_24const_host_device_scalarIT2_EEPKiS6_PKS3_S8_S4_PS3_21rocsparse_index_base_b.has_dyn_sized_stack, 0
	.set _ZN9rocsparseL19gebsrmvn_4xn_kernelILj128ELj1ELj16EdEEvi20rocsparse_direction_NS_24const_host_device_scalarIT2_EEPKiS6_PKS3_S8_S4_PS3_21rocsparse_index_base_b.has_recursion, 0
	.set _ZN9rocsparseL19gebsrmvn_4xn_kernelILj128ELj1ELj16EdEEvi20rocsparse_direction_NS_24const_host_device_scalarIT2_EEPKiS6_PKS3_S8_S4_PS3_21rocsparse_index_base_b.has_indirect_call, 0
	.section	.AMDGPU.csdata,"",@progbits
; Kernel info:
; codeLenInByte = 1428
; TotalNumSgprs: 20
; NumVgprs: 35
; ScratchSize: 0
; MemoryBound: 0
; FloatMode: 240
; IeeeMode: 1
; LDSByteSize: 0 bytes/workgroup (compile time only)
; SGPRBlocks: 2
; VGPRBlocks: 8
; NumSGPRsForWavesPerEU: 20
; NumVGPRsForWavesPerEU: 35
; Occupancy: 7
; WaveLimiterHint : 1
; COMPUTE_PGM_RSRC2:SCRATCH_EN: 0
; COMPUTE_PGM_RSRC2:USER_SGPR: 6
; COMPUTE_PGM_RSRC2:TRAP_HANDLER: 0
; COMPUTE_PGM_RSRC2:TGID_X_EN: 1
; COMPUTE_PGM_RSRC2:TGID_Y_EN: 0
; COMPUTE_PGM_RSRC2:TGID_Z_EN: 0
; COMPUTE_PGM_RSRC2:TIDIG_COMP_CNT: 0
	.section	.text._ZN9rocsparseL19gebsrmvn_4xn_kernelILj128ELj1ELj32EdEEvi20rocsparse_direction_NS_24const_host_device_scalarIT2_EEPKiS6_PKS3_S8_S4_PS3_21rocsparse_index_base_b,"axG",@progbits,_ZN9rocsparseL19gebsrmvn_4xn_kernelILj128ELj1ELj32EdEEvi20rocsparse_direction_NS_24const_host_device_scalarIT2_EEPKiS6_PKS3_S8_S4_PS3_21rocsparse_index_base_b,comdat
	.globl	_ZN9rocsparseL19gebsrmvn_4xn_kernelILj128ELj1ELj32EdEEvi20rocsparse_direction_NS_24const_host_device_scalarIT2_EEPKiS6_PKS3_S8_S4_PS3_21rocsparse_index_base_b ; -- Begin function _ZN9rocsparseL19gebsrmvn_4xn_kernelILj128ELj1ELj32EdEEvi20rocsparse_direction_NS_24const_host_device_scalarIT2_EEPKiS6_PKS3_S8_S4_PS3_21rocsparse_index_base_b
	.p2align	8
	.type	_ZN9rocsparseL19gebsrmvn_4xn_kernelILj128ELj1ELj32EdEEvi20rocsparse_direction_NS_24const_host_device_scalarIT2_EEPKiS6_PKS3_S8_S4_PS3_21rocsparse_index_base_b,@function
_ZN9rocsparseL19gebsrmvn_4xn_kernelILj128ELj1ELj32EdEEvi20rocsparse_direction_NS_24const_host_device_scalarIT2_EEPKiS6_PKS3_S8_S4_PS3_21rocsparse_index_base_b: ; @_ZN9rocsparseL19gebsrmvn_4xn_kernelILj128ELj1ELj32EdEEvi20rocsparse_direction_NS_24const_host_device_scalarIT2_EEPKiS6_PKS3_S8_S4_PS3_21rocsparse_index_base_b
; %bb.0:
	s_load_dwordx2 s[2:3], s[4:5], 0x40
	s_load_dwordx2 s[10:11], s[4:5], 0x8
	;; [unrolled: 1-line block ×3, first 2 shown]
	s_waitcnt lgkmcnt(0)
	s_bitcmp1_b32 s3, 0
	s_cselect_b64 s[12:13], -1, 0
	v_mov_b32_e32 v1, s10
	s_xor_b64 s[8:9], s[12:13], -1
	s_and_b64 vcc, exec, s[12:13]
	v_mov_b32_e32 v2, s11
	s_cbranch_vccnz .LBB40_2
; %bb.1:
	v_mov_b32_e32 v1, s10
	v_mov_b32_e32 v2, s11
	flat_load_dwordx2 v[1:2], v[1:2]
.LBB40_2:
	v_mov_b32_e32 v4, s1
	s_andn2_b64 vcc, exec, s[8:9]
	v_mov_b32_e32 v3, s0
	s_cbranch_vccnz .LBB40_4
; %bb.3:
	v_mov_b32_e32 v4, s1
	v_mov_b32_e32 v3, s0
	flat_load_dwordx2 v[3:4], v[3:4]
.LBB40_4:
	s_waitcnt vmcnt(0) lgkmcnt(0)
	v_cmp_neq_f64_e32 vcc, 0, v[1:2]
	v_cmp_neq_f64_e64 s[0:1], 1.0, v[3:4]
	s_or_b64 s[0:1], vcc, s[0:1]
	s_and_saveexec_b64 s[8:9], s[0:1]
	s_cbranch_execz .LBB40_23
; %bb.5:
	s_load_dwordx2 s[0:1], s[4:5], 0x0
	v_lshrrev_b32_e32 v5, 5, v0
	v_lshl_or_b32 v5, s6, 2, v5
	s_waitcnt lgkmcnt(0)
	v_cmp_gt_i32_e32 vcc, s0, v5
	s_and_b64 exec, exec, vcc
	s_cbranch_execz .LBB40_23
; %bb.6:
	s_load_dwordx8 s[8:15], s[4:5], 0x10
	v_ashrrev_i32_e32 v6, 31, v5
	v_lshlrev_b64 v[6:7], 2, v[5:6]
	v_and_b32_e32 v0, 31, v0
	s_cmp_lg_u32 s1, 0
	s_waitcnt lgkmcnt(0)
	v_mov_b32_e32 v8, s9
	v_add_co_u32_e32 v6, vcc, s8, v6
	v_addc_co_u32_e32 v7, vcc, v8, v7, vcc
	global_load_dwordx2 v[6:7], v[6:7], off
	s_waitcnt vmcnt(0)
	v_subrev_u32_e32 v6, s2, v6
	v_subrev_u32_e32 v19, s2, v7
	v_add_u32_e32 v14, v6, v0
	v_cmp_lt_i32_e64 s[0:1], v14, v19
	s_cbranch_scc0 .LBB40_12
; %bb.7:
	v_mov_b32_e32 v12, 0
	v_mov_b32_e32 v6, 0
	v_mov_b32_e32 v8, 0
	v_mov_b32_e32 v10, 0
	v_mov_b32_e32 v13, 0
	v_mov_b32_e32 v7, 0
	v_mov_b32_e32 v9, 0
	v_mov_b32_e32 v11, 0
	s_and_saveexec_b64 s[6:7], s[0:1]
	s_cbranch_execz .LBB40_11
; %bb.8:
	v_mov_b32_e32 v12, 0
	v_mov_b32_e32 v6, 0
	;; [unrolled: 1-line block ×4, first 2 shown]
	v_lshlrev_b32_e32 v15, 2, v14
	v_mov_b32_e32 v13, 0
	s_mov_b64 s[8:9], 0
	v_mov_b32_e32 v20, s11
	v_mov_b32_e32 v16, 0
	;; [unrolled: 1-line block ×8, first 2 shown]
.LBB40_9:                               ; =>This Inner Loop Header: Depth=1
	v_ashrrev_i32_e32 v18, 31, v17
	v_lshlrev_b64 v[23:24], 2, v[17:18]
	v_mov_b32_e32 v32, v16
	v_add_co_u32_e32 v23, vcc, s10, v23
	v_addc_co_u32_e32 v24, vcc, v20, v24, vcc
	global_load_dword v18, v[23:24], off
	v_lshlrev_b64 v[23:24], 3, v[15:16]
	v_add_u32_e32 v17, 32, v17
	v_add_co_u32_e32 v33, vcc, s12, v23
	v_addc_co_u32_e32 v34, vcc, v21, v24, vcc
	global_load_dwordx4 v[23:26], v[33:34], off
	global_load_dwordx4 v[27:30], v[33:34], off offset:16
	v_add_u32_e32 v15, 0x80, v15
	s_waitcnt vmcnt(2)
	v_subrev_u32_e32 v31, s2, v18
	v_lshlrev_b64 v[31:32], 3, v[31:32]
	v_add_co_u32_e32 v31, vcc, s14, v31
	v_addc_co_u32_e32 v32, vcc, v22, v32, vcc
	global_load_dwordx2 v[31:32], v[31:32], off
	v_cmp_ge_i32_e32 vcc, v17, v19
	s_or_b64 s[8:9], vcc, s[8:9]
	s_waitcnt vmcnt(0)
	v_fma_f64 v[12:13], v[23:24], v[31:32], v[12:13]
	v_fma_f64 v[10:11], v[25:26], v[31:32], v[10:11]
	;; [unrolled: 1-line block ×4, first 2 shown]
	s_andn2_b64 exec, exec, s[8:9]
	s_cbranch_execnz .LBB40_9
; %bb.10:
	s_or_b64 exec, exec, s[8:9]
.LBB40_11:
	s_or_b64 exec, exec, s[6:7]
	s_cbranch_execz .LBB40_13
	s_branch .LBB40_18
.LBB40_12:
                                        ; implicit-def: $vgpr12_vgpr13
                                        ; implicit-def: $vgpr6_vgpr7
                                        ; implicit-def: $vgpr8_vgpr9
                                        ; implicit-def: $vgpr10_vgpr11
.LBB40_13:
	v_mov_b32_e32 v12, 0
	v_mov_b32_e32 v6, 0
	;; [unrolled: 1-line block ×8, first 2 shown]
	s_and_saveexec_b64 s[6:7], s[0:1]
	s_cbranch_execz .LBB40_17
; %bb.14:
	v_mov_b32_e32 v12, 0
	v_mov_b32_e32 v6, 0
	;; [unrolled: 1-line block ×4, first 2 shown]
	v_lshlrev_b32_e32 v16, 2, v14
	v_mov_b32_e32 v13, 0
	s_mov_b64 s[0:1], 0
	v_mov_b32_e32 v18, s11
	v_mov_b32_e32 v17, 0
	v_mov_b32_e32 v20, s13
	v_mov_b32_e32 v7, 0
	v_mov_b32_e32 v9, 0
	v_mov_b32_e32 v11, 0
	v_mov_b32_e32 v21, s15
.LBB40_15:                              ; =>This Inner Loop Header: Depth=1
	v_ashrrev_i32_e32 v15, 31, v14
	v_lshlrev_b64 v[22:23], 2, v[14:15]
	v_mov_b32_e32 v31, v17
	v_add_co_u32_e32 v22, vcc, s10, v22
	v_addc_co_u32_e32 v23, vcc, v18, v23, vcc
	global_load_dword v15, v[22:23], off
	v_lshlrev_b64 v[22:23], 3, v[16:17]
	v_add_u32_e32 v14, 32, v14
	v_add_co_u32_e32 v32, vcc, s12, v22
	v_addc_co_u32_e32 v33, vcc, v20, v23, vcc
	global_load_dwordx4 v[22:25], v[32:33], off
	global_load_dwordx4 v[26:29], v[32:33], off offset:16
	v_add_u32_e32 v16, 0x80, v16
	s_waitcnt vmcnt(2)
	v_subrev_u32_e32 v30, s2, v15
	v_lshlrev_b64 v[30:31], 3, v[30:31]
	v_add_co_u32_e32 v30, vcc, s14, v30
	v_addc_co_u32_e32 v31, vcc, v21, v31, vcc
	global_load_dwordx2 v[30:31], v[30:31], off
	v_cmp_ge_i32_e32 vcc, v14, v19
	s_or_b64 s[0:1], vcc, s[0:1]
	s_waitcnt vmcnt(0)
	v_fma_f64 v[12:13], v[22:23], v[30:31], v[12:13]
	v_fma_f64 v[10:11], v[24:25], v[30:31], v[10:11]
	;; [unrolled: 1-line block ×4, first 2 shown]
	s_andn2_b64 exec, exec, s[0:1]
	s_cbranch_execnz .LBB40_15
; %bb.16:
	s_or_b64 exec, exec, s[0:1]
.LBB40_17:
	s_or_b64 exec, exec, s[6:7]
.LBB40_18:
	v_mov_b32_dpp v14, v12 row_shr:1 row_mask:0xf bank_mask:0xf
	v_mov_b32_dpp v15, v13 row_shr:1 row_mask:0xf bank_mask:0xf
	v_add_f64 v[12:13], v[12:13], v[14:15]
	v_mov_b32_dpp v14, v10 row_shr:1 row_mask:0xf bank_mask:0xf
	v_mov_b32_dpp v15, v11 row_shr:1 row_mask:0xf bank_mask:0xf
	v_add_f64 v[10:11], v[10:11], v[14:15]
	;; [unrolled: 3-line block ×3, first 2 shown]
	v_cmp_eq_u32_e32 vcc, 31, v0
	v_mov_b32_dpp v14, v12 row_shr:2 row_mask:0xf bank_mask:0xf
	v_mov_b32_dpp v15, v13 row_shr:2 row_mask:0xf bank_mask:0xf
	v_add_f64 v[12:13], v[12:13], v[14:15]
	v_mov_b32_dpp v14, v6 row_shr:1 row_mask:0xf bank_mask:0xf
	v_mov_b32_dpp v15, v7 row_shr:1 row_mask:0xf bank_mask:0xf
	v_add_f64 v[6:7], v[6:7], v[14:15]
	;; [unrolled: 3-line block ×4, first 2 shown]
	v_mov_b32_dpp v16, v8 row_shr:2 row_mask:0xf bank_mask:0xf
	v_mov_b32_dpp v17, v9 row_shr:2 row_mask:0xf bank_mask:0xf
	;; [unrolled: 1-line block ×3, first 2 shown]
	v_add_f64 v[8:9], v[8:9], v[16:17]
	v_mov_b32_dpp v15, v7 row_shr:2 row_mask:0xf bank_mask:0xf
	v_add_f64 v[6:7], v[6:7], v[14:15]
	v_mov_b32_dpp v16, v10 row_shr:4 row_mask:0xf bank_mask:0xe
	v_mov_b32_dpp v17, v11 row_shr:4 row_mask:0xf bank_mask:0xe
	v_add_f64 v[10:11], v[10:11], v[16:17]
	v_mov_b32_dpp v14, v12 row_shr:8 row_mask:0xf bank_mask:0xc
	v_mov_b32_dpp v15, v13 row_shr:8 row_mask:0xf bank_mask:0xc
	;; [unrolled: 1-line block ×4, first 2 shown]
	v_add_f64 v[16:17], v[8:9], v[16:17]
	v_mov_b32_dpp v8, v6 row_shr:4 row_mask:0xf bank_mask:0xe
	v_mov_b32_dpp v9, v7 row_shr:4 row_mask:0xf bank_mask:0xe
	v_add_f64 v[18:19], v[6:7], v[8:9]
	v_mov_b32_dpp v8, v10 row_shr:8 row_mask:0xf bank_mask:0xc
	v_mov_b32_dpp v9, v11 row_shr:8 row_mask:0xf bank_mask:0xc
	v_add_f64 v[8:9], v[10:11], v[8:9]
	v_add_f64 v[6:7], v[12:13], v[14:15]
	v_mov_b32_dpp v10, v16 row_shr:8 row_mask:0xf bank_mask:0xc
	v_mov_b32_dpp v11, v17 row_shr:8 row_mask:0xf bank_mask:0xc
	v_add_f64 v[14:15], v[16:17], v[10:11]
	v_mov_b32_dpp v10, v18 row_shr:8 row_mask:0xf bank_mask:0xc
	v_mov_b32_dpp v11, v19 row_shr:8 row_mask:0xf bank_mask:0xc
	v_add_f64 v[16:17], v[18:19], v[10:11]
	v_mov_b32_dpp v10, v8 row_bcast:15 row_mask:0xa bank_mask:0xf
	v_mov_b32_dpp v12, v6 row_bcast:15 row_mask:0xa bank_mask:0xf
	;; [unrolled: 1-line block ×8, first 2 shown]
	s_and_b64 exec, exec, vcc
	s_cbranch_execz .LBB40_23
; %bb.19:
	v_add_f64 v[12:13], v[6:7], v[12:13]
	v_add_f64 v[10:11], v[8:9], v[10:11]
	;; [unrolled: 1-line block ×4, first 2 shown]
	v_cmp_eq_f64_e32 vcc, 0, v[3:4]
	s_load_dwordx2 s[0:1], s[4:5], 0x38
	s_and_saveexec_b64 s[2:3], vcc
	s_xor_b64 s[2:3], exec, s[2:3]
	s_cbranch_execz .LBB40_21
; %bb.20:
	v_mul_f64 v[12:13], v[1:2], v[12:13]
	v_mul_f64 v[14:15], v[1:2], v[10:11]
	v_lshlrev_b32_e32 v16, 2, v5
	v_mul_f64 v[3:4], v[1:2], v[6:7]
	v_mul_f64 v[5:6], v[1:2], v[8:9]
	v_ashrrev_i32_e32 v17, 31, v16
	v_lshlrev_b64 v[0:1], 3, v[16:17]
	s_waitcnt lgkmcnt(0)
	v_mov_b32_e32 v2, s1
	v_add_co_u32_e32 v0, vcc, s0, v0
	v_addc_co_u32_e32 v1, vcc, v2, v1, vcc
	global_store_dwordx4 v[0:1], v[12:15], off
	global_store_dwordx4 v[0:1], v[3:6], off offset:16
                                        ; implicit-def: $vgpr5
                                        ; implicit-def: $vgpr1_vgpr2
                                        ; implicit-def: $vgpr12_vgpr13
                                        ; implicit-def: $vgpr3_vgpr4
                                        ; implicit-def: $vgpr10_vgpr11
                                        ; implicit-def: $vgpr6_vgpr7
                                        ; implicit-def: $vgpr8_vgpr9
.LBB40_21:
	s_andn2_saveexec_b64 s[2:3], s[2:3]
	s_cbranch_execz .LBB40_23
; %bb.22:
	v_lshlrev_b32_e32 v14, 2, v5
	v_ashrrev_i32_e32 v15, 31, v14
	v_lshlrev_b64 v[14:15], 3, v[14:15]
	s_waitcnt lgkmcnt(0)
	v_mov_b32_e32 v0, s1
	v_add_co_u32_e32 v22, vcc, s0, v14
	v_addc_co_u32_e32 v23, vcc, v0, v15, vcc
	global_load_dwordx4 v[14:17], v[22:23], off
	global_load_dwordx4 v[18:21], v[22:23], off offset:16
	v_mul_f64 v[12:13], v[1:2], v[12:13]
	v_mul_f64 v[10:11], v[1:2], v[10:11]
	;; [unrolled: 1-line block ×4, first 2 shown]
	s_waitcnt vmcnt(1)
	v_fma_f64 v[5:6], v[3:4], v[14:15], v[12:13]
	v_fma_f64 v[7:8], v[3:4], v[16:17], v[10:11]
	s_waitcnt vmcnt(0)
	v_fma_f64 v[0:1], v[3:4], v[18:19], v[24:25]
	v_fma_f64 v[2:3], v[3:4], v[20:21], v[26:27]
	global_store_dwordx4 v[22:23], v[5:8], off
	global_store_dwordx4 v[22:23], v[0:3], off offset:16
.LBB40_23:
	s_endpgm
	.section	.rodata,"a",@progbits
	.p2align	6, 0x0
	.amdhsa_kernel _ZN9rocsparseL19gebsrmvn_4xn_kernelILj128ELj1ELj32EdEEvi20rocsparse_direction_NS_24const_host_device_scalarIT2_EEPKiS6_PKS3_S8_S4_PS3_21rocsparse_index_base_b
		.amdhsa_group_segment_fixed_size 0
		.amdhsa_private_segment_fixed_size 0
		.amdhsa_kernarg_size 72
		.amdhsa_user_sgpr_count 6
		.amdhsa_user_sgpr_private_segment_buffer 1
		.amdhsa_user_sgpr_dispatch_ptr 0
		.amdhsa_user_sgpr_queue_ptr 0
		.amdhsa_user_sgpr_kernarg_segment_ptr 1
		.amdhsa_user_sgpr_dispatch_id 0
		.amdhsa_user_sgpr_flat_scratch_init 0
		.amdhsa_user_sgpr_private_segment_size 0
		.amdhsa_uses_dynamic_stack 0
		.amdhsa_system_sgpr_private_segment_wavefront_offset 0
		.amdhsa_system_sgpr_workgroup_id_x 1
		.amdhsa_system_sgpr_workgroup_id_y 0
		.amdhsa_system_sgpr_workgroup_id_z 0
		.amdhsa_system_sgpr_workgroup_info 0
		.amdhsa_system_vgpr_workitem_id 0
		.amdhsa_next_free_vgpr 35
		.amdhsa_next_free_sgpr 16
		.amdhsa_reserve_vcc 1
		.amdhsa_reserve_flat_scratch 0
		.amdhsa_float_round_mode_32 0
		.amdhsa_float_round_mode_16_64 0
		.amdhsa_float_denorm_mode_32 3
		.amdhsa_float_denorm_mode_16_64 3
		.amdhsa_dx10_clamp 1
		.amdhsa_ieee_mode 1
		.amdhsa_fp16_overflow 0
		.amdhsa_exception_fp_ieee_invalid_op 0
		.amdhsa_exception_fp_denorm_src 0
		.amdhsa_exception_fp_ieee_div_zero 0
		.amdhsa_exception_fp_ieee_overflow 0
		.amdhsa_exception_fp_ieee_underflow 0
		.amdhsa_exception_fp_ieee_inexact 0
		.amdhsa_exception_int_div_zero 0
	.end_amdhsa_kernel
	.section	.text._ZN9rocsparseL19gebsrmvn_4xn_kernelILj128ELj1ELj32EdEEvi20rocsparse_direction_NS_24const_host_device_scalarIT2_EEPKiS6_PKS3_S8_S4_PS3_21rocsparse_index_base_b,"axG",@progbits,_ZN9rocsparseL19gebsrmvn_4xn_kernelILj128ELj1ELj32EdEEvi20rocsparse_direction_NS_24const_host_device_scalarIT2_EEPKiS6_PKS3_S8_S4_PS3_21rocsparse_index_base_b,comdat
.Lfunc_end40:
	.size	_ZN9rocsparseL19gebsrmvn_4xn_kernelILj128ELj1ELj32EdEEvi20rocsparse_direction_NS_24const_host_device_scalarIT2_EEPKiS6_PKS3_S8_S4_PS3_21rocsparse_index_base_b, .Lfunc_end40-_ZN9rocsparseL19gebsrmvn_4xn_kernelILj128ELj1ELj32EdEEvi20rocsparse_direction_NS_24const_host_device_scalarIT2_EEPKiS6_PKS3_S8_S4_PS3_21rocsparse_index_base_b
                                        ; -- End function
	.set _ZN9rocsparseL19gebsrmvn_4xn_kernelILj128ELj1ELj32EdEEvi20rocsparse_direction_NS_24const_host_device_scalarIT2_EEPKiS6_PKS3_S8_S4_PS3_21rocsparse_index_base_b.num_vgpr, 35
	.set _ZN9rocsparseL19gebsrmvn_4xn_kernelILj128ELj1ELj32EdEEvi20rocsparse_direction_NS_24const_host_device_scalarIT2_EEPKiS6_PKS3_S8_S4_PS3_21rocsparse_index_base_b.num_agpr, 0
	.set _ZN9rocsparseL19gebsrmvn_4xn_kernelILj128ELj1ELj32EdEEvi20rocsparse_direction_NS_24const_host_device_scalarIT2_EEPKiS6_PKS3_S8_S4_PS3_21rocsparse_index_base_b.numbered_sgpr, 16
	.set _ZN9rocsparseL19gebsrmvn_4xn_kernelILj128ELj1ELj32EdEEvi20rocsparse_direction_NS_24const_host_device_scalarIT2_EEPKiS6_PKS3_S8_S4_PS3_21rocsparse_index_base_b.num_named_barrier, 0
	.set _ZN9rocsparseL19gebsrmvn_4xn_kernelILj128ELj1ELj32EdEEvi20rocsparse_direction_NS_24const_host_device_scalarIT2_EEPKiS6_PKS3_S8_S4_PS3_21rocsparse_index_base_b.private_seg_size, 0
	.set _ZN9rocsparseL19gebsrmvn_4xn_kernelILj128ELj1ELj32EdEEvi20rocsparse_direction_NS_24const_host_device_scalarIT2_EEPKiS6_PKS3_S8_S4_PS3_21rocsparse_index_base_b.uses_vcc, 1
	.set _ZN9rocsparseL19gebsrmvn_4xn_kernelILj128ELj1ELj32EdEEvi20rocsparse_direction_NS_24const_host_device_scalarIT2_EEPKiS6_PKS3_S8_S4_PS3_21rocsparse_index_base_b.uses_flat_scratch, 0
	.set _ZN9rocsparseL19gebsrmvn_4xn_kernelILj128ELj1ELj32EdEEvi20rocsparse_direction_NS_24const_host_device_scalarIT2_EEPKiS6_PKS3_S8_S4_PS3_21rocsparse_index_base_b.has_dyn_sized_stack, 0
	.set _ZN9rocsparseL19gebsrmvn_4xn_kernelILj128ELj1ELj32EdEEvi20rocsparse_direction_NS_24const_host_device_scalarIT2_EEPKiS6_PKS3_S8_S4_PS3_21rocsparse_index_base_b.has_recursion, 0
	.set _ZN9rocsparseL19gebsrmvn_4xn_kernelILj128ELj1ELj32EdEEvi20rocsparse_direction_NS_24const_host_device_scalarIT2_EEPKiS6_PKS3_S8_S4_PS3_21rocsparse_index_base_b.has_indirect_call, 0
	.section	.AMDGPU.csdata,"",@progbits
; Kernel info:
; codeLenInByte = 1532
; TotalNumSgprs: 20
; NumVgprs: 35
; ScratchSize: 0
; MemoryBound: 0
; FloatMode: 240
; IeeeMode: 1
; LDSByteSize: 0 bytes/workgroup (compile time only)
; SGPRBlocks: 2
; VGPRBlocks: 8
; NumSGPRsForWavesPerEU: 20
; NumVGPRsForWavesPerEU: 35
; Occupancy: 7
; WaveLimiterHint : 1
; COMPUTE_PGM_RSRC2:SCRATCH_EN: 0
; COMPUTE_PGM_RSRC2:USER_SGPR: 6
; COMPUTE_PGM_RSRC2:TRAP_HANDLER: 0
; COMPUTE_PGM_RSRC2:TGID_X_EN: 1
; COMPUTE_PGM_RSRC2:TGID_Y_EN: 0
; COMPUTE_PGM_RSRC2:TGID_Z_EN: 0
; COMPUTE_PGM_RSRC2:TIDIG_COMP_CNT: 0
	.section	.text._ZN9rocsparseL19gebsrmvn_4xn_kernelILj128ELj1ELj64EdEEvi20rocsparse_direction_NS_24const_host_device_scalarIT2_EEPKiS6_PKS3_S8_S4_PS3_21rocsparse_index_base_b,"axG",@progbits,_ZN9rocsparseL19gebsrmvn_4xn_kernelILj128ELj1ELj64EdEEvi20rocsparse_direction_NS_24const_host_device_scalarIT2_EEPKiS6_PKS3_S8_S4_PS3_21rocsparse_index_base_b,comdat
	.globl	_ZN9rocsparseL19gebsrmvn_4xn_kernelILj128ELj1ELj64EdEEvi20rocsparse_direction_NS_24const_host_device_scalarIT2_EEPKiS6_PKS3_S8_S4_PS3_21rocsparse_index_base_b ; -- Begin function _ZN9rocsparseL19gebsrmvn_4xn_kernelILj128ELj1ELj64EdEEvi20rocsparse_direction_NS_24const_host_device_scalarIT2_EEPKiS6_PKS3_S8_S4_PS3_21rocsparse_index_base_b
	.p2align	8
	.type	_ZN9rocsparseL19gebsrmvn_4xn_kernelILj128ELj1ELj64EdEEvi20rocsparse_direction_NS_24const_host_device_scalarIT2_EEPKiS6_PKS3_S8_S4_PS3_21rocsparse_index_base_b,@function
_ZN9rocsparseL19gebsrmvn_4xn_kernelILj128ELj1ELj64EdEEvi20rocsparse_direction_NS_24const_host_device_scalarIT2_EEPKiS6_PKS3_S8_S4_PS3_21rocsparse_index_base_b: ; @_ZN9rocsparseL19gebsrmvn_4xn_kernelILj128ELj1ELj64EdEEvi20rocsparse_direction_NS_24const_host_device_scalarIT2_EEPKiS6_PKS3_S8_S4_PS3_21rocsparse_index_base_b
; %bb.0:
	s_load_dwordx2 s[2:3], s[4:5], 0x40
	s_load_dwordx2 s[10:11], s[4:5], 0x8
	;; [unrolled: 1-line block ×3, first 2 shown]
	s_waitcnt lgkmcnt(0)
	s_bitcmp1_b32 s3, 0
	s_cselect_b64 s[12:13], -1, 0
	v_mov_b32_e32 v1, s10
	s_xor_b64 s[8:9], s[12:13], -1
	s_and_b64 vcc, exec, s[12:13]
	v_mov_b32_e32 v2, s11
	s_cbranch_vccnz .LBB41_2
; %bb.1:
	v_mov_b32_e32 v1, s10
	v_mov_b32_e32 v2, s11
	flat_load_dwordx2 v[1:2], v[1:2]
.LBB41_2:
	v_mov_b32_e32 v4, s1
	s_andn2_b64 vcc, exec, s[8:9]
	v_mov_b32_e32 v3, s0
	s_cbranch_vccnz .LBB41_4
; %bb.3:
	v_mov_b32_e32 v4, s1
	v_mov_b32_e32 v3, s0
	flat_load_dwordx2 v[3:4], v[3:4]
.LBB41_4:
	s_waitcnt vmcnt(0) lgkmcnt(0)
	v_cmp_neq_f64_e32 vcc, 0, v[1:2]
	v_cmp_neq_f64_e64 s[0:1], 1.0, v[3:4]
	s_or_b64 s[0:1], vcc, s[0:1]
	s_and_saveexec_b64 s[8:9], s[0:1]
	s_cbranch_execz .LBB41_23
; %bb.5:
	s_load_dwordx2 s[0:1], s[4:5], 0x0
	v_lshrrev_b32_e32 v5, 6, v0
	v_lshl_or_b32 v5, s6, 1, v5
	s_waitcnt lgkmcnt(0)
	v_cmp_gt_i32_e32 vcc, s0, v5
	s_and_b64 exec, exec, vcc
	s_cbranch_execz .LBB41_23
; %bb.6:
	s_load_dwordx8 s[8:15], s[4:5], 0x10
	v_ashrrev_i32_e32 v6, 31, v5
	v_lshlrev_b64 v[6:7], 2, v[5:6]
	v_and_b32_e32 v0, 63, v0
	s_cmp_lg_u32 s1, 0
	s_waitcnt lgkmcnt(0)
	v_mov_b32_e32 v8, s9
	v_add_co_u32_e32 v6, vcc, s8, v6
	v_addc_co_u32_e32 v7, vcc, v8, v7, vcc
	global_load_dwordx2 v[6:7], v[6:7], off
	s_waitcnt vmcnt(0)
	v_subrev_u32_e32 v6, s2, v6
	v_subrev_u32_e32 v19, s2, v7
	v_add_u32_e32 v14, v6, v0
	v_cmp_lt_i32_e64 s[0:1], v14, v19
	s_cbranch_scc0 .LBB41_12
; %bb.7:
	v_mov_b32_e32 v10, 0
	v_mov_b32_e32 v6, 0
	;; [unrolled: 1-line block ×8, first 2 shown]
	s_and_saveexec_b64 s[6:7], s[0:1]
	s_cbranch_execz .LBB41_11
; %bb.8:
	v_mov_b32_e32 v10, 0
	v_mov_b32_e32 v6, 0
	;; [unrolled: 1-line block ×4, first 2 shown]
	v_lshlrev_b32_e32 v15, 2, v14
	v_mov_b32_e32 v11, 0
	s_mov_b64 s[8:9], 0
	v_mov_b32_e32 v20, s11
	v_mov_b32_e32 v16, 0
	;; [unrolled: 1-line block ×8, first 2 shown]
.LBB41_9:                               ; =>This Inner Loop Header: Depth=1
	v_ashrrev_i32_e32 v18, 31, v17
	v_lshlrev_b64 v[23:24], 2, v[17:18]
	v_mov_b32_e32 v32, v16
	v_add_co_u32_e32 v23, vcc, s10, v23
	v_addc_co_u32_e32 v24, vcc, v20, v24, vcc
	global_load_dword v18, v[23:24], off
	v_lshlrev_b64 v[23:24], 3, v[15:16]
	v_add_u32_e32 v17, 64, v17
	v_add_co_u32_e32 v33, vcc, s12, v23
	v_addc_co_u32_e32 v34, vcc, v21, v24, vcc
	global_load_dwordx4 v[23:26], v[33:34], off
	global_load_dwordx4 v[27:30], v[33:34], off offset:16
	v_add_u32_e32 v15, 0x100, v15
	s_waitcnt vmcnt(2)
	v_subrev_u32_e32 v31, s2, v18
	v_lshlrev_b64 v[31:32], 3, v[31:32]
	v_add_co_u32_e32 v31, vcc, s14, v31
	v_addc_co_u32_e32 v32, vcc, v22, v32, vcc
	global_load_dwordx2 v[31:32], v[31:32], off
	v_cmp_ge_i32_e32 vcc, v17, v19
	s_or_b64 s[8:9], vcc, s[8:9]
	s_waitcnt vmcnt(0)
	v_fma_f64 v[10:11], v[23:24], v[31:32], v[10:11]
	v_fma_f64 v[12:13], v[25:26], v[31:32], v[12:13]
	;; [unrolled: 1-line block ×4, first 2 shown]
	s_andn2_b64 exec, exec, s[8:9]
	s_cbranch_execnz .LBB41_9
; %bb.10:
	s_or_b64 exec, exec, s[8:9]
.LBB41_11:
	s_or_b64 exec, exec, s[6:7]
	s_cbranch_execz .LBB41_13
	s_branch .LBB41_18
.LBB41_12:
                                        ; implicit-def: $vgpr10_vgpr11
                                        ; implicit-def: $vgpr6_vgpr7
                                        ; implicit-def: $vgpr8_vgpr9
                                        ; implicit-def: $vgpr12_vgpr13
.LBB41_13:
	v_mov_b32_e32 v10, 0
	v_mov_b32_e32 v6, 0
	;; [unrolled: 1-line block ×8, first 2 shown]
	s_and_saveexec_b64 s[6:7], s[0:1]
	s_cbranch_execz .LBB41_17
; %bb.14:
	v_mov_b32_e32 v10, 0
	v_mov_b32_e32 v6, 0
	v_mov_b32_e32 v8, 0
	v_mov_b32_e32 v12, 0
	v_lshlrev_b32_e32 v16, 2, v14
	v_mov_b32_e32 v11, 0
	s_mov_b64 s[0:1], 0
	v_mov_b32_e32 v18, s11
	v_mov_b32_e32 v17, 0
	;; [unrolled: 1-line block ×7, first 2 shown]
.LBB41_15:                              ; =>This Inner Loop Header: Depth=1
	v_ashrrev_i32_e32 v15, 31, v14
	v_lshlrev_b64 v[22:23], 2, v[14:15]
	v_mov_b32_e32 v31, v17
	v_add_co_u32_e32 v22, vcc, s10, v22
	v_addc_co_u32_e32 v23, vcc, v18, v23, vcc
	global_load_dword v15, v[22:23], off
	v_lshlrev_b64 v[22:23], 3, v[16:17]
	v_add_u32_e32 v14, 64, v14
	v_add_co_u32_e32 v32, vcc, s12, v22
	v_addc_co_u32_e32 v33, vcc, v20, v23, vcc
	global_load_dwordx4 v[22:25], v[32:33], off
	global_load_dwordx4 v[26:29], v[32:33], off offset:16
	v_add_u32_e32 v16, 0x100, v16
	s_waitcnt vmcnt(2)
	v_subrev_u32_e32 v30, s2, v15
	v_lshlrev_b64 v[30:31], 3, v[30:31]
	v_add_co_u32_e32 v30, vcc, s14, v30
	v_addc_co_u32_e32 v31, vcc, v21, v31, vcc
	global_load_dwordx2 v[30:31], v[30:31], off
	v_cmp_ge_i32_e32 vcc, v14, v19
	s_or_b64 s[0:1], vcc, s[0:1]
	s_waitcnt vmcnt(0)
	v_fma_f64 v[10:11], v[22:23], v[30:31], v[10:11]
	v_fma_f64 v[12:13], v[24:25], v[30:31], v[12:13]
	;; [unrolled: 1-line block ×4, first 2 shown]
	s_andn2_b64 exec, exec, s[0:1]
	s_cbranch_execnz .LBB41_15
; %bb.16:
	s_or_b64 exec, exec, s[0:1]
.LBB41_17:
	s_or_b64 exec, exec, s[6:7]
.LBB41_18:
	v_mov_b32_dpp v14, v10 row_shr:1 row_mask:0xf bank_mask:0xf
	v_mov_b32_dpp v15, v11 row_shr:1 row_mask:0xf bank_mask:0xf
	v_add_f64 v[10:11], v[10:11], v[14:15]
	v_mov_b32_dpp v14, v12 row_shr:1 row_mask:0xf bank_mask:0xf
	v_mov_b32_dpp v15, v13 row_shr:1 row_mask:0xf bank_mask:0xf
	v_add_f64 v[12:13], v[12:13], v[14:15]
	v_mov_b32_dpp v16, v6 row_shr:1 row_mask:0xf bank_mask:0xf
	v_mov_b32_dpp v17, v7 row_shr:1 row_mask:0xf bank_mask:0xf
	v_add_f64 v[6:7], v[6:7], v[16:17]
	v_cmp_eq_u32_e32 vcc, 63, v0
	v_mov_b32_dpp v14, v10 row_shr:2 row_mask:0xf bank_mask:0xf
	v_mov_b32_dpp v15, v11 row_shr:2 row_mask:0xf bank_mask:0xf
	v_add_f64 v[10:11], v[10:11], v[14:15]
	v_mov_b32_dpp v14, v8 row_shr:1 row_mask:0xf bank_mask:0xf
	v_mov_b32_dpp v15, v9 row_shr:1 row_mask:0xf bank_mask:0xf
	v_add_f64 v[8:9], v[8:9], v[14:15]
	v_mov_b32_dpp v14, v12 row_shr:2 row_mask:0xf bank_mask:0xf
	v_mov_b32_dpp v15, v10 row_shr:4 row_mask:0xf bank_mask:0xe
	v_mov_b32_dpp v16, v11 row_shr:4 row_mask:0xf bank_mask:0xe
	v_add_f64 v[10:11], v[10:11], v[15:16]
	v_mov_b32_dpp v15, v13 row_shr:2 row_mask:0xf bank_mask:0xf
	;; [unrolled: 4-line block ×3, first 2 shown]
	v_add_f64 v[8:9], v[8:9], v[16:17]
	v_mov_b32_dpp v15, v7 row_shr:2 row_mask:0xf bank_mask:0xf
	v_add_f64 v[6:7], v[6:7], v[14:15]
	v_mov_b32_dpp v16, v10 row_shr:8 row_mask:0xf bank_mask:0xc
	v_mov_b32_dpp v17, v11 row_shr:8 row_mask:0xf bank_mask:0xc
	v_add_f64 v[10:11], v[10:11], v[16:17]
	v_mov_b32_dpp v14, v12 row_shr:4 row_mask:0xf bank_mask:0xe
	v_mov_b32_dpp v15, v13 row_shr:4 row_mask:0xf bank_mask:0xe
	;; [unrolled: 1-line block ×3, first 2 shown]
	v_add_f64 v[12:13], v[12:13], v[14:15]
	v_mov_b32_dpp v17, v9 row_shr:4 row_mask:0xf bank_mask:0xe
	v_add_f64 v[8:9], v[8:9], v[16:17]
	v_mov_b32_dpp v15, v6 row_shr:4 row_mask:0xf bank_mask:0xe
	v_mov_b32_dpp v16, v7 row_shr:4 row_mask:0xf bank_mask:0xe
	v_add_f64 v[6:7], v[6:7], v[15:16]
	v_mov_b32_dpp v14, v10 row_bcast:15 row_mask:0xa bank_mask:0xf
	v_mov_b32_dpp v15, v11 row_bcast:15 row_mask:0xa bank_mask:0xf
	v_mov_b32_dpp v16, v12 row_shr:8 row_mask:0xf bank_mask:0xc
	v_mov_b32_dpp v17, v13 row_shr:8 row_mask:0xf bank_mask:0xc
	v_add_f64 v[12:13], v[12:13], v[16:17]
	v_mov_b32_dpp v16, v8 row_shr:8 row_mask:0xf bank_mask:0xc
	v_mov_b32_dpp v17, v9 row_shr:8 row_mask:0xf bank_mask:0xc
	v_add_f64 v[16:17], v[8:9], v[16:17]
	;; [unrolled: 3-line block ×3, first 2 shown]
	v_add_f64 v[6:7], v[10:11], v[14:15]
	v_mov_b32_dpp v8, v12 row_bcast:15 row_mask:0xa bank_mask:0xf
	v_mov_b32_dpp v9, v13 row_bcast:15 row_mask:0xa bank_mask:0xf
	v_add_f64 v[8:9], v[12:13], v[8:9]
	v_mov_b32_dpp v10, v16 row_bcast:15 row_mask:0xa bank_mask:0xf
	v_mov_b32_dpp v11, v17 row_bcast:15 row_mask:0xa bank_mask:0xf
	;; [unrolled: 3-line block ×4, first 2 shown]
	v_mov_b32_dpp v10, v8 row_bcast:31 row_mask:0xc bank_mask:0xf
	v_mov_b32_dpp v11, v9 row_bcast:31 row_mask:0xc bank_mask:0xf
	;; [unrolled: 1-line block ×6, first 2 shown]
	s_and_b64 exec, exec, vcc
	s_cbranch_execz .LBB41_23
; %bb.19:
	v_add_f64 v[12:13], v[6:7], v[12:13]
	v_add_f64 v[10:11], v[8:9], v[10:11]
	;; [unrolled: 1-line block ×4, first 2 shown]
	v_cmp_eq_f64_e32 vcc, 0, v[3:4]
	s_load_dwordx2 s[0:1], s[4:5], 0x38
	s_and_saveexec_b64 s[2:3], vcc
	s_xor_b64 s[2:3], exec, s[2:3]
	s_cbranch_execz .LBB41_21
; %bb.20:
	v_mul_f64 v[12:13], v[1:2], v[12:13]
	v_mul_f64 v[14:15], v[1:2], v[10:11]
	v_lshlrev_b32_e32 v16, 2, v5
	v_mul_f64 v[3:4], v[1:2], v[6:7]
	v_mul_f64 v[5:6], v[1:2], v[8:9]
	v_ashrrev_i32_e32 v17, 31, v16
	v_lshlrev_b64 v[0:1], 3, v[16:17]
	s_waitcnt lgkmcnt(0)
	v_mov_b32_e32 v2, s1
	v_add_co_u32_e32 v0, vcc, s0, v0
	v_addc_co_u32_e32 v1, vcc, v2, v1, vcc
	global_store_dwordx4 v[0:1], v[12:15], off
	global_store_dwordx4 v[0:1], v[3:6], off offset:16
                                        ; implicit-def: $vgpr5
                                        ; implicit-def: $vgpr1_vgpr2
                                        ; implicit-def: $vgpr12_vgpr13
                                        ; implicit-def: $vgpr3_vgpr4
                                        ; implicit-def: $vgpr10_vgpr11
                                        ; implicit-def: $vgpr6_vgpr7
                                        ; implicit-def: $vgpr8_vgpr9
.LBB41_21:
	s_andn2_saveexec_b64 s[2:3], s[2:3]
	s_cbranch_execz .LBB41_23
; %bb.22:
	v_lshlrev_b32_e32 v14, 2, v5
	v_ashrrev_i32_e32 v15, 31, v14
	v_lshlrev_b64 v[14:15], 3, v[14:15]
	s_waitcnt lgkmcnt(0)
	v_mov_b32_e32 v0, s1
	v_add_co_u32_e32 v22, vcc, s0, v14
	v_addc_co_u32_e32 v23, vcc, v0, v15, vcc
	global_load_dwordx4 v[14:17], v[22:23], off
	global_load_dwordx4 v[18:21], v[22:23], off offset:16
	v_mul_f64 v[12:13], v[1:2], v[12:13]
	v_mul_f64 v[10:11], v[1:2], v[10:11]
	;; [unrolled: 1-line block ×4, first 2 shown]
	s_waitcnt vmcnt(1)
	v_fma_f64 v[5:6], v[3:4], v[14:15], v[12:13]
	v_fma_f64 v[7:8], v[3:4], v[16:17], v[10:11]
	s_waitcnt vmcnt(0)
	v_fma_f64 v[0:1], v[3:4], v[18:19], v[24:25]
	v_fma_f64 v[2:3], v[3:4], v[20:21], v[26:27]
	global_store_dwordx4 v[22:23], v[5:8], off
	global_store_dwordx4 v[22:23], v[0:3], off offset:16
.LBB41_23:
	s_endpgm
	.section	.rodata,"a",@progbits
	.p2align	6, 0x0
	.amdhsa_kernel _ZN9rocsparseL19gebsrmvn_4xn_kernelILj128ELj1ELj64EdEEvi20rocsparse_direction_NS_24const_host_device_scalarIT2_EEPKiS6_PKS3_S8_S4_PS3_21rocsparse_index_base_b
		.amdhsa_group_segment_fixed_size 0
		.amdhsa_private_segment_fixed_size 0
		.amdhsa_kernarg_size 72
		.amdhsa_user_sgpr_count 6
		.amdhsa_user_sgpr_private_segment_buffer 1
		.amdhsa_user_sgpr_dispatch_ptr 0
		.amdhsa_user_sgpr_queue_ptr 0
		.amdhsa_user_sgpr_kernarg_segment_ptr 1
		.amdhsa_user_sgpr_dispatch_id 0
		.amdhsa_user_sgpr_flat_scratch_init 0
		.amdhsa_user_sgpr_private_segment_size 0
		.amdhsa_uses_dynamic_stack 0
		.amdhsa_system_sgpr_private_segment_wavefront_offset 0
		.amdhsa_system_sgpr_workgroup_id_x 1
		.amdhsa_system_sgpr_workgroup_id_y 0
		.amdhsa_system_sgpr_workgroup_id_z 0
		.amdhsa_system_sgpr_workgroup_info 0
		.amdhsa_system_vgpr_workitem_id 0
		.amdhsa_next_free_vgpr 35
		.amdhsa_next_free_sgpr 16
		.amdhsa_reserve_vcc 1
		.amdhsa_reserve_flat_scratch 0
		.amdhsa_float_round_mode_32 0
		.amdhsa_float_round_mode_16_64 0
		.amdhsa_float_denorm_mode_32 3
		.amdhsa_float_denorm_mode_16_64 3
		.amdhsa_dx10_clamp 1
		.amdhsa_ieee_mode 1
		.amdhsa_fp16_overflow 0
		.amdhsa_exception_fp_ieee_invalid_op 0
		.amdhsa_exception_fp_denorm_src 0
		.amdhsa_exception_fp_ieee_div_zero 0
		.amdhsa_exception_fp_ieee_overflow 0
		.amdhsa_exception_fp_ieee_underflow 0
		.amdhsa_exception_fp_ieee_inexact 0
		.amdhsa_exception_int_div_zero 0
	.end_amdhsa_kernel
	.section	.text._ZN9rocsparseL19gebsrmvn_4xn_kernelILj128ELj1ELj64EdEEvi20rocsparse_direction_NS_24const_host_device_scalarIT2_EEPKiS6_PKS3_S8_S4_PS3_21rocsparse_index_base_b,"axG",@progbits,_ZN9rocsparseL19gebsrmvn_4xn_kernelILj128ELj1ELj64EdEEvi20rocsparse_direction_NS_24const_host_device_scalarIT2_EEPKiS6_PKS3_S8_S4_PS3_21rocsparse_index_base_b,comdat
.Lfunc_end41:
	.size	_ZN9rocsparseL19gebsrmvn_4xn_kernelILj128ELj1ELj64EdEEvi20rocsparse_direction_NS_24const_host_device_scalarIT2_EEPKiS6_PKS3_S8_S4_PS3_21rocsparse_index_base_b, .Lfunc_end41-_ZN9rocsparseL19gebsrmvn_4xn_kernelILj128ELj1ELj64EdEEvi20rocsparse_direction_NS_24const_host_device_scalarIT2_EEPKiS6_PKS3_S8_S4_PS3_21rocsparse_index_base_b
                                        ; -- End function
	.set _ZN9rocsparseL19gebsrmvn_4xn_kernelILj128ELj1ELj64EdEEvi20rocsparse_direction_NS_24const_host_device_scalarIT2_EEPKiS6_PKS3_S8_S4_PS3_21rocsparse_index_base_b.num_vgpr, 35
	.set _ZN9rocsparseL19gebsrmvn_4xn_kernelILj128ELj1ELj64EdEEvi20rocsparse_direction_NS_24const_host_device_scalarIT2_EEPKiS6_PKS3_S8_S4_PS3_21rocsparse_index_base_b.num_agpr, 0
	.set _ZN9rocsparseL19gebsrmvn_4xn_kernelILj128ELj1ELj64EdEEvi20rocsparse_direction_NS_24const_host_device_scalarIT2_EEPKiS6_PKS3_S8_S4_PS3_21rocsparse_index_base_b.numbered_sgpr, 16
	.set _ZN9rocsparseL19gebsrmvn_4xn_kernelILj128ELj1ELj64EdEEvi20rocsparse_direction_NS_24const_host_device_scalarIT2_EEPKiS6_PKS3_S8_S4_PS3_21rocsparse_index_base_b.num_named_barrier, 0
	.set _ZN9rocsparseL19gebsrmvn_4xn_kernelILj128ELj1ELj64EdEEvi20rocsparse_direction_NS_24const_host_device_scalarIT2_EEPKiS6_PKS3_S8_S4_PS3_21rocsparse_index_base_b.private_seg_size, 0
	.set _ZN9rocsparseL19gebsrmvn_4xn_kernelILj128ELj1ELj64EdEEvi20rocsparse_direction_NS_24const_host_device_scalarIT2_EEPKiS6_PKS3_S8_S4_PS3_21rocsparse_index_base_b.uses_vcc, 1
	.set _ZN9rocsparseL19gebsrmvn_4xn_kernelILj128ELj1ELj64EdEEvi20rocsparse_direction_NS_24const_host_device_scalarIT2_EEPKiS6_PKS3_S8_S4_PS3_21rocsparse_index_base_b.uses_flat_scratch, 0
	.set _ZN9rocsparseL19gebsrmvn_4xn_kernelILj128ELj1ELj64EdEEvi20rocsparse_direction_NS_24const_host_device_scalarIT2_EEPKiS6_PKS3_S8_S4_PS3_21rocsparse_index_base_b.has_dyn_sized_stack, 0
	.set _ZN9rocsparseL19gebsrmvn_4xn_kernelILj128ELj1ELj64EdEEvi20rocsparse_direction_NS_24const_host_device_scalarIT2_EEPKiS6_PKS3_S8_S4_PS3_21rocsparse_index_base_b.has_recursion, 0
	.set _ZN9rocsparseL19gebsrmvn_4xn_kernelILj128ELj1ELj64EdEEvi20rocsparse_direction_NS_24const_host_device_scalarIT2_EEPKiS6_PKS3_S8_S4_PS3_21rocsparse_index_base_b.has_indirect_call, 0
	.section	.AMDGPU.csdata,"",@progbits
; Kernel info:
; codeLenInByte = 1628
; TotalNumSgprs: 20
; NumVgprs: 35
; ScratchSize: 0
; MemoryBound: 0
; FloatMode: 240
; IeeeMode: 1
; LDSByteSize: 0 bytes/workgroup (compile time only)
; SGPRBlocks: 2
; VGPRBlocks: 8
; NumSGPRsForWavesPerEU: 20
; NumVGPRsForWavesPerEU: 35
; Occupancy: 7
; WaveLimiterHint : 1
; COMPUTE_PGM_RSRC2:SCRATCH_EN: 0
; COMPUTE_PGM_RSRC2:USER_SGPR: 6
; COMPUTE_PGM_RSRC2:TRAP_HANDLER: 0
; COMPUTE_PGM_RSRC2:TGID_X_EN: 1
; COMPUTE_PGM_RSRC2:TGID_Y_EN: 0
; COMPUTE_PGM_RSRC2:TGID_Z_EN: 0
; COMPUTE_PGM_RSRC2:TIDIG_COMP_CNT: 0
	.section	.text._ZN9rocsparseL19gebsrmvn_4xn_kernelILj128ELj2ELj4EdEEvi20rocsparse_direction_NS_24const_host_device_scalarIT2_EEPKiS6_PKS3_S8_S4_PS3_21rocsparse_index_base_b,"axG",@progbits,_ZN9rocsparseL19gebsrmvn_4xn_kernelILj128ELj2ELj4EdEEvi20rocsparse_direction_NS_24const_host_device_scalarIT2_EEPKiS6_PKS3_S8_S4_PS3_21rocsparse_index_base_b,comdat
	.globl	_ZN9rocsparseL19gebsrmvn_4xn_kernelILj128ELj2ELj4EdEEvi20rocsparse_direction_NS_24const_host_device_scalarIT2_EEPKiS6_PKS3_S8_S4_PS3_21rocsparse_index_base_b ; -- Begin function _ZN9rocsparseL19gebsrmvn_4xn_kernelILj128ELj2ELj4EdEEvi20rocsparse_direction_NS_24const_host_device_scalarIT2_EEPKiS6_PKS3_S8_S4_PS3_21rocsparse_index_base_b
	.p2align	8
	.type	_ZN9rocsparseL19gebsrmvn_4xn_kernelILj128ELj2ELj4EdEEvi20rocsparse_direction_NS_24const_host_device_scalarIT2_EEPKiS6_PKS3_S8_S4_PS3_21rocsparse_index_base_b,@function
_ZN9rocsparseL19gebsrmvn_4xn_kernelILj128ELj2ELj4EdEEvi20rocsparse_direction_NS_24const_host_device_scalarIT2_EEPKiS6_PKS3_S8_S4_PS3_21rocsparse_index_base_b: ; @_ZN9rocsparseL19gebsrmvn_4xn_kernelILj128ELj2ELj4EdEEvi20rocsparse_direction_NS_24const_host_device_scalarIT2_EEPKiS6_PKS3_S8_S4_PS3_21rocsparse_index_base_b
; %bb.0:
	s_load_dwordx2 s[2:3], s[4:5], 0x40
	s_load_dwordx2 s[10:11], s[4:5], 0x8
	;; [unrolled: 1-line block ×3, first 2 shown]
	s_waitcnt lgkmcnt(0)
	s_bitcmp1_b32 s3, 0
	s_cselect_b64 s[12:13], -1, 0
	v_mov_b32_e32 v1, s10
	s_xor_b64 s[8:9], s[12:13], -1
	s_and_b64 vcc, exec, s[12:13]
	v_mov_b32_e32 v2, s11
	s_cbranch_vccnz .LBB42_2
; %bb.1:
	v_mov_b32_e32 v1, s10
	v_mov_b32_e32 v2, s11
	flat_load_dwordx2 v[1:2], v[1:2]
.LBB42_2:
	v_mov_b32_e32 v4, s1
	s_andn2_b64 vcc, exec, s[8:9]
	v_mov_b32_e32 v3, s0
	s_cbranch_vccnz .LBB42_4
; %bb.3:
	v_mov_b32_e32 v4, s1
	v_mov_b32_e32 v3, s0
	flat_load_dwordx2 v[3:4], v[3:4]
.LBB42_4:
	s_waitcnt vmcnt(0) lgkmcnt(0)
	v_cmp_neq_f64_e32 vcc, 0, v[1:2]
	v_cmp_neq_f64_e64 s[0:1], 1.0, v[3:4]
	s_or_b64 s[0:1], vcc, s[0:1]
	s_and_saveexec_b64 s[8:9], s[0:1]
	s_cbranch_execz .LBB42_23
; %bb.5:
	s_load_dwordx2 s[0:1], s[4:5], 0x0
	v_lshrrev_b32_e32 v5, 2, v0
	v_lshl_or_b32 v5, s6, 5, v5
	s_waitcnt lgkmcnt(0)
	v_cmp_gt_i32_e32 vcc, s0, v5
	s_and_b64 exec, exec, vcc
	s_cbranch_execz .LBB42_23
; %bb.6:
	s_load_dwordx8 s[8:15], s[4:5], 0x10
	v_ashrrev_i32_e32 v6, 31, v5
	v_lshlrev_b64 v[6:7], 2, v[5:6]
	v_and_b32_e32 v0, 3, v0
	s_cmp_lg_u32 s1, 0
	s_waitcnt lgkmcnt(0)
	v_mov_b32_e32 v8, s9
	v_add_co_u32_e32 v6, vcc, s8, v6
	v_addc_co_u32_e32 v7, vcc, v8, v7, vcc
	global_load_dwordx2 v[6:7], v[6:7], off
	s_waitcnt vmcnt(0)
	v_subrev_u32_e32 v6, s2, v6
	v_subrev_u32_e32 v20, s2, v7
	v_add_u32_e32 v10, v6, v0
	v_cmp_lt_i32_e64 s[0:1], v10, v20
	s_cbranch_scc0 .LBB42_12
; %bb.7:
	v_mov_b32_e32 v6, 0
	v_mov_b32_e32 v8, 0
	;; [unrolled: 1-line block ×8, first 2 shown]
	s_and_saveexec_b64 s[6:7], s[0:1]
	s_cbranch_execz .LBB42_11
; %bb.8:
	v_mov_b32_e32 v6, 0
	v_mov_b32_e32 v8, 0
	;; [unrolled: 1-line block ×4, first 2 shown]
	v_lshlrev_b32_e32 v16, 3, v10
	v_mov_b32_e32 v7, 0
	s_mov_b64 s[8:9], 0
	v_mov_b32_e32 v11, s11
	v_mov_b32_e32 v17, 0
	;; [unrolled: 1-line block ×8, first 2 shown]
.LBB42_9:                               ; =>This Inner Loop Header: Depth=1
	v_ashrrev_i32_e32 v19, 31, v18
	v_lshlrev_b64 v[23:24], 2, v[18:19]
	v_mov_b32_e32 v32, v17
	v_add_co_u32_e32 v23, vcc, s10, v23
	v_addc_co_u32_e32 v24, vcc, v11, v24, vcc
	global_load_dword v19, v[23:24], off
	v_lshlrev_b64 v[23:24], 3, v[16:17]
	v_add_u32_e32 v18, 4, v18
	v_add_co_u32_e32 v43, vcc, s12, v23
	v_addc_co_u32_e32 v44, vcc, v21, v24, vcc
	global_load_dwordx4 v[23:26], v[43:44], off
	global_load_dwordx4 v[27:30], v[43:44], off offset:16
	v_add_u32_e32 v16, 32, v16
	s_waitcnt vmcnt(2)
	v_subrev_u32_e32 v19, s2, v19
	v_lshlrev_b32_e32 v31, 1, v19
	v_lshlrev_b64 v[31:32], 3, v[31:32]
	v_add_co_u32_e32 v45, vcc, s14, v31
	v_addc_co_u32_e32 v46, vcc, v22, v32, vcc
	global_load_dwordx4 v[31:34], v[45:46], off
	global_load_dwordx4 v[35:38], v[43:44], off offset:32
	global_load_dwordx4 v[39:42], v[43:44], off offset:48
	v_cmp_ge_i32_e32 vcc, v18, v20
	s_or_b64 s[8:9], vcc, s[8:9]
	s_waitcnt vmcnt(2)
	v_fma_f64 v[6:7], v[23:24], v[31:32], v[6:7]
	v_fma_f64 v[14:15], v[25:26], v[31:32], v[14:15]
	;; [unrolled: 1-line block ×4, first 2 shown]
	s_waitcnt vmcnt(1)
	v_fma_f64 v[6:7], v[35:36], v[33:34], v[6:7]
	v_fma_f64 v[14:15], v[37:38], v[33:34], v[14:15]
	s_waitcnt vmcnt(0)
	v_fma_f64 v[12:13], v[39:40], v[33:34], v[12:13]
	v_fma_f64 v[8:9], v[41:42], v[33:34], v[8:9]
	s_andn2_b64 exec, exec, s[8:9]
	s_cbranch_execnz .LBB42_9
; %bb.10:
	s_or_b64 exec, exec, s[8:9]
.LBB42_11:
	s_or_b64 exec, exec, s[6:7]
	s_cbranch_execz .LBB42_13
	s_branch .LBB42_18
.LBB42_12:
                                        ; implicit-def: $vgpr6_vgpr7
                                        ; implicit-def: $vgpr8_vgpr9
                                        ; implicit-def: $vgpr12_vgpr13
                                        ; implicit-def: $vgpr14_vgpr15
.LBB42_13:
	v_mov_b32_e32 v6, 0
	v_mov_b32_e32 v8, 0
	;; [unrolled: 1-line block ×8, first 2 shown]
	s_and_saveexec_b64 s[6:7], s[0:1]
	s_cbranch_execz .LBB42_17
; %bb.14:
	v_mov_b32_e32 v6, 0
	v_mov_b32_e32 v8, 0
	;; [unrolled: 1-line block ×4, first 2 shown]
	v_lshlrev_b32_e32 v16, 3, v10
	v_mov_b32_e32 v7, 0
	s_mov_b64 s[0:1], 0
	v_mov_b32_e32 v18, s11
	v_mov_b32_e32 v17, 0
	;; [unrolled: 1-line block ×7, first 2 shown]
.LBB42_15:                              ; =>This Inner Loop Header: Depth=1
	v_lshlrev_b64 v[22:23], 3, v[16:17]
	v_ashrrev_i32_e32 v11, 31, v10
	v_lshlrev_b64 v[24:25], 2, v[10:11]
	v_add_co_u32_e32 v38, vcc, s12, v22
	v_addc_co_u32_e32 v39, vcc, v19, v23, vcc
	v_add_co_u32_e32 v32, vcc, s10, v24
	v_addc_co_u32_e32 v33, vcc, v18, v25, vcc
	global_load_dwordx4 v[22:25], v[38:39], off
	global_load_dwordx4 v[26:29], v[38:39], off offset:16
	global_load_dword v11, v[32:33], off
	v_mov_b32_e32 v31, v17
	v_add_u32_e32 v10, 4, v10
	v_add_u32_e32 v16, 32, v16
	s_waitcnt vmcnt(0)
	v_subrev_u32_e32 v11, s2, v11
	v_lshlrev_b32_e32 v30, 1, v11
	v_lshlrev_b64 v[30:31], 3, v[30:31]
	v_add_co_u32_e32 v30, vcc, s14, v30
	v_addc_co_u32_e32 v31, vcc, v21, v31, vcc
	global_load_dwordx4 v[30:33], v[30:31], off
	v_cmp_ge_i32_e32 vcc, v10, v20
	s_or_b64 s[0:1], vcc, s[0:1]
	s_waitcnt vmcnt(0)
	v_fma_f64 v[6:7], v[22:23], v[30:31], v[6:7]
	v_fma_f64 v[14:15], v[26:27], v[30:31], v[14:15]
	;; [unrolled: 1-line block ×3, first 2 shown]
	global_load_dwordx4 v[22:25], v[38:39], off offset:32
	global_load_dwordx4 v[34:37], v[38:39], off offset:48
	v_fma_f64 v[14:15], v[28:29], v[32:33], v[14:15]
	s_waitcnt vmcnt(1)
	v_fma_f64 v[11:12], v[22:23], v[30:31], v[12:13]
	s_waitcnt vmcnt(0)
	v_fma_f64 v[8:9], v[34:35], v[30:31], v[8:9]
	v_fma_f64 v[12:13], v[24:25], v[32:33], v[11:12]
	;; [unrolled: 1-line block ×3, first 2 shown]
	s_andn2_b64 exec, exec, s[0:1]
	s_cbranch_execnz .LBB42_15
; %bb.16:
	s_or_b64 exec, exec, s[0:1]
.LBB42_17:
	s_or_b64 exec, exec, s[6:7]
.LBB42_18:
	v_mov_b32_dpp v10, v6 row_shr:1 row_mask:0xf bank_mask:0xf
	v_mov_b32_dpp v11, v7 row_shr:1 row_mask:0xf bank_mask:0xf
	v_add_f64 v[6:7], v[6:7], v[10:11]
	v_mov_b32_dpp v10, v14 row_shr:1 row_mask:0xf bank_mask:0xf
	v_mov_b32_dpp v11, v15 row_shr:1 row_mask:0xf bank_mask:0xf
	v_add_f64 v[10:11], v[14:15], v[10:11]
	;; [unrolled: 3-line block ×4, first 2 shown]
	v_mov_b32_dpp v12, v6 row_shr:2 row_mask:0xf bank_mask:0xf
	v_mov_b32_dpp v13, v7 row_shr:2 row_mask:0xf bank_mask:0xf
	;; [unrolled: 1-line block ×6, first 2 shown]
	v_cmp_eq_u32_e32 vcc, 3, v0
	v_mov_b32_dpp v16, v8 row_shr:2 row_mask:0xf bank_mask:0xf
	v_mov_b32_dpp v17, v9 row_shr:2 row_mask:0xf bank_mask:0xf
	s_and_b64 exec, exec, vcc
	s_cbranch_execz .LBB42_23
; %bb.19:
	v_add_f64 v[12:13], v[6:7], v[12:13]
	v_add_f64 v[10:11], v[10:11], v[20:21]
	;; [unrolled: 1-line block ×4, first 2 shown]
	v_cmp_eq_f64_e32 vcc, 0, v[3:4]
	s_load_dwordx2 s[0:1], s[4:5], 0x38
	s_and_saveexec_b64 s[2:3], vcc
	s_xor_b64 s[2:3], exec, s[2:3]
	s_cbranch_execz .LBB42_21
; %bb.20:
	v_mul_f64 v[12:13], v[1:2], v[12:13]
	v_mul_f64 v[14:15], v[1:2], v[10:11]
	v_lshlrev_b32_e32 v16, 2, v5
	v_mul_f64 v[3:4], v[1:2], v[6:7]
	v_mul_f64 v[5:6], v[1:2], v[8:9]
	v_ashrrev_i32_e32 v17, 31, v16
	v_lshlrev_b64 v[0:1], 3, v[16:17]
	s_waitcnt lgkmcnt(0)
	v_mov_b32_e32 v2, s1
	v_add_co_u32_e32 v0, vcc, s0, v0
	v_addc_co_u32_e32 v1, vcc, v2, v1, vcc
	global_store_dwordx4 v[0:1], v[12:15], off
	global_store_dwordx4 v[0:1], v[3:6], off offset:16
                                        ; implicit-def: $vgpr5
                                        ; implicit-def: $vgpr1_vgpr2
                                        ; implicit-def: $vgpr12_vgpr13
                                        ; implicit-def: $vgpr3_vgpr4
                                        ; implicit-def: $vgpr10_vgpr11
                                        ; implicit-def: $vgpr6_vgpr7
                                        ; implicit-def: $vgpr8_vgpr9
.LBB42_21:
	s_andn2_saveexec_b64 s[2:3], s[2:3]
	s_cbranch_execz .LBB42_23
; %bb.22:
	v_lshlrev_b32_e32 v14, 2, v5
	v_ashrrev_i32_e32 v15, 31, v14
	v_lshlrev_b64 v[14:15], 3, v[14:15]
	s_waitcnt lgkmcnt(0)
	v_mov_b32_e32 v0, s1
	v_add_co_u32_e32 v22, vcc, s0, v14
	v_addc_co_u32_e32 v23, vcc, v0, v15, vcc
	global_load_dwordx4 v[14:17], v[22:23], off
	global_load_dwordx4 v[18:21], v[22:23], off offset:16
	v_mul_f64 v[12:13], v[1:2], v[12:13]
	v_mul_f64 v[10:11], v[1:2], v[10:11]
	;; [unrolled: 1-line block ×4, first 2 shown]
	s_waitcnt vmcnt(1)
	v_fma_f64 v[5:6], v[3:4], v[14:15], v[12:13]
	v_fma_f64 v[7:8], v[3:4], v[16:17], v[10:11]
	s_waitcnt vmcnt(0)
	v_fma_f64 v[0:1], v[3:4], v[18:19], v[24:25]
	v_fma_f64 v[2:3], v[3:4], v[20:21], v[26:27]
	global_store_dwordx4 v[22:23], v[5:8], off
	global_store_dwordx4 v[22:23], v[0:3], off offset:16
.LBB42_23:
	s_endpgm
	.section	.rodata,"a",@progbits
	.p2align	6, 0x0
	.amdhsa_kernel _ZN9rocsparseL19gebsrmvn_4xn_kernelILj128ELj2ELj4EdEEvi20rocsparse_direction_NS_24const_host_device_scalarIT2_EEPKiS6_PKS3_S8_S4_PS3_21rocsparse_index_base_b
		.amdhsa_group_segment_fixed_size 0
		.amdhsa_private_segment_fixed_size 0
		.amdhsa_kernarg_size 72
		.amdhsa_user_sgpr_count 6
		.amdhsa_user_sgpr_private_segment_buffer 1
		.amdhsa_user_sgpr_dispatch_ptr 0
		.amdhsa_user_sgpr_queue_ptr 0
		.amdhsa_user_sgpr_kernarg_segment_ptr 1
		.amdhsa_user_sgpr_dispatch_id 0
		.amdhsa_user_sgpr_flat_scratch_init 0
		.amdhsa_user_sgpr_private_segment_size 0
		.amdhsa_uses_dynamic_stack 0
		.amdhsa_system_sgpr_private_segment_wavefront_offset 0
		.amdhsa_system_sgpr_workgroup_id_x 1
		.amdhsa_system_sgpr_workgroup_id_y 0
		.amdhsa_system_sgpr_workgroup_id_z 0
		.amdhsa_system_sgpr_workgroup_info 0
		.amdhsa_system_vgpr_workitem_id 0
		.amdhsa_next_free_vgpr 47
		.amdhsa_next_free_sgpr 16
		.amdhsa_reserve_vcc 1
		.amdhsa_reserve_flat_scratch 0
		.amdhsa_float_round_mode_32 0
		.amdhsa_float_round_mode_16_64 0
		.amdhsa_float_denorm_mode_32 3
		.amdhsa_float_denorm_mode_16_64 3
		.amdhsa_dx10_clamp 1
		.amdhsa_ieee_mode 1
		.amdhsa_fp16_overflow 0
		.amdhsa_exception_fp_ieee_invalid_op 0
		.amdhsa_exception_fp_denorm_src 0
		.amdhsa_exception_fp_ieee_div_zero 0
		.amdhsa_exception_fp_ieee_overflow 0
		.amdhsa_exception_fp_ieee_underflow 0
		.amdhsa_exception_fp_ieee_inexact 0
		.amdhsa_exception_int_div_zero 0
	.end_amdhsa_kernel
	.section	.text._ZN9rocsparseL19gebsrmvn_4xn_kernelILj128ELj2ELj4EdEEvi20rocsparse_direction_NS_24const_host_device_scalarIT2_EEPKiS6_PKS3_S8_S4_PS3_21rocsparse_index_base_b,"axG",@progbits,_ZN9rocsparseL19gebsrmvn_4xn_kernelILj128ELj2ELj4EdEEvi20rocsparse_direction_NS_24const_host_device_scalarIT2_EEPKiS6_PKS3_S8_S4_PS3_21rocsparse_index_base_b,comdat
.Lfunc_end42:
	.size	_ZN9rocsparseL19gebsrmvn_4xn_kernelILj128ELj2ELj4EdEEvi20rocsparse_direction_NS_24const_host_device_scalarIT2_EEPKiS6_PKS3_S8_S4_PS3_21rocsparse_index_base_b, .Lfunc_end42-_ZN9rocsparseL19gebsrmvn_4xn_kernelILj128ELj2ELj4EdEEvi20rocsparse_direction_NS_24const_host_device_scalarIT2_EEPKiS6_PKS3_S8_S4_PS3_21rocsparse_index_base_b
                                        ; -- End function
	.set _ZN9rocsparseL19gebsrmvn_4xn_kernelILj128ELj2ELj4EdEEvi20rocsparse_direction_NS_24const_host_device_scalarIT2_EEPKiS6_PKS3_S8_S4_PS3_21rocsparse_index_base_b.num_vgpr, 47
	.set _ZN9rocsparseL19gebsrmvn_4xn_kernelILj128ELj2ELj4EdEEvi20rocsparse_direction_NS_24const_host_device_scalarIT2_EEPKiS6_PKS3_S8_S4_PS3_21rocsparse_index_base_b.num_agpr, 0
	.set _ZN9rocsparseL19gebsrmvn_4xn_kernelILj128ELj2ELj4EdEEvi20rocsparse_direction_NS_24const_host_device_scalarIT2_EEPKiS6_PKS3_S8_S4_PS3_21rocsparse_index_base_b.numbered_sgpr, 16
	.set _ZN9rocsparseL19gebsrmvn_4xn_kernelILj128ELj2ELj4EdEEvi20rocsparse_direction_NS_24const_host_device_scalarIT2_EEPKiS6_PKS3_S8_S4_PS3_21rocsparse_index_base_b.num_named_barrier, 0
	.set _ZN9rocsparseL19gebsrmvn_4xn_kernelILj128ELj2ELj4EdEEvi20rocsparse_direction_NS_24const_host_device_scalarIT2_EEPKiS6_PKS3_S8_S4_PS3_21rocsparse_index_base_b.private_seg_size, 0
	.set _ZN9rocsparseL19gebsrmvn_4xn_kernelILj128ELj2ELj4EdEEvi20rocsparse_direction_NS_24const_host_device_scalarIT2_EEPKiS6_PKS3_S8_S4_PS3_21rocsparse_index_base_b.uses_vcc, 1
	.set _ZN9rocsparseL19gebsrmvn_4xn_kernelILj128ELj2ELj4EdEEvi20rocsparse_direction_NS_24const_host_device_scalarIT2_EEPKiS6_PKS3_S8_S4_PS3_21rocsparse_index_base_b.uses_flat_scratch, 0
	.set _ZN9rocsparseL19gebsrmvn_4xn_kernelILj128ELj2ELj4EdEEvi20rocsparse_direction_NS_24const_host_device_scalarIT2_EEPKiS6_PKS3_S8_S4_PS3_21rocsparse_index_base_b.has_dyn_sized_stack, 0
	.set _ZN9rocsparseL19gebsrmvn_4xn_kernelILj128ELj2ELj4EdEEvi20rocsparse_direction_NS_24const_host_device_scalarIT2_EEPKiS6_PKS3_S8_S4_PS3_21rocsparse_index_base_b.has_recursion, 0
	.set _ZN9rocsparseL19gebsrmvn_4xn_kernelILj128ELj2ELj4EdEEvi20rocsparse_direction_NS_24const_host_device_scalarIT2_EEPKiS6_PKS3_S8_S4_PS3_21rocsparse_index_base_b.has_indirect_call, 0
	.section	.AMDGPU.csdata,"",@progbits
; Kernel info:
; codeLenInByte = 1356
; TotalNumSgprs: 20
; NumVgprs: 47
; ScratchSize: 0
; MemoryBound: 0
; FloatMode: 240
; IeeeMode: 1
; LDSByteSize: 0 bytes/workgroup (compile time only)
; SGPRBlocks: 2
; VGPRBlocks: 11
; NumSGPRsForWavesPerEU: 20
; NumVGPRsForWavesPerEU: 47
; Occupancy: 5
; WaveLimiterHint : 1
; COMPUTE_PGM_RSRC2:SCRATCH_EN: 0
; COMPUTE_PGM_RSRC2:USER_SGPR: 6
; COMPUTE_PGM_RSRC2:TRAP_HANDLER: 0
; COMPUTE_PGM_RSRC2:TGID_X_EN: 1
; COMPUTE_PGM_RSRC2:TGID_Y_EN: 0
; COMPUTE_PGM_RSRC2:TGID_Z_EN: 0
; COMPUTE_PGM_RSRC2:TIDIG_COMP_CNT: 0
	.section	.text._ZN9rocsparseL19gebsrmvn_4xn_kernelILj128ELj2ELj8EdEEvi20rocsparse_direction_NS_24const_host_device_scalarIT2_EEPKiS6_PKS3_S8_S4_PS3_21rocsparse_index_base_b,"axG",@progbits,_ZN9rocsparseL19gebsrmvn_4xn_kernelILj128ELj2ELj8EdEEvi20rocsparse_direction_NS_24const_host_device_scalarIT2_EEPKiS6_PKS3_S8_S4_PS3_21rocsparse_index_base_b,comdat
	.globl	_ZN9rocsparseL19gebsrmvn_4xn_kernelILj128ELj2ELj8EdEEvi20rocsparse_direction_NS_24const_host_device_scalarIT2_EEPKiS6_PKS3_S8_S4_PS3_21rocsparse_index_base_b ; -- Begin function _ZN9rocsparseL19gebsrmvn_4xn_kernelILj128ELj2ELj8EdEEvi20rocsparse_direction_NS_24const_host_device_scalarIT2_EEPKiS6_PKS3_S8_S4_PS3_21rocsparse_index_base_b
	.p2align	8
	.type	_ZN9rocsparseL19gebsrmvn_4xn_kernelILj128ELj2ELj8EdEEvi20rocsparse_direction_NS_24const_host_device_scalarIT2_EEPKiS6_PKS3_S8_S4_PS3_21rocsparse_index_base_b,@function
_ZN9rocsparseL19gebsrmvn_4xn_kernelILj128ELj2ELj8EdEEvi20rocsparse_direction_NS_24const_host_device_scalarIT2_EEPKiS6_PKS3_S8_S4_PS3_21rocsparse_index_base_b: ; @_ZN9rocsparseL19gebsrmvn_4xn_kernelILj128ELj2ELj8EdEEvi20rocsparse_direction_NS_24const_host_device_scalarIT2_EEPKiS6_PKS3_S8_S4_PS3_21rocsparse_index_base_b
; %bb.0:
	s_load_dwordx2 s[2:3], s[4:5], 0x40
	s_load_dwordx2 s[10:11], s[4:5], 0x8
	;; [unrolled: 1-line block ×3, first 2 shown]
	s_waitcnt lgkmcnt(0)
	s_bitcmp1_b32 s3, 0
	s_cselect_b64 s[12:13], -1, 0
	v_mov_b32_e32 v1, s10
	s_xor_b64 s[8:9], s[12:13], -1
	s_and_b64 vcc, exec, s[12:13]
	v_mov_b32_e32 v2, s11
	s_cbranch_vccnz .LBB43_2
; %bb.1:
	v_mov_b32_e32 v1, s10
	v_mov_b32_e32 v2, s11
	flat_load_dwordx2 v[1:2], v[1:2]
.LBB43_2:
	v_mov_b32_e32 v4, s1
	s_andn2_b64 vcc, exec, s[8:9]
	v_mov_b32_e32 v3, s0
	s_cbranch_vccnz .LBB43_4
; %bb.3:
	v_mov_b32_e32 v4, s1
	v_mov_b32_e32 v3, s0
	flat_load_dwordx2 v[3:4], v[3:4]
.LBB43_4:
	s_waitcnt vmcnt(0) lgkmcnt(0)
	v_cmp_neq_f64_e32 vcc, 0, v[1:2]
	v_cmp_neq_f64_e64 s[0:1], 1.0, v[3:4]
	s_or_b64 s[0:1], vcc, s[0:1]
	s_and_saveexec_b64 s[8:9], s[0:1]
	s_cbranch_execz .LBB43_23
; %bb.5:
	s_load_dwordx2 s[0:1], s[4:5], 0x0
	v_lshrrev_b32_e32 v5, 3, v0
	v_lshl_or_b32 v5, s6, 4, v5
	s_waitcnt lgkmcnt(0)
	v_cmp_gt_i32_e32 vcc, s0, v5
	s_and_b64 exec, exec, vcc
	s_cbranch_execz .LBB43_23
; %bb.6:
	s_load_dwordx8 s[8:15], s[4:5], 0x10
	v_ashrrev_i32_e32 v6, 31, v5
	v_lshlrev_b64 v[6:7], 2, v[5:6]
	v_and_b32_e32 v0, 7, v0
	s_cmp_lg_u32 s1, 0
	s_waitcnt lgkmcnt(0)
	v_mov_b32_e32 v8, s9
	v_add_co_u32_e32 v6, vcc, s8, v6
	v_addc_co_u32_e32 v7, vcc, v8, v7, vcc
	global_load_dwordx2 v[6:7], v[6:7], off
	s_waitcnt vmcnt(0)
	v_subrev_u32_e32 v6, s2, v6
	v_subrev_u32_e32 v20, s2, v7
	v_add_u32_e32 v12, v6, v0
	v_cmp_lt_i32_e64 s[0:1], v12, v20
	s_cbranch_scc0 .LBB43_12
; %bb.7:
	v_mov_b32_e32 v8, 0
	v_mov_b32_e32 v6, 0
	;; [unrolled: 1-line block ×8, first 2 shown]
	s_and_saveexec_b64 s[6:7], s[0:1]
	s_cbranch_execz .LBB43_11
; %bb.8:
	v_mov_b32_e32 v8, 0
	v_mov_b32_e32 v6, 0
	;; [unrolled: 1-line block ×4, first 2 shown]
	v_lshlrev_b32_e32 v16, 3, v12
	v_mov_b32_e32 v9, 0
	s_mov_b64 s[8:9], 0
	v_mov_b32_e32 v13, s11
	v_mov_b32_e32 v17, 0
	;; [unrolled: 1-line block ×8, first 2 shown]
.LBB43_9:                               ; =>This Inner Loop Header: Depth=1
	v_ashrrev_i32_e32 v19, 31, v18
	v_lshlrev_b64 v[23:24], 2, v[18:19]
	v_mov_b32_e32 v32, v17
	v_add_co_u32_e32 v23, vcc, s10, v23
	v_addc_co_u32_e32 v24, vcc, v13, v24, vcc
	global_load_dword v19, v[23:24], off
	v_lshlrev_b64 v[23:24], 3, v[16:17]
	v_add_u32_e32 v18, 8, v18
	v_add_co_u32_e32 v43, vcc, s12, v23
	v_addc_co_u32_e32 v44, vcc, v21, v24, vcc
	global_load_dwordx4 v[23:26], v[43:44], off
	global_load_dwordx4 v[27:30], v[43:44], off offset:16
	v_add_u32_e32 v16, 64, v16
	s_waitcnt vmcnt(2)
	v_subrev_u32_e32 v19, s2, v19
	v_lshlrev_b32_e32 v31, 1, v19
	v_lshlrev_b64 v[31:32], 3, v[31:32]
	v_add_co_u32_e32 v45, vcc, s14, v31
	v_addc_co_u32_e32 v46, vcc, v22, v32, vcc
	global_load_dwordx4 v[31:34], v[45:46], off
	global_load_dwordx4 v[35:38], v[43:44], off offset:32
	global_load_dwordx4 v[39:42], v[43:44], off offset:48
	v_cmp_ge_i32_e32 vcc, v18, v20
	s_or_b64 s[8:9], vcc, s[8:9]
	s_waitcnt vmcnt(2)
	v_fma_f64 v[8:9], v[23:24], v[31:32], v[8:9]
	v_fma_f64 v[14:15], v[25:26], v[31:32], v[14:15]
	;; [unrolled: 1-line block ×4, first 2 shown]
	s_waitcnt vmcnt(1)
	v_fma_f64 v[8:9], v[35:36], v[33:34], v[8:9]
	v_fma_f64 v[14:15], v[37:38], v[33:34], v[14:15]
	s_waitcnt vmcnt(0)
	v_fma_f64 v[10:11], v[39:40], v[33:34], v[10:11]
	v_fma_f64 v[6:7], v[41:42], v[33:34], v[6:7]
	s_andn2_b64 exec, exec, s[8:9]
	s_cbranch_execnz .LBB43_9
; %bb.10:
	s_or_b64 exec, exec, s[8:9]
.LBB43_11:
	s_or_b64 exec, exec, s[6:7]
	s_cbranch_execz .LBB43_13
	s_branch .LBB43_18
.LBB43_12:
                                        ; implicit-def: $vgpr8_vgpr9
                                        ; implicit-def: $vgpr6_vgpr7
                                        ; implicit-def: $vgpr10_vgpr11
                                        ; implicit-def: $vgpr14_vgpr15
.LBB43_13:
	v_mov_b32_e32 v8, 0
	v_mov_b32_e32 v6, 0
	;; [unrolled: 1-line block ×8, first 2 shown]
	s_and_saveexec_b64 s[6:7], s[0:1]
	s_cbranch_execz .LBB43_17
; %bb.14:
	v_mov_b32_e32 v8, 0
	v_mov_b32_e32 v6, 0
	;; [unrolled: 1-line block ×4, first 2 shown]
	v_lshlrev_b32_e32 v16, 3, v12
	v_mov_b32_e32 v9, 0
	s_mov_b64 s[0:1], 0
	v_mov_b32_e32 v18, s11
	v_mov_b32_e32 v17, 0
	;; [unrolled: 1-line block ×7, first 2 shown]
.LBB43_15:                              ; =>This Inner Loop Header: Depth=1
	v_lshlrev_b64 v[22:23], 3, v[16:17]
	v_ashrrev_i32_e32 v13, 31, v12
	v_lshlrev_b64 v[24:25], 2, v[12:13]
	v_add_co_u32_e32 v38, vcc, s12, v22
	v_addc_co_u32_e32 v39, vcc, v19, v23, vcc
	v_add_co_u32_e32 v32, vcc, s10, v24
	v_addc_co_u32_e32 v33, vcc, v18, v25, vcc
	global_load_dwordx4 v[22:25], v[38:39], off
	global_load_dwordx4 v[26:29], v[38:39], off offset:16
	global_load_dword v13, v[32:33], off
	v_mov_b32_e32 v31, v17
	v_add_u32_e32 v12, 8, v12
	v_add_u32_e32 v16, 64, v16
	s_waitcnt vmcnt(0)
	v_subrev_u32_e32 v13, s2, v13
	v_lshlrev_b32_e32 v30, 1, v13
	v_lshlrev_b64 v[30:31], 3, v[30:31]
	v_add_co_u32_e32 v30, vcc, s14, v30
	v_addc_co_u32_e32 v31, vcc, v21, v31, vcc
	global_load_dwordx4 v[30:33], v[30:31], off
	v_cmp_ge_i32_e32 vcc, v12, v20
	s_or_b64 s[0:1], vcc, s[0:1]
	s_waitcnt vmcnt(0)
	v_fma_f64 v[8:9], v[22:23], v[30:31], v[8:9]
	v_fma_f64 v[13:14], v[26:27], v[30:31], v[14:15]
	;; [unrolled: 1-line block ×3, first 2 shown]
	global_load_dwordx4 v[22:25], v[38:39], off offset:32
	global_load_dwordx4 v[34:37], v[38:39], off offset:48
	v_fma_f64 v[14:15], v[28:29], v[32:33], v[13:14]
	s_waitcnt vmcnt(1)
	v_fma_f64 v[10:11], v[22:23], v[30:31], v[10:11]
	s_waitcnt vmcnt(0)
	v_fma_f64 v[6:7], v[34:35], v[30:31], v[6:7]
	v_fma_f64 v[10:11], v[24:25], v[32:33], v[10:11]
	;; [unrolled: 1-line block ×3, first 2 shown]
	s_andn2_b64 exec, exec, s[0:1]
	s_cbranch_execnz .LBB43_15
; %bb.16:
	s_or_b64 exec, exec, s[0:1]
.LBB43_17:
	s_or_b64 exec, exec, s[6:7]
.LBB43_18:
	v_mov_b32_dpp v12, v8 row_shr:1 row_mask:0xf bank_mask:0xf
	v_mov_b32_dpp v13, v9 row_shr:1 row_mask:0xf bank_mask:0xf
	v_add_f64 v[8:9], v[8:9], v[12:13]
	v_mov_b32_dpp v12, v14 row_shr:1 row_mask:0xf bank_mask:0xf
	v_mov_b32_dpp v13, v15 row_shr:1 row_mask:0xf bank_mask:0xf
	;; [unrolled: 1-line block ×4, first 2 shown]
	v_add_f64 v[12:13], v[14:15], v[12:13]
	v_add_f64 v[10:11], v[10:11], v[16:17]
	v_mov_b32_dpp v16, v6 row_shr:1 row_mask:0xf bank_mask:0xf
	v_mov_b32_dpp v17, v7 row_shr:1 row_mask:0xf bank_mask:0xf
	v_add_f64 v[16:17], v[6:7], v[16:17]
	v_mov_b32_dpp v14, v8 row_shr:2 row_mask:0xf bank_mask:0xf
	v_mov_b32_dpp v15, v9 row_shr:2 row_mask:0xf bank_mask:0xf
	;; [unrolled: 3-line block ×6, first 2 shown]
	v_mov_b32_dpp v10, v8 row_shr:4 row_mask:0xf bank_mask:0xe
	v_mov_b32_dpp v11, v9 row_shr:4 row_mask:0xf bank_mask:0xe
	;; [unrolled: 1-line block ×4, first 2 shown]
	v_cmp_eq_u32_e32 vcc, 7, v0
	v_mov_b32_dpp v18, v16 row_shr:4 row_mask:0xf bank_mask:0xe
	v_mov_b32_dpp v19, v17 row_shr:4 row_mask:0xf bank_mask:0xe
	s_and_b64 exec, exec, vcc
	s_cbranch_execz .LBB43_23
; %bb.19:
	v_add_f64 v[12:13], v[6:7], v[12:13]
	v_add_f64 v[10:11], v[8:9], v[10:11]
	;; [unrolled: 1-line block ×4, first 2 shown]
	v_cmp_eq_f64_e32 vcc, 0, v[3:4]
	s_load_dwordx2 s[0:1], s[4:5], 0x38
	s_and_saveexec_b64 s[2:3], vcc
	s_xor_b64 s[2:3], exec, s[2:3]
	s_cbranch_execz .LBB43_21
; %bb.20:
	v_mul_f64 v[12:13], v[1:2], v[12:13]
	v_mul_f64 v[14:15], v[1:2], v[10:11]
	v_lshlrev_b32_e32 v16, 2, v5
	v_mul_f64 v[3:4], v[1:2], v[6:7]
	v_mul_f64 v[5:6], v[1:2], v[8:9]
	v_ashrrev_i32_e32 v17, 31, v16
	v_lshlrev_b64 v[0:1], 3, v[16:17]
	s_waitcnt lgkmcnt(0)
	v_mov_b32_e32 v2, s1
	v_add_co_u32_e32 v0, vcc, s0, v0
	v_addc_co_u32_e32 v1, vcc, v2, v1, vcc
	global_store_dwordx4 v[0:1], v[12:15], off
	global_store_dwordx4 v[0:1], v[3:6], off offset:16
                                        ; implicit-def: $vgpr5
                                        ; implicit-def: $vgpr1_vgpr2
                                        ; implicit-def: $vgpr12_vgpr13
                                        ; implicit-def: $vgpr3_vgpr4
                                        ; implicit-def: $vgpr10_vgpr11
                                        ; implicit-def: $vgpr6_vgpr7
                                        ; implicit-def: $vgpr8_vgpr9
.LBB43_21:
	s_andn2_saveexec_b64 s[2:3], s[2:3]
	s_cbranch_execz .LBB43_23
; %bb.22:
	v_lshlrev_b32_e32 v14, 2, v5
	v_ashrrev_i32_e32 v15, 31, v14
	v_lshlrev_b64 v[14:15], 3, v[14:15]
	s_waitcnt lgkmcnt(0)
	v_mov_b32_e32 v0, s1
	v_add_co_u32_e32 v22, vcc, s0, v14
	v_addc_co_u32_e32 v23, vcc, v0, v15, vcc
	global_load_dwordx4 v[14:17], v[22:23], off
	global_load_dwordx4 v[18:21], v[22:23], off offset:16
	v_mul_f64 v[12:13], v[1:2], v[12:13]
	v_mul_f64 v[10:11], v[1:2], v[10:11]
	;; [unrolled: 1-line block ×4, first 2 shown]
	s_waitcnt vmcnt(1)
	v_fma_f64 v[5:6], v[3:4], v[14:15], v[12:13]
	v_fma_f64 v[7:8], v[3:4], v[16:17], v[10:11]
	s_waitcnt vmcnt(0)
	v_fma_f64 v[0:1], v[3:4], v[18:19], v[24:25]
	v_fma_f64 v[2:3], v[3:4], v[20:21], v[26:27]
	global_store_dwordx4 v[22:23], v[5:8], off
	global_store_dwordx4 v[22:23], v[0:3], off offset:16
.LBB43_23:
	s_endpgm
	.section	.rodata,"a",@progbits
	.p2align	6, 0x0
	.amdhsa_kernel _ZN9rocsparseL19gebsrmvn_4xn_kernelILj128ELj2ELj8EdEEvi20rocsparse_direction_NS_24const_host_device_scalarIT2_EEPKiS6_PKS3_S8_S4_PS3_21rocsparse_index_base_b
		.amdhsa_group_segment_fixed_size 0
		.amdhsa_private_segment_fixed_size 0
		.amdhsa_kernarg_size 72
		.amdhsa_user_sgpr_count 6
		.amdhsa_user_sgpr_private_segment_buffer 1
		.amdhsa_user_sgpr_dispatch_ptr 0
		.amdhsa_user_sgpr_queue_ptr 0
		.amdhsa_user_sgpr_kernarg_segment_ptr 1
		.amdhsa_user_sgpr_dispatch_id 0
		.amdhsa_user_sgpr_flat_scratch_init 0
		.amdhsa_user_sgpr_private_segment_size 0
		.amdhsa_uses_dynamic_stack 0
		.amdhsa_system_sgpr_private_segment_wavefront_offset 0
		.amdhsa_system_sgpr_workgroup_id_x 1
		.amdhsa_system_sgpr_workgroup_id_y 0
		.amdhsa_system_sgpr_workgroup_id_z 0
		.amdhsa_system_sgpr_workgroup_info 0
		.amdhsa_system_vgpr_workitem_id 0
		.amdhsa_next_free_vgpr 47
		.amdhsa_next_free_sgpr 16
		.amdhsa_reserve_vcc 1
		.amdhsa_reserve_flat_scratch 0
		.amdhsa_float_round_mode_32 0
		.amdhsa_float_round_mode_16_64 0
		.amdhsa_float_denorm_mode_32 3
		.amdhsa_float_denorm_mode_16_64 3
		.amdhsa_dx10_clamp 1
		.amdhsa_ieee_mode 1
		.amdhsa_fp16_overflow 0
		.amdhsa_exception_fp_ieee_invalid_op 0
		.amdhsa_exception_fp_denorm_src 0
		.amdhsa_exception_fp_ieee_div_zero 0
		.amdhsa_exception_fp_ieee_overflow 0
		.amdhsa_exception_fp_ieee_underflow 0
		.amdhsa_exception_fp_ieee_inexact 0
		.amdhsa_exception_int_div_zero 0
	.end_amdhsa_kernel
	.section	.text._ZN9rocsparseL19gebsrmvn_4xn_kernelILj128ELj2ELj8EdEEvi20rocsparse_direction_NS_24const_host_device_scalarIT2_EEPKiS6_PKS3_S8_S4_PS3_21rocsparse_index_base_b,"axG",@progbits,_ZN9rocsparseL19gebsrmvn_4xn_kernelILj128ELj2ELj8EdEEvi20rocsparse_direction_NS_24const_host_device_scalarIT2_EEPKiS6_PKS3_S8_S4_PS3_21rocsparse_index_base_b,comdat
.Lfunc_end43:
	.size	_ZN9rocsparseL19gebsrmvn_4xn_kernelILj128ELj2ELj8EdEEvi20rocsparse_direction_NS_24const_host_device_scalarIT2_EEPKiS6_PKS3_S8_S4_PS3_21rocsparse_index_base_b, .Lfunc_end43-_ZN9rocsparseL19gebsrmvn_4xn_kernelILj128ELj2ELj8EdEEvi20rocsparse_direction_NS_24const_host_device_scalarIT2_EEPKiS6_PKS3_S8_S4_PS3_21rocsparse_index_base_b
                                        ; -- End function
	.set _ZN9rocsparseL19gebsrmvn_4xn_kernelILj128ELj2ELj8EdEEvi20rocsparse_direction_NS_24const_host_device_scalarIT2_EEPKiS6_PKS3_S8_S4_PS3_21rocsparse_index_base_b.num_vgpr, 47
	.set _ZN9rocsparseL19gebsrmvn_4xn_kernelILj128ELj2ELj8EdEEvi20rocsparse_direction_NS_24const_host_device_scalarIT2_EEPKiS6_PKS3_S8_S4_PS3_21rocsparse_index_base_b.num_agpr, 0
	.set _ZN9rocsparseL19gebsrmvn_4xn_kernelILj128ELj2ELj8EdEEvi20rocsparse_direction_NS_24const_host_device_scalarIT2_EEPKiS6_PKS3_S8_S4_PS3_21rocsparse_index_base_b.numbered_sgpr, 16
	.set _ZN9rocsparseL19gebsrmvn_4xn_kernelILj128ELj2ELj8EdEEvi20rocsparse_direction_NS_24const_host_device_scalarIT2_EEPKiS6_PKS3_S8_S4_PS3_21rocsparse_index_base_b.num_named_barrier, 0
	.set _ZN9rocsparseL19gebsrmvn_4xn_kernelILj128ELj2ELj8EdEEvi20rocsparse_direction_NS_24const_host_device_scalarIT2_EEPKiS6_PKS3_S8_S4_PS3_21rocsparse_index_base_b.private_seg_size, 0
	.set _ZN9rocsparseL19gebsrmvn_4xn_kernelILj128ELj2ELj8EdEEvi20rocsparse_direction_NS_24const_host_device_scalarIT2_EEPKiS6_PKS3_S8_S4_PS3_21rocsparse_index_base_b.uses_vcc, 1
	.set _ZN9rocsparseL19gebsrmvn_4xn_kernelILj128ELj2ELj8EdEEvi20rocsparse_direction_NS_24const_host_device_scalarIT2_EEPKiS6_PKS3_S8_S4_PS3_21rocsparse_index_base_b.uses_flat_scratch, 0
	.set _ZN9rocsparseL19gebsrmvn_4xn_kernelILj128ELj2ELj8EdEEvi20rocsparse_direction_NS_24const_host_device_scalarIT2_EEPKiS6_PKS3_S8_S4_PS3_21rocsparse_index_base_b.has_dyn_sized_stack, 0
	.set _ZN9rocsparseL19gebsrmvn_4xn_kernelILj128ELj2ELj8EdEEvi20rocsparse_direction_NS_24const_host_device_scalarIT2_EEPKiS6_PKS3_S8_S4_PS3_21rocsparse_index_base_b.has_recursion, 0
	.set _ZN9rocsparseL19gebsrmvn_4xn_kernelILj128ELj2ELj8EdEEvi20rocsparse_direction_NS_24const_host_device_scalarIT2_EEPKiS6_PKS3_S8_S4_PS3_21rocsparse_index_base_b.has_indirect_call, 0
	.section	.AMDGPU.csdata,"",@progbits
; Kernel info:
; codeLenInByte = 1452
; TotalNumSgprs: 20
; NumVgprs: 47
; ScratchSize: 0
; MemoryBound: 0
; FloatMode: 240
; IeeeMode: 1
; LDSByteSize: 0 bytes/workgroup (compile time only)
; SGPRBlocks: 2
; VGPRBlocks: 11
; NumSGPRsForWavesPerEU: 20
; NumVGPRsForWavesPerEU: 47
; Occupancy: 5
; WaveLimiterHint : 1
; COMPUTE_PGM_RSRC2:SCRATCH_EN: 0
; COMPUTE_PGM_RSRC2:USER_SGPR: 6
; COMPUTE_PGM_RSRC2:TRAP_HANDLER: 0
; COMPUTE_PGM_RSRC2:TGID_X_EN: 1
; COMPUTE_PGM_RSRC2:TGID_Y_EN: 0
; COMPUTE_PGM_RSRC2:TGID_Z_EN: 0
; COMPUTE_PGM_RSRC2:TIDIG_COMP_CNT: 0
	.section	.text._ZN9rocsparseL19gebsrmvn_4xn_kernelILj128ELj2ELj16EdEEvi20rocsparse_direction_NS_24const_host_device_scalarIT2_EEPKiS6_PKS3_S8_S4_PS3_21rocsparse_index_base_b,"axG",@progbits,_ZN9rocsparseL19gebsrmvn_4xn_kernelILj128ELj2ELj16EdEEvi20rocsparse_direction_NS_24const_host_device_scalarIT2_EEPKiS6_PKS3_S8_S4_PS3_21rocsparse_index_base_b,comdat
	.globl	_ZN9rocsparseL19gebsrmvn_4xn_kernelILj128ELj2ELj16EdEEvi20rocsparse_direction_NS_24const_host_device_scalarIT2_EEPKiS6_PKS3_S8_S4_PS3_21rocsparse_index_base_b ; -- Begin function _ZN9rocsparseL19gebsrmvn_4xn_kernelILj128ELj2ELj16EdEEvi20rocsparse_direction_NS_24const_host_device_scalarIT2_EEPKiS6_PKS3_S8_S4_PS3_21rocsparse_index_base_b
	.p2align	8
	.type	_ZN9rocsparseL19gebsrmvn_4xn_kernelILj128ELj2ELj16EdEEvi20rocsparse_direction_NS_24const_host_device_scalarIT2_EEPKiS6_PKS3_S8_S4_PS3_21rocsparse_index_base_b,@function
_ZN9rocsparseL19gebsrmvn_4xn_kernelILj128ELj2ELj16EdEEvi20rocsparse_direction_NS_24const_host_device_scalarIT2_EEPKiS6_PKS3_S8_S4_PS3_21rocsparse_index_base_b: ; @_ZN9rocsparseL19gebsrmvn_4xn_kernelILj128ELj2ELj16EdEEvi20rocsparse_direction_NS_24const_host_device_scalarIT2_EEPKiS6_PKS3_S8_S4_PS3_21rocsparse_index_base_b
; %bb.0:
	s_load_dwordx2 s[2:3], s[4:5], 0x40
	s_load_dwordx2 s[10:11], s[4:5], 0x8
	;; [unrolled: 1-line block ×3, first 2 shown]
	s_waitcnt lgkmcnt(0)
	s_bitcmp1_b32 s3, 0
	s_cselect_b64 s[12:13], -1, 0
	v_mov_b32_e32 v1, s10
	s_xor_b64 s[8:9], s[12:13], -1
	s_and_b64 vcc, exec, s[12:13]
	v_mov_b32_e32 v2, s11
	s_cbranch_vccnz .LBB44_2
; %bb.1:
	v_mov_b32_e32 v1, s10
	v_mov_b32_e32 v2, s11
	flat_load_dwordx2 v[1:2], v[1:2]
.LBB44_2:
	v_mov_b32_e32 v4, s1
	s_andn2_b64 vcc, exec, s[8:9]
	v_mov_b32_e32 v3, s0
	s_cbranch_vccnz .LBB44_4
; %bb.3:
	v_mov_b32_e32 v4, s1
	v_mov_b32_e32 v3, s0
	flat_load_dwordx2 v[3:4], v[3:4]
.LBB44_4:
	s_waitcnt vmcnt(0) lgkmcnt(0)
	v_cmp_neq_f64_e32 vcc, 0, v[1:2]
	v_cmp_neq_f64_e64 s[0:1], 1.0, v[3:4]
	s_or_b64 s[0:1], vcc, s[0:1]
	s_and_saveexec_b64 s[8:9], s[0:1]
	s_cbranch_execz .LBB44_23
; %bb.5:
	s_load_dwordx2 s[0:1], s[4:5], 0x0
	v_lshrrev_b32_e32 v5, 4, v0
	v_lshl_or_b32 v5, s6, 3, v5
	s_waitcnt lgkmcnt(0)
	v_cmp_gt_i32_e32 vcc, s0, v5
	s_and_b64 exec, exec, vcc
	s_cbranch_execz .LBB44_23
; %bb.6:
	s_load_dwordx8 s[8:15], s[4:5], 0x10
	v_ashrrev_i32_e32 v6, 31, v5
	v_lshlrev_b64 v[6:7], 2, v[5:6]
	v_and_b32_e32 v0, 15, v0
	s_cmp_lg_u32 s1, 0
	s_waitcnt lgkmcnt(0)
	v_mov_b32_e32 v8, s9
	v_add_co_u32_e32 v6, vcc, s8, v6
	v_addc_co_u32_e32 v7, vcc, v8, v7, vcc
	global_load_dwordx2 v[6:7], v[6:7], off
	s_waitcnt vmcnt(0)
	v_subrev_u32_e32 v6, s2, v6
	v_subrev_u32_e32 v19, s2, v7
	v_add_u32_e32 v14, v6, v0
	v_cmp_lt_i32_e64 s[0:1], v14, v19
	s_cbranch_scc0 .LBB44_12
; %bb.7:
	v_mov_b32_e32 v10, 0
	v_mov_b32_e32 v6, 0
	;; [unrolled: 1-line block ×8, first 2 shown]
	s_and_saveexec_b64 s[6:7], s[0:1]
	s_cbranch_execz .LBB44_11
; %bb.8:
	v_mov_b32_e32 v10, 0
	v_mov_b32_e32 v6, 0
	v_mov_b32_e32 v8, 0
	v_mov_b32_e32 v12, 0
	v_lshlrev_b32_e32 v15, 3, v14
	v_mov_b32_e32 v11, 0
	s_mov_b64 s[8:9], 0
	v_mov_b32_e32 v20, s11
	v_mov_b32_e32 v16, 0
	;; [unrolled: 1-line block ×8, first 2 shown]
.LBB44_9:                               ; =>This Inner Loop Header: Depth=1
	v_ashrrev_i32_e32 v18, 31, v17
	v_lshlrev_b64 v[23:24], 2, v[17:18]
	v_mov_b32_e32 v32, v16
	v_add_co_u32_e32 v23, vcc, s10, v23
	v_addc_co_u32_e32 v24, vcc, v20, v24, vcc
	global_load_dword v18, v[23:24], off
	v_lshlrev_b64 v[23:24], 3, v[15:16]
	v_add_u32_e32 v17, 16, v17
	v_add_co_u32_e32 v43, vcc, s12, v23
	v_addc_co_u32_e32 v44, vcc, v21, v24, vcc
	global_load_dwordx4 v[23:26], v[43:44], off
	global_load_dwordx4 v[27:30], v[43:44], off offset:16
	v_add_u32_e32 v15, 0x80, v15
	s_waitcnt vmcnt(2)
	v_subrev_u32_e32 v18, s2, v18
	v_lshlrev_b32_e32 v31, 1, v18
	v_lshlrev_b64 v[31:32], 3, v[31:32]
	v_add_co_u32_e32 v45, vcc, s14, v31
	v_addc_co_u32_e32 v46, vcc, v22, v32, vcc
	global_load_dwordx4 v[31:34], v[45:46], off
	global_load_dwordx4 v[35:38], v[43:44], off offset:32
	global_load_dwordx4 v[39:42], v[43:44], off offset:48
	v_cmp_ge_i32_e32 vcc, v17, v19
	s_or_b64 s[8:9], vcc, s[8:9]
	s_waitcnt vmcnt(2)
	v_fma_f64 v[10:11], v[23:24], v[31:32], v[10:11]
	v_fma_f64 v[12:13], v[25:26], v[31:32], v[12:13]
	;; [unrolled: 1-line block ×4, first 2 shown]
	s_waitcnt vmcnt(1)
	v_fma_f64 v[10:11], v[35:36], v[33:34], v[10:11]
	v_fma_f64 v[12:13], v[37:38], v[33:34], v[12:13]
	s_waitcnt vmcnt(0)
	v_fma_f64 v[8:9], v[39:40], v[33:34], v[8:9]
	v_fma_f64 v[6:7], v[41:42], v[33:34], v[6:7]
	s_andn2_b64 exec, exec, s[8:9]
	s_cbranch_execnz .LBB44_9
; %bb.10:
	s_or_b64 exec, exec, s[8:9]
.LBB44_11:
	s_or_b64 exec, exec, s[6:7]
	s_cbranch_execz .LBB44_13
	s_branch .LBB44_18
.LBB44_12:
                                        ; implicit-def: $vgpr10_vgpr11
                                        ; implicit-def: $vgpr6_vgpr7
                                        ; implicit-def: $vgpr8_vgpr9
                                        ; implicit-def: $vgpr12_vgpr13
.LBB44_13:
	v_mov_b32_e32 v10, 0
	v_mov_b32_e32 v6, 0
	;; [unrolled: 1-line block ×8, first 2 shown]
	s_and_saveexec_b64 s[6:7], s[0:1]
	s_cbranch_execz .LBB44_17
; %bb.14:
	v_mov_b32_e32 v10, 0
	v_mov_b32_e32 v6, 0
	;; [unrolled: 1-line block ×4, first 2 shown]
	v_lshlrev_b32_e32 v16, 3, v14
	v_mov_b32_e32 v11, 0
	s_mov_b64 s[0:1], 0
	v_mov_b32_e32 v18, s11
	v_mov_b32_e32 v17, 0
	;; [unrolled: 1-line block ×7, first 2 shown]
.LBB44_15:                              ; =>This Inner Loop Header: Depth=1
	v_lshlrev_b64 v[22:23], 3, v[16:17]
	v_ashrrev_i32_e32 v15, 31, v14
	v_lshlrev_b64 v[24:25], 2, v[14:15]
	v_add_co_u32_e32 v38, vcc, s12, v22
	v_addc_co_u32_e32 v39, vcc, v20, v23, vcc
	v_add_co_u32_e32 v32, vcc, s10, v24
	v_addc_co_u32_e32 v33, vcc, v18, v25, vcc
	global_load_dwordx4 v[22:25], v[38:39], off
	global_load_dwordx4 v[26:29], v[38:39], off offset:16
	global_load_dword v15, v[32:33], off
	v_mov_b32_e32 v31, v17
	v_add_u32_e32 v14, 16, v14
	v_add_u32_e32 v16, 0x80, v16
	s_waitcnt vmcnt(0)
	v_subrev_u32_e32 v15, s2, v15
	v_lshlrev_b32_e32 v30, 1, v15
	v_lshlrev_b64 v[30:31], 3, v[30:31]
	v_add_co_u32_e32 v30, vcc, s14, v30
	v_addc_co_u32_e32 v31, vcc, v21, v31, vcc
	global_load_dwordx4 v[30:33], v[30:31], off
	v_cmp_ge_i32_e32 vcc, v14, v19
	s_or_b64 s[0:1], vcc, s[0:1]
	s_waitcnt vmcnt(0)
	v_fma_f64 v[10:11], v[22:23], v[30:31], v[10:11]
	v_fma_f64 v[12:13], v[26:27], v[30:31], v[12:13]
	v_fma_f64 v[10:11], v[24:25], v[32:33], v[10:11]
	global_load_dwordx4 v[22:25], v[38:39], off offset:32
	global_load_dwordx4 v[34:37], v[38:39], off offset:48
	v_fma_f64 v[12:13], v[28:29], v[32:33], v[12:13]
	s_waitcnt vmcnt(1)
	v_fma_f64 v[8:9], v[22:23], v[30:31], v[8:9]
	s_waitcnt vmcnt(0)
	v_fma_f64 v[6:7], v[34:35], v[30:31], v[6:7]
	v_fma_f64 v[8:9], v[24:25], v[32:33], v[8:9]
	;; [unrolled: 1-line block ×3, first 2 shown]
	s_andn2_b64 exec, exec, s[0:1]
	s_cbranch_execnz .LBB44_15
; %bb.16:
	s_or_b64 exec, exec, s[0:1]
.LBB44_17:
	s_or_b64 exec, exec, s[6:7]
.LBB44_18:
	v_mov_b32_dpp v14, v10 row_shr:1 row_mask:0xf bank_mask:0xf
	v_mov_b32_dpp v15, v11 row_shr:1 row_mask:0xf bank_mask:0xf
	v_add_f64 v[10:11], v[10:11], v[14:15]
	v_mov_b32_dpp v14, v12 row_shr:1 row_mask:0xf bank_mask:0xf
	v_mov_b32_dpp v15, v13 row_shr:1 row_mask:0xf bank_mask:0xf
	;; [unrolled: 1-line block ×3, first 2 shown]
	v_add_f64 v[12:13], v[12:13], v[14:15]
	v_mov_b32_dpp v17, v9 row_shr:1 row_mask:0xf bank_mask:0xf
	v_add_f64 v[8:9], v[8:9], v[16:17]
	v_cmp_eq_u32_e32 vcc, 15, v0
	v_mov_b32_dpp v14, v10 row_shr:2 row_mask:0xf bank_mask:0xf
	v_mov_b32_dpp v15, v11 row_shr:2 row_mask:0xf bank_mask:0xf
	v_add_f64 v[10:11], v[10:11], v[14:15]
	v_mov_b32_dpp v14, v6 row_shr:1 row_mask:0xf bank_mask:0xf
	v_mov_b32_dpp v15, v7 row_shr:1 row_mask:0xf bank_mask:0xf
	v_add_f64 v[6:7], v[6:7], v[14:15]
	;; [unrolled: 3-line block ×4, first 2 shown]
	v_mov_b32_dpp v16, v10 row_shr:4 row_mask:0xf bank_mask:0xe
	v_mov_b32_dpp v8, v6 row_shr:2 row_mask:0xf bank_mask:0xf
	;; [unrolled: 1-line block ×3, first 2 shown]
	v_add_f64 v[18:19], v[6:7], v[8:9]
	v_mov_b32_dpp v17, v11 row_shr:4 row_mask:0xf bank_mask:0xe
	v_add_f64 v[6:7], v[10:11], v[16:17]
	v_mov_b32_dpp v8, v12 row_shr:4 row_mask:0xf bank_mask:0xe
	v_mov_b32_dpp v10, v14 row_shr:4 row_mask:0xf bank_mask:0xe
	;; [unrolled: 1-line block ×4, first 2 shown]
	v_add_f64 v[14:15], v[14:15], v[10:11]
	v_mov_b32_dpp v10, v18 row_shr:4 row_mask:0xf bank_mask:0xe
	v_mov_b32_dpp v11, v19 row_shr:4 row_mask:0xf bank_mask:0xe
	v_add_f64 v[8:9], v[12:13], v[8:9]
	v_add_f64 v[16:17], v[18:19], v[10:11]
	v_mov_b32_dpp v12, v6 row_shr:8 row_mask:0xf bank_mask:0xc
	v_mov_b32_dpp v13, v7 row_shr:8 row_mask:0xf bank_mask:0xc
	;; [unrolled: 1-line block ×8, first 2 shown]
	s_and_b64 exec, exec, vcc
	s_cbranch_execz .LBB44_23
; %bb.19:
	v_add_f64 v[12:13], v[6:7], v[12:13]
	v_add_f64 v[10:11], v[8:9], v[10:11]
	;; [unrolled: 1-line block ×4, first 2 shown]
	v_cmp_eq_f64_e32 vcc, 0, v[3:4]
	s_load_dwordx2 s[0:1], s[4:5], 0x38
	s_and_saveexec_b64 s[2:3], vcc
	s_xor_b64 s[2:3], exec, s[2:3]
	s_cbranch_execz .LBB44_21
; %bb.20:
	v_mul_f64 v[12:13], v[1:2], v[12:13]
	v_mul_f64 v[14:15], v[1:2], v[10:11]
	v_lshlrev_b32_e32 v16, 2, v5
	v_mul_f64 v[3:4], v[1:2], v[6:7]
	v_mul_f64 v[5:6], v[1:2], v[8:9]
	v_ashrrev_i32_e32 v17, 31, v16
	v_lshlrev_b64 v[0:1], 3, v[16:17]
	s_waitcnt lgkmcnt(0)
	v_mov_b32_e32 v2, s1
	v_add_co_u32_e32 v0, vcc, s0, v0
	v_addc_co_u32_e32 v1, vcc, v2, v1, vcc
	global_store_dwordx4 v[0:1], v[12:15], off
	global_store_dwordx4 v[0:1], v[3:6], off offset:16
                                        ; implicit-def: $vgpr5
                                        ; implicit-def: $vgpr1_vgpr2
                                        ; implicit-def: $vgpr12_vgpr13
                                        ; implicit-def: $vgpr3_vgpr4
                                        ; implicit-def: $vgpr10_vgpr11
                                        ; implicit-def: $vgpr6_vgpr7
                                        ; implicit-def: $vgpr8_vgpr9
.LBB44_21:
	s_andn2_saveexec_b64 s[2:3], s[2:3]
	s_cbranch_execz .LBB44_23
; %bb.22:
	v_lshlrev_b32_e32 v14, 2, v5
	v_ashrrev_i32_e32 v15, 31, v14
	v_lshlrev_b64 v[14:15], 3, v[14:15]
	s_waitcnt lgkmcnt(0)
	v_mov_b32_e32 v0, s1
	v_add_co_u32_e32 v22, vcc, s0, v14
	v_addc_co_u32_e32 v23, vcc, v0, v15, vcc
	global_load_dwordx4 v[14:17], v[22:23], off
	global_load_dwordx4 v[18:21], v[22:23], off offset:16
	v_mul_f64 v[12:13], v[1:2], v[12:13]
	v_mul_f64 v[10:11], v[1:2], v[10:11]
	v_mul_f64 v[24:25], v[1:2], v[6:7]
	v_mul_f64 v[26:27], v[1:2], v[8:9]
	s_waitcnt vmcnt(1)
	v_fma_f64 v[5:6], v[3:4], v[14:15], v[12:13]
	v_fma_f64 v[7:8], v[3:4], v[16:17], v[10:11]
	s_waitcnt vmcnt(0)
	v_fma_f64 v[0:1], v[3:4], v[18:19], v[24:25]
	v_fma_f64 v[2:3], v[3:4], v[20:21], v[26:27]
	global_store_dwordx4 v[22:23], v[5:8], off
	global_store_dwordx4 v[22:23], v[0:3], off offset:16
.LBB44_23:
	s_endpgm
	.section	.rodata,"a",@progbits
	.p2align	6, 0x0
	.amdhsa_kernel _ZN9rocsparseL19gebsrmvn_4xn_kernelILj128ELj2ELj16EdEEvi20rocsparse_direction_NS_24const_host_device_scalarIT2_EEPKiS6_PKS3_S8_S4_PS3_21rocsparse_index_base_b
		.amdhsa_group_segment_fixed_size 0
		.amdhsa_private_segment_fixed_size 0
		.amdhsa_kernarg_size 72
		.amdhsa_user_sgpr_count 6
		.amdhsa_user_sgpr_private_segment_buffer 1
		.amdhsa_user_sgpr_dispatch_ptr 0
		.amdhsa_user_sgpr_queue_ptr 0
		.amdhsa_user_sgpr_kernarg_segment_ptr 1
		.amdhsa_user_sgpr_dispatch_id 0
		.amdhsa_user_sgpr_flat_scratch_init 0
		.amdhsa_user_sgpr_private_segment_size 0
		.amdhsa_uses_dynamic_stack 0
		.amdhsa_system_sgpr_private_segment_wavefront_offset 0
		.amdhsa_system_sgpr_workgroup_id_x 1
		.amdhsa_system_sgpr_workgroup_id_y 0
		.amdhsa_system_sgpr_workgroup_id_z 0
		.amdhsa_system_sgpr_workgroup_info 0
		.amdhsa_system_vgpr_workitem_id 0
		.amdhsa_next_free_vgpr 47
		.amdhsa_next_free_sgpr 16
		.amdhsa_reserve_vcc 1
		.amdhsa_reserve_flat_scratch 0
		.amdhsa_float_round_mode_32 0
		.amdhsa_float_round_mode_16_64 0
		.amdhsa_float_denorm_mode_32 3
		.amdhsa_float_denorm_mode_16_64 3
		.amdhsa_dx10_clamp 1
		.amdhsa_ieee_mode 1
		.amdhsa_fp16_overflow 0
		.amdhsa_exception_fp_ieee_invalid_op 0
		.amdhsa_exception_fp_denorm_src 0
		.amdhsa_exception_fp_ieee_div_zero 0
		.amdhsa_exception_fp_ieee_overflow 0
		.amdhsa_exception_fp_ieee_underflow 0
		.amdhsa_exception_fp_ieee_inexact 0
		.amdhsa_exception_int_div_zero 0
	.end_amdhsa_kernel
	.section	.text._ZN9rocsparseL19gebsrmvn_4xn_kernelILj128ELj2ELj16EdEEvi20rocsparse_direction_NS_24const_host_device_scalarIT2_EEPKiS6_PKS3_S8_S4_PS3_21rocsparse_index_base_b,"axG",@progbits,_ZN9rocsparseL19gebsrmvn_4xn_kernelILj128ELj2ELj16EdEEvi20rocsparse_direction_NS_24const_host_device_scalarIT2_EEPKiS6_PKS3_S8_S4_PS3_21rocsparse_index_base_b,comdat
.Lfunc_end44:
	.size	_ZN9rocsparseL19gebsrmvn_4xn_kernelILj128ELj2ELj16EdEEvi20rocsparse_direction_NS_24const_host_device_scalarIT2_EEPKiS6_PKS3_S8_S4_PS3_21rocsparse_index_base_b, .Lfunc_end44-_ZN9rocsparseL19gebsrmvn_4xn_kernelILj128ELj2ELj16EdEEvi20rocsparse_direction_NS_24const_host_device_scalarIT2_EEPKiS6_PKS3_S8_S4_PS3_21rocsparse_index_base_b
                                        ; -- End function
	.set _ZN9rocsparseL19gebsrmvn_4xn_kernelILj128ELj2ELj16EdEEvi20rocsparse_direction_NS_24const_host_device_scalarIT2_EEPKiS6_PKS3_S8_S4_PS3_21rocsparse_index_base_b.num_vgpr, 47
	.set _ZN9rocsparseL19gebsrmvn_4xn_kernelILj128ELj2ELj16EdEEvi20rocsparse_direction_NS_24const_host_device_scalarIT2_EEPKiS6_PKS3_S8_S4_PS3_21rocsparse_index_base_b.num_agpr, 0
	.set _ZN9rocsparseL19gebsrmvn_4xn_kernelILj128ELj2ELj16EdEEvi20rocsparse_direction_NS_24const_host_device_scalarIT2_EEPKiS6_PKS3_S8_S4_PS3_21rocsparse_index_base_b.numbered_sgpr, 16
	.set _ZN9rocsparseL19gebsrmvn_4xn_kernelILj128ELj2ELj16EdEEvi20rocsparse_direction_NS_24const_host_device_scalarIT2_EEPKiS6_PKS3_S8_S4_PS3_21rocsparse_index_base_b.num_named_barrier, 0
	.set _ZN9rocsparseL19gebsrmvn_4xn_kernelILj128ELj2ELj16EdEEvi20rocsparse_direction_NS_24const_host_device_scalarIT2_EEPKiS6_PKS3_S8_S4_PS3_21rocsparse_index_base_b.private_seg_size, 0
	.set _ZN9rocsparseL19gebsrmvn_4xn_kernelILj128ELj2ELj16EdEEvi20rocsparse_direction_NS_24const_host_device_scalarIT2_EEPKiS6_PKS3_S8_S4_PS3_21rocsparse_index_base_b.uses_vcc, 1
	.set _ZN9rocsparseL19gebsrmvn_4xn_kernelILj128ELj2ELj16EdEEvi20rocsparse_direction_NS_24const_host_device_scalarIT2_EEPKiS6_PKS3_S8_S4_PS3_21rocsparse_index_base_b.uses_flat_scratch, 0
	.set _ZN9rocsparseL19gebsrmvn_4xn_kernelILj128ELj2ELj16EdEEvi20rocsparse_direction_NS_24const_host_device_scalarIT2_EEPKiS6_PKS3_S8_S4_PS3_21rocsparse_index_base_b.has_dyn_sized_stack, 0
	.set _ZN9rocsparseL19gebsrmvn_4xn_kernelILj128ELj2ELj16EdEEvi20rocsparse_direction_NS_24const_host_device_scalarIT2_EEPKiS6_PKS3_S8_S4_PS3_21rocsparse_index_base_b.has_recursion, 0
	.set _ZN9rocsparseL19gebsrmvn_4xn_kernelILj128ELj2ELj16EdEEvi20rocsparse_direction_NS_24const_host_device_scalarIT2_EEPKiS6_PKS3_S8_S4_PS3_21rocsparse_index_base_b.has_indirect_call, 0
	.section	.AMDGPU.csdata,"",@progbits
; Kernel info:
; codeLenInByte = 1556
; TotalNumSgprs: 20
; NumVgprs: 47
; ScratchSize: 0
; MemoryBound: 0
; FloatMode: 240
; IeeeMode: 1
; LDSByteSize: 0 bytes/workgroup (compile time only)
; SGPRBlocks: 2
; VGPRBlocks: 11
; NumSGPRsForWavesPerEU: 20
; NumVGPRsForWavesPerEU: 47
; Occupancy: 5
; WaveLimiterHint : 1
; COMPUTE_PGM_RSRC2:SCRATCH_EN: 0
; COMPUTE_PGM_RSRC2:USER_SGPR: 6
; COMPUTE_PGM_RSRC2:TRAP_HANDLER: 0
; COMPUTE_PGM_RSRC2:TGID_X_EN: 1
; COMPUTE_PGM_RSRC2:TGID_Y_EN: 0
; COMPUTE_PGM_RSRC2:TGID_Z_EN: 0
; COMPUTE_PGM_RSRC2:TIDIG_COMP_CNT: 0
	.section	.text._ZN9rocsparseL19gebsrmvn_4xn_kernelILj128ELj2ELj32EdEEvi20rocsparse_direction_NS_24const_host_device_scalarIT2_EEPKiS6_PKS3_S8_S4_PS3_21rocsparse_index_base_b,"axG",@progbits,_ZN9rocsparseL19gebsrmvn_4xn_kernelILj128ELj2ELj32EdEEvi20rocsparse_direction_NS_24const_host_device_scalarIT2_EEPKiS6_PKS3_S8_S4_PS3_21rocsparse_index_base_b,comdat
	.globl	_ZN9rocsparseL19gebsrmvn_4xn_kernelILj128ELj2ELj32EdEEvi20rocsparse_direction_NS_24const_host_device_scalarIT2_EEPKiS6_PKS3_S8_S4_PS3_21rocsparse_index_base_b ; -- Begin function _ZN9rocsparseL19gebsrmvn_4xn_kernelILj128ELj2ELj32EdEEvi20rocsparse_direction_NS_24const_host_device_scalarIT2_EEPKiS6_PKS3_S8_S4_PS3_21rocsparse_index_base_b
	.p2align	8
	.type	_ZN9rocsparseL19gebsrmvn_4xn_kernelILj128ELj2ELj32EdEEvi20rocsparse_direction_NS_24const_host_device_scalarIT2_EEPKiS6_PKS3_S8_S4_PS3_21rocsparse_index_base_b,@function
_ZN9rocsparseL19gebsrmvn_4xn_kernelILj128ELj2ELj32EdEEvi20rocsparse_direction_NS_24const_host_device_scalarIT2_EEPKiS6_PKS3_S8_S4_PS3_21rocsparse_index_base_b: ; @_ZN9rocsparseL19gebsrmvn_4xn_kernelILj128ELj2ELj32EdEEvi20rocsparse_direction_NS_24const_host_device_scalarIT2_EEPKiS6_PKS3_S8_S4_PS3_21rocsparse_index_base_b
; %bb.0:
	s_load_dwordx2 s[2:3], s[4:5], 0x40
	s_load_dwordx2 s[10:11], s[4:5], 0x8
	;; [unrolled: 1-line block ×3, first 2 shown]
	s_waitcnt lgkmcnt(0)
	s_bitcmp1_b32 s3, 0
	s_cselect_b64 s[12:13], -1, 0
	v_mov_b32_e32 v1, s10
	s_xor_b64 s[8:9], s[12:13], -1
	s_and_b64 vcc, exec, s[12:13]
	v_mov_b32_e32 v2, s11
	s_cbranch_vccnz .LBB45_2
; %bb.1:
	v_mov_b32_e32 v1, s10
	v_mov_b32_e32 v2, s11
	flat_load_dwordx2 v[1:2], v[1:2]
.LBB45_2:
	v_mov_b32_e32 v4, s1
	s_andn2_b64 vcc, exec, s[8:9]
	v_mov_b32_e32 v3, s0
	s_cbranch_vccnz .LBB45_4
; %bb.3:
	v_mov_b32_e32 v4, s1
	v_mov_b32_e32 v3, s0
	flat_load_dwordx2 v[3:4], v[3:4]
.LBB45_4:
	s_waitcnt vmcnt(0) lgkmcnt(0)
	v_cmp_neq_f64_e32 vcc, 0, v[1:2]
	v_cmp_neq_f64_e64 s[0:1], 1.0, v[3:4]
	s_or_b64 s[0:1], vcc, s[0:1]
	s_and_saveexec_b64 s[8:9], s[0:1]
	s_cbranch_execz .LBB45_23
; %bb.5:
	s_load_dwordx2 s[0:1], s[4:5], 0x0
	v_lshrrev_b32_e32 v5, 5, v0
	v_lshl_or_b32 v5, s6, 2, v5
	s_waitcnt lgkmcnt(0)
	v_cmp_gt_i32_e32 vcc, s0, v5
	s_and_b64 exec, exec, vcc
	s_cbranch_execz .LBB45_23
; %bb.6:
	s_load_dwordx8 s[8:15], s[4:5], 0x10
	v_ashrrev_i32_e32 v6, 31, v5
	v_lshlrev_b64 v[6:7], 2, v[5:6]
	v_and_b32_e32 v0, 31, v0
	s_cmp_lg_u32 s1, 0
	s_waitcnt lgkmcnt(0)
	v_mov_b32_e32 v8, s9
	v_add_co_u32_e32 v6, vcc, s8, v6
	v_addc_co_u32_e32 v7, vcc, v8, v7, vcc
	global_load_dwordx2 v[6:7], v[6:7], off
	s_waitcnt vmcnt(0)
	v_subrev_u32_e32 v6, s2, v6
	v_subrev_u32_e32 v19, s2, v7
	v_add_u32_e32 v14, v6, v0
	v_cmp_lt_i32_e64 s[0:1], v14, v19
	s_cbranch_scc0 .LBB45_12
; %bb.7:
	v_mov_b32_e32 v12, 0
	v_mov_b32_e32 v6, 0
	;; [unrolled: 1-line block ×8, first 2 shown]
	s_and_saveexec_b64 s[6:7], s[0:1]
	s_cbranch_execz .LBB45_11
; %bb.8:
	v_mov_b32_e32 v12, 0
	v_mov_b32_e32 v6, 0
	;; [unrolled: 1-line block ×4, first 2 shown]
	v_lshlrev_b32_e32 v15, 3, v14
	v_mov_b32_e32 v13, 0
	s_mov_b64 s[8:9], 0
	v_mov_b32_e32 v20, s11
	v_mov_b32_e32 v16, 0
	;; [unrolled: 1-line block ×8, first 2 shown]
.LBB45_9:                               ; =>This Inner Loop Header: Depth=1
	v_ashrrev_i32_e32 v18, 31, v17
	v_lshlrev_b64 v[23:24], 2, v[17:18]
	v_mov_b32_e32 v32, v16
	v_add_co_u32_e32 v23, vcc, s10, v23
	v_addc_co_u32_e32 v24, vcc, v20, v24, vcc
	global_load_dword v18, v[23:24], off
	v_lshlrev_b64 v[23:24], 3, v[15:16]
	v_add_u32_e32 v17, 32, v17
	v_add_co_u32_e32 v43, vcc, s12, v23
	v_addc_co_u32_e32 v44, vcc, v21, v24, vcc
	global_load_dwordx4 v[23:26], v[43:44], off
	global_load_dwordx4 v[27:30], v[43:44], off offset:16
	v_add_u32_e32 v15, 0x100, v15
	s_waitcnt vmcnt(2)
	v_subrev_u32_e32 v18, s2, v18
	v_lshlrev_b32_e32 v31, 1, v18
	v_lshlrev_b64 v[31:32], 3, v[31:32]
	v_add_co_u32_e32 v45, vcc, s14, v31
	v_addc_co_u32_e32 v46, vcc, v22, v32, vcc
	global_load_dwordx4 v[31:34], v[45:46], off
	global_load_dwordx4 v[35:38], v[43:44], off offset:32
	global_load_dwordx4 v[39:42], v[43:44], off offset:48
	v_cmp_ge_i32_e32 vcc, v17, v19
	s_or_b64 s[8:9], vcc, s[8:9]
	s_waitcnt vmcnt(2)
	v_fma_f64 v[12:13], v[23:24], v[31:32], v[12:13]
	v_fma_f64 v[10:11], v[25:26], v[31:32], v[10:11]
	;; [unrolled: 1-line block ×4, first 2 shown]
	s_waitcnt vmcnt(1)
	v_fma_f64 v[12:13], v[35:36], v[33:34], v[12:13]
	v_fma_f64 v[10:11], v[37:38], v[33:34], v[10:11]
	s_waitcnt vmcnt(0)
	v_fma_f64 v[8:9], v[39:40], v[33:34], v[8:9]
	v_fma_f64 v[6:7], v[41:42], v[33:34], v[6:7]
	s_andn2_b64 exec, exec, s[8:9]
	s_cbranch_execnz .LBB45_9
; %bb.10:
	s_or_b64 exec, exec, s[8:9]
.LBB45_11:
	s_or_b64 exec, exec, s[6:7]
	s_cbranch_execz .LBB45_13
	s_branch .LBB45_18
.LBB45_12:
                                        ; implicit-def: $vgpr12_vgpr13
                                        ; implicit-def: $vgpr6_vgpr7
                                        ; implicit-def: $vgpr8_vgpr9
                                        ; implicit-def: $vgpr10_vgpr11
.LBB45_13:
	v_mov_b32_e32 v12, 0
	v_mov_b32_e32 v6, 0
	;; [unrolled: 1-line block ×8, first 2 shown]
	s_and_saveexec_b64 s[6:7], s[0:1]
	s_cbranch_execz .LBB45_17
; %bb.14:
	v_mov_b32_e32 v12, 0
	v_mov_b32_e32 v6, 0
	;; [unrolled: 1-line block ×4, first 2 shown]
	v_lshlrev_b32_e32 v16, 3, v14
	v_mov_b32_e32 v13, 0
	s_mov_b64 s[0:1], 0
	v_mov_b32_e32 v18, s11
	v_mov_b32_e32 v17, 0
	;; [unrolled: 1-line block ×7, first 2 shown]
.LBB45_15:                              ; =>This Inner Loop Header: Depth=1
	v_lshlrev_b64 v[22:23], 3, v[16:17]
	v_ashrrev_i32_e32 v15, 31, v14
	v_lshlrev_b64 v[24:25], 2, v[14:15]
	v_add_co_u32_e32 v38, vcc, s12, v22
	v_addc_co_u32_e32 v39, vcc, v20, v23, vcc
	v_add_co_u32_e32 v32, vcc, s10, v24
	v_addc_co_u32_e32 v33, vcc, v18, v25, vcc
	global_load_dwordx4 v[22:25], v[38:39], off
	global_load_dwordx4 v[26:29], v[38:39], off offset:16
	global_load_dword v15, v[32:33], off
	v_mov_b32_e32 v31, v17
	v_add_u32_e32 v14, 32, v14
	v_add_u32_e32 v16, 0x100, v16
	s_waitcnt vmcnt(0)
	v_subrev_u32_e32 v15, s2, v15
	v_lshlrev_b32_e32 v30, 1, v15
	v_lshlrev_b64 v[30:31], 3, v[30:31]
	v_add_co_u32_e32 v30, vcc, s14, v30
	v_addc_co_u32_e32 v31, vcc, v21, v31, vcc
	global_load_dwordx4 v[30:33], v[30:31], off
	v_cmp_ge_i32_e32 vcc, v14, v19
	s_or_b64 s[0:1], vcc, s[0:1]
	s_waitcnt vmcnt(0)
	v_fma_f64 v[12:13], v[22:23], v[30:31], v[12:13]
	v_fma_f64 v[10:11], v[26:27], v[30:31], v[10:11]
	;; [unrolled: 1-line block ×3, first 2 shown]
	global_load_dwordx4 v[22:25], v[38:39], off offset:32
	global_load_dwordx4 v[34:37], v[38:39], off offset:48
	v_fma_f64 v[10:11], v[28:29], v[32:33], v[10:11]
	s_waitcnt vmcnt(1)
	v_fma_f64 v[8:9], v[22:23], v[30:31], v[8:9]
	s_waitcnt vmcnt(0)
	v_fma_f64 v[6:7], v[34:35], v[30:31], v[6:7]
	v_fma_f64 v[8:9], v[24:25], v[32:33], v[8:9]
	;; [unrolled: 1-line block ×3, first 2 shown]
	s_andn2_b64 exec, exec, s[0:1]
	s_cbranch_execnz .LBB45_15
; %bb.16:
	s_or_b64 exec, exec, s[0:1]
.LBB45_17:
	s_or_b64 exec, exec, s[6:7]
.LBB45_18:
	v_mov_b32_dpp v14, v12 row_shr:1 row_mask:0xf bank_mask:0xf
	v_mov_b32_dpp v15, v13 row_shr:1 row_mask:0xf bank_mask:0xf
	v_add_f64 v[12:13], v[12:13], v[14:15]
	v_mov_b32_dpp v14, v10 row_shr:1 row_mask:0xf bank_mask:0xf
	v_mov_b32_dpp v15, v11 row_shr:1 row_mask:0xf bank_mask:0xf
	v_add_f64 v[10:11], v[10:11], v[14:15]
	;; [unrolled: 3-line block ×3, first 2 shown]
	v_cmp_eq_u32_e32 vcc, 31, v0
	v_mov_b32_dpp v14, v12 row_shr:2 row_mask:0xf bank_mask:0xf
	v_mov_b32_dpp v15, v13 row_shr:2 row_mask:0xf bank_mask:0xf
	v_add_f64 v[12:13], v[12:13], v[14:15]
	v_mov_b32_dpp v14, v6 row_shr:1 row_mask:0xf bank_mask:0xf
	v_mov_b32_dpp v15, v7 row_shr:1 row_mask:0xf bank_mask:0xf
	v_add_f64 v[6:7], v[6:7], v[14:15]
	v_mov_b32_dpp v14, v10 row_shr:2 row_mask:0xf bank_mask:0xf
	v_mov_b32_dpp v15, v11 row_shr:2 row_mask:0xf bank_mask:0xf
	v_add_f64 v[10:11], v[10:11], v[14:15]
	v_mov_b32_dpp v16, v12 row_shr:4 row_mask:0xf bank_mask:0xe
	v_mov_b32_dpp v17, v13 row_shr:4 row_mask:0xf bank_mask:0xe
	v_add_f64 v[12:13], v[12:13], v[16:17]
	v_mov_b32_dpp v16, v8 row_shr:2 row_mask:0xf bank_mask:0xf
	v_mov_b32_dpp v17, v9 row_shr:2 row_mask:0xf bank_mask:0xf
	;; [unrolled: 1-line block ×3, first 2 shown]
	v_add_f64 v[8:9], v[8:9], v[16:17]
	v_mov_b32_dpp v15, v7 row_shr:2 row_mask:0xf bank_mask:0xf
	v_add_f64 v[6:7], v[6:7], v[14:15]
	v_mov_b32_dpp v16, v10 row_shr:4 row_mask:0xf bank_mask:0xe
	v_mov_b32_dpp v17, v11 row_shr:4 row_mask:0xf bank_mask:0xe
	v_add_f64 v[10:11], v[10:11], v[16:17]
	v_mov_b32_dpp v14, v12 row_shr:8 row_mask:0xf bank_mask:0xc
	v_mov_b32_dpp v15, v13 row_shr:8 row_mask:0xf bank_mask:0xc
	;; [unrolled: 1-line block ×4, first 2 shown]
	v_add_f64 v[16:17], v[8:9], v[16:17]
	v_mov_b32_dpp v8, v6 row_shr:4 row_mask:0xf bank_mask:0xe
	v_mov_b32_dpp v9, v7 row_shr:4 row_mask:0xf bank_mask:0xe
	v_add_f64 v[18:19], v[6:7], v[8:9]
	v_mov_b32_dpp v8, v10 row_shr:8 row_mask:0xf bank_mask:0xc
	v_mov_b32_dpp v9, v11 row_shr:8 row_mask:0xf bank_mask:0xc
	v_add_f64 v[8:9], v[10:11], v[8:9]
	v_add_f64 v[6:7], v[12:13], v[14:15]
	v_mov_b32_dpp v10, v16 row_shr:8 row_mask:0xf bank_mask:0xc
	v_mov_b32_dpp v11, v17 row_shr:8 row_mask:0xf bank_mask:0xc
	v_add_f64 v[14:15], v[16:17], v[10:11]
	v_mov_b32_dpp v10, v18 row_shr:8 row_mask:0xf bank_mask:0xc
	v_mov_b32_dpp v11, v19 row_shr:8 row_mask:0xf bank_mask:0xc
	v_add_f64 v[16:17], v[18:19], v[10:11]
	v_mov_b32_dpp v10, v8 row_bcast:15 row_mask:0xa bank_mask:0xf
	v_mov_b32_dpp v12, v6 row_bcast:15 row_mask:0xa bank_mask:0xf
	v_mov_b32_dpp v13, v7 row_bcast:15 row_mask:0xa bank_mask:0xf
	v_mov_b32_dpp v11, v9 row_bcast:15 row_mask:0xa bank_mask:0xf
	v_mov_b32_dpp v20, v14 row_bcast:15 row_mask:0xa bank_mask:0xf
	v_mov_b32_dpp v21, v15 row_bcast:15 row_mask:0xa bank_mask:0xf
	v_mov_b32_dpp v18, v16 row_bcast:15 row_mask:0xa bank_mask:0xf
	v_mov_b32_dpp v19, v17 row_bcast:15 row_mask:0xa bank_mask:0xf
	s_and_b64 exec, exec, vcc
	s_cbranch_execz .LBB45_23
; %bb.19:
	v_add_f64 v[12:13], v[6:7], v[12:13]
	v_add_f64 v[10:11], v[8:9], v[10:11]
	;; [unrolled: 1-line block ×4, first 2 shown]
	v_cmp_eq_f64_e32 vcc, 0, v[3:4]
	s_load_dwordx2 s[0:1], s[4:5], 0x38
	s_and_saveexec_b64 s[2:3], vcc
	s_xor_b64 s[2:3], exec, s[2:3]
	s_cbranch_execz .LBB45_21
; %bb.20:
	v_mul_f64 v[12:13], v[1:2], v[12:13]
	v_mul_f64 v[14:15], v[1:2], v[10:11]
	v_lshlrev_b32_e32 v16, 2, v5
	v_mul_f64 v[3:4], v[1:2], v[6:7]
	v_mul_f64 v[5:6], v[1:2], v[8:9]
	v_ashrrev_i32_e32 v17, 31, v16
	v_lshlrev_b64 v[0:1], 3, v[16:17]
	s_waitcnt lgkmcnt(0)
	v_mov_b32_e32 v2, s1
	v_add_co_u32_e32 v0, vcc, s0, v0
	v_addc_co_u32_e32 v1, vcc, v2, v1, vcc
	global_store_dwordx4 v[0:1], v[12:15], off
	global_store_dwordx4 v[0:1], v[3:6], off offset:16
                                        ; implicit-def: $vgpr5
                                        ; implicit-def: $vgpr1_vgpr2
                                        ; implicit-def: $vgpr12_vgpr13
                                        ; implicit-def: $vgpr3_vgpr4
                                        ; implicit-def: $vgpr10_vgpr11
                                        ; implicit-def: $vgpr6_vgpr7
                                        ; implicit-def: $vgpr8_vgpr9
.LBB45_21:
	s_andn2_saveexec_b64 s[2:3], s[2:3]
	s_cbranch_execz .LBB45_23
; %bb.22:
	v_lshlrev_b32_e32 v14, 2, v5
	v_ashrrev_i32_e32 v15, 31, v14
	v_lshlrev_b64 v[14:15], 3, v[14:15]
	s_waitcnt lgkmcnt(0)
	v_mov_b32_e32 v0, s1
	v_add_co_u32_e32 v22, vcc, s0, v14
	v_addc_co_u32_e32 v23, vcc, v0, v15, vcc
	global_load_dwordx4 v[14:17], v[22:23], off
	global_load_dwordx4 v[18:21], v[22:23], off offset:16
	v_mul_f64 v[12:13], v[1:2], v[12:13]
	v_mul_f64 v[10:11], v[1:2], v[10:11]
	;; [unrolled: 1-line block ×4, first 2 shown]
	s_waitcnt vmcnt(1)
	v_fma_f64 v[5:6], v[3:4], v[14:15], v[12:13]
	v_fma_f64 v[7:8], v[3:4], v[16:17], v[10:11]
	s_waitcnt vmcnt(0)
	v_fma_f64 v[0:1], v[3:4], v[18:19], v[24:25]
	v_fma_f64 v[2:3], v[3:4], v[20:21], v[26:27]
	global_store_dwordx4 v[22:23], v[5:8], off
	global_store_dwordx4 v[22:23], v[0:3], off offset:16
.LBB45_23:
	s_endpgm
	.section	.rodata,"a",@progbits
	.p2align	6, 0x0
	.amdhsa_kernel _ZN9rocsparseL19gebsrmvn_4xn_kernelILj128ELj2ELj32EdEEvi20rocsparse_direction_NS_24const_host_device_scalarIT2_EEPKiS6_PKS3_S8_S4_PS3_21rocsparse_index_base_b
		.amdhsa_group_segment_fixed_size 0
		.amdhsa_private_segment_fixed_size 0
		.amdhsa_kernarg_size 72
		.amdhsa_user_sgpr_count 6
		.amdhsa_user_sgpr_private_segment_buffer 1
		.amdhsa_user_sgpr_dispatch_ptr 0
		.amdhsa_user_sgpr_queue_ptr 0
		.amdhsa_user_sgpr_kernarg_segment_ptr 1
		.amdhsa_user_sgpr_dispatch_id 0
		.amdhsa_user_sgpr_flat_scratch_init 0
		.amdhsa_user_sgpr_private_segment_size 0
		.amdhsa_uses_dynamic_stack 0
		.amdhsa_system_sgpr_private_segment_wavefront_offset 0
		.amdhsa_system_sgpr_workgroup_id_x 1
		.amdhsa_system_sgpr_workgroup_id_y 0
		.amdhsa_system_sgpr_workgroup_id_z 0
		.amdhsa_system_sgpr_workgroup_info 0
		.amdhsa_system_vgpr_workitem_id 0
		.amdhsa_next_free_vgpr 47
		.amdhsa_next_free_sgpr 16
		.amdhsa_reserve_vcc 1
		.amdhsa_reserve_flat_scratch 0
		.amdhsa_float_round_mode_32 0
		.amdhsa_float_round_mode_16_64 0
		.amdhsa_float_denorm_mode_32 3
		.amdhsa_float_denorm_mode_16_64 3
		.amdhsa_dx10_clamp 1
		.amdhsa_ieee_mode 1
		.amdhsa_fp16_overflow 0
		.amdhsa_exception_fp_ieee_invalid_op 0
		.amdhsa_exception_fp_denorm_src 0
		.amdhsa_exception_fp_ieee_div_zero 0
		.amdhsa_exception_fp_ieee_overflow 0
		.amdhsa_exception_fp_ieee_underflow 0
		.amdhsa_exception_fp_ieee_inexact 0
		.amdhsa_exception_int_div_zero 0
	.end_amdhsa_kernel
	.section	.text._ZN9rocsparseL19gebsrmvn_4xn_kernelILj128ELj2ELj32EdEEvi20rocsparse_direction_NS_24const_host_device_scalarIT2_EEPKiS6_PKS3_S8_S4_PS3_21rocsparse_index_base_b,"axG",@progbits,_ZN9rocsparseL19gebsrmvn_4xn_kernelILj128ELj2ELj32EdEEvi20rocsparse_direction_NS_24const_host_device_scalarIT2_EEPKiS6_PKS3_S8_S4_PS3_21rocsparse_index_base_b,comdat
.Lfunc_end45:
	.size	_ZN9rocsparseL19gebsrmvn_4xn_kernelILj128ELj2ELj32EdEEvi20rocsparse_direction_NS_24const_host_device_scalarIT2_EEPKiS6_PKS3_S8_S4_PS3_21rocsparse_index_base_b, .Lfunc_end45-_ZN9rocsparseL19gebsrmvn_4xn_kernelILj128ELj2ELj32EdEEvi20rocsparse_direction_NS_24const_host_device_scalarIT2_EEPKiS6_PKS3_S8_S4_PS3_21rocsparse_index_base_b
                                        ; -- End function
	.set _ZN9rocsparseL19gebsrmvn_4xn_kernelILj128ELj2ELj32EdEEvi20rocsparse_direction_NS_24const_host_device_scalarIT2_EEPKiS6_PKS3_S8_S4_PS3_21rocsparse_index_base_b.num_vgpr, 47
	.set _ZN9rocsparseL19gebsrmvn_4xn_kernelILj128ELj2ELj32EdEEvi20rocsparse_direction_NS_24const_host_device_scalarIT2_EEPKiS6_PKS3_S8_S4_PS3_21rocsparse_index_base_b.num_agpr, 0
	.set _ZN9rocsparseL19gebsrmvn_4xn_kernelILj128ELj2ELj32EdEEvi20rocsparse_direction_NS_24const_host_device_scalarIT2_EEPKiS6_PKS3_S8_S4_PS3_21rocsparse_index_base_b.numbered_sgpr, 16
	.set _ZN9rocsparseL19gebsrmvn_4xn_kernelILj128ELj2ELj32EdEEvi20rocsparse_direction_NS_24const_host_device_scalarIT2_EEPKiS6_PKS3_S8_S4_PS3_21rocsparse_index_base_b.num_named_barrier, 0
	.set _ZN9rocsparseL19gebsrmvn_4xn_kernelILj128ELj2ELj32EdEEvi20rocsparse_direction_NS_24const_host_device_scalarIT2_EEPKiS6_PKS3_S8_S4_PS3_21rocsparse_index_base_b.private_seg_size, 0
	.set _ZN9rocsparseL19gebsrmvn_4xn_kernelILj128ELj2ELj32EdEEvi20rocsparse_direction_NS_24const_host_device_scalarIT2_EEPKiS6_PKS3_S8_S4_PS3_21rocsparse_index_base_b.uses_vcc, 1
	.set _ZN9rocsparseL19gebsrmvn_4xn_kernelILj128ELj2ELj32EdEEvi20rocsparse_direction_NS_24const_host_device_scalarIT2_EEPKiS6_PKS3_S8_S4_PS3_21rocsparse_index_base_b.uses_flat_scratch, 0
	.set _ZN9rocsparseL19gebsrmvn_4xn_kernelILj128ELj2ELj32EdEEvi20rocsparse_direction_NS_24const_host_device_scalarIT2_EEPKiS6_PKS3_S8_S4_PS3_21rocsparse_index_base_b.has_dyn_sized_stack, 0
	.set _ZN9rocsparseL19gebsrmvn_4xn_kernelILj128ELj2ELj32EdEEvi20rocsparse_direction_NS_24const_host_device_scalarIT2_EEPKiS6_PKS3_S8_S4_PS3_21rocsparse_index_base_b.has_recursion, 0
	.set _ZN9rocsparseL19gebsrmvn_4xn_kernelILj128ELj2ELj32EdEEvi20rocsparse_direction_NS_24const_host_device_scalarIT2_EEPKiS6_PKS3_S8_S4_PS3_21rocsparse_index_base_b.has_indirect_call, 0
	.section	.AMDGPU.csdata,"",@progbits
; Kernel info:
; codeLenInByte = 1652
; TotalNumSgprs: 20
; NumVgprs: 47
; ScratchSize: 0
; MemoryBound: 0
; FloatMode: 240
; IeeeMode: 1
; LDSByteSize: 0 bytes/workgroup (compile time only)
; SGPRBlocks: 2
; VGPRBlocks: 11
; NumSGPRsForWavesPerEU: 20
; NumVGPRsForWavesPerEU: 47
; Occupancy: 5
; WaveLimiterHint : 1
; COMPUTE_PGM_RSRC2:SCRATCH_EN: 0
; COMPUTE_PGM_RSRC2:USER_SGPR: 6
; COMPUTE_PGM_RSRC2:TRAP_HANDLER: 0
; COMPUTE_PGM_RSRC2:TGID_X_EN: 1
; COMPUTE_PGM_RSRC2:TGID_Y_EN: 0
; COMPUTE_PGM_RSRC2:TGID_Z_EN: 0
; COMPUTE_PGM_RSRC2:TIDIG_COMP_CNT: 0
	.section	.text._ZN9rocsparseL19gebsrmvn_4xn_kernelILj128ELj2ELj64EdEEvi20rocsparse_direction_NS_24const_host_device_scalarIT2_EEPKiS6_PKS3_S8_S4_PS3_21rocsparse_index_base_b,"axG",@progbits,_ZN9rocsparseL19gebsrmvn_4xn_kernelILj128ELj2ELj64EdEEvi20rocsparse_direction_NS_24const_host_device_scalarIT2_EEPKiS6_PKS3_S8_S4_PS3_21rocsparse_index_base_b,comdat
	.globl	_ZN9rocsparseL19gebsrmvn_4xn_kernelILj128ELj2ELj64EdEEvi20rocsparse_direction_NS_24const_host_device_scalarIT2_EEPKiS6_PKS3_S8_S4_PS3_21rocsparse_index_base_b ; -- Begin function _ZN9rocsparseL19gebsrmvn_4xn_kernelILj128ELj2ELj64EdEEvi20rocsparse_direction_NS_24const_host_device_scalarIT2_EEPKiS6_PKS3_S8_S4_PS3_21rocsparse_index_base_b
	.p2align	8
	.type	_ZN9rocsparseL19gebsrmvn_4xn_kernelILj128ELj2ELj64EdEEvi20rocsparse_direction_NS_24const_host_device_scalarIT2_EEPKiS6_PKS3_S8_S4_PS3_21rocsparse_index_base_b,@function
_ZN9rocsparseL19gebsrmvn_4xn_kernelILj128ELj2ELj64EdEEvi20rocsparse_direction_NS_24const_host_device_scalarIT2_EEPKiS6_PKS3_S8_S4_PS3_21rocsparse_index_base_b: ; @_ZN9rocsparseL19gebsrmvn_4xn_kernelILj128ELj2ELj64EdEEvi20rocsparse_direction_NS_24const_host_device_scalarIT2_EEPKiS6_PKS3_S8_S4_PS3_21rocsparse_index_base_b
; %bb.0:
	s_load_dwordx2 s[2:3], s[4:5], 0x40
	s_load_dwordx2 s[10:11], s[4:5], 0x8
	;; [unrolled: 1-line block ×3, first 2 shown]
	s_waitcnt lgkmcnt(0)
	s_bitcmp1_b32 s3, 0
	s_cselect_b64 s[12:13], -1, 0
	v_mov_b32_e32 v1, s10
	s_xor_b64 s[8:9], s[12:13], -1
	s_and_b64 vcc, exec, s[12:13]
	v_mov_b32_e32 v2, s11
	s_cbranch_vccnz .LBB46_2
; %bb.1:
	v_mov_b32_e32 v1, s10
	v_mov_b32_e32 v2, s11
	flat_load_dwordx2 v[1:2], v[1:2]
.LBB46_2:
	v_mov_b32_e32 v4, s1
	s_andn2_b64 vcc, exec, s[8:9]
	v_mov_b32_e32 v3, s0
	s_cbranch_vccnz .LBB46_4
; %bb.3:
	v_mov_b32_e32 v4, s1
	v_mov_b32_e32 v3, s0
	flat_load_dwordx2 v[3:4], v[3:4]
.LBB46_4:
	s_waitcnt vmcnt(0) lgkmcnt(0)
	v_cmp_neq_f64_e32 vcc, 0, v[1:2]
	v_cmp_neq_f64_e64 s[0:1], 1.0, v[3:4]
	s_or_b64 s[0:1], vcc, s[0:1]
	s_and_saveexec_b64 s[8:9], s[0:1]
	s_cbranch_execz .LBB46_23
; %bb.5:
	s_load_dwordx2 s[0:1], s[4:5], 0x0
	v_lshrrev_b32_e32 v5, 6, v0
	v_lshl_or_b32 v5, s6, 1, v5
	s_waitcnt lgkmcnt(0)
	v_cmp_gt_i32_e32 vcc, s0, v5
	s_and_b64 exec, exec, vcc
	s_cbranch_execz .LBB46_23
; %bb.6:
	s_load_dwordx8 s[8:15], s[4:5], 0x10
	v_ashrrev_i32_e32 v6, 31, v5
	v_lshlrev_b64 v[6:7], 2, v[5:6]
	v_and_b32_e32 v0, 63, v0
	s_cmp_lg_u32 s1, 0
	s_waitcnt lgkmcnt(0)
	v_mov_b32_e32 v8, s9
	v_add_co_u32_e32 v6, vcc, s8, v6
	v_addc_co_u32_e32 v7, vcc, v8, v7, vcc
	global_load_dwordx2 v[6:7], v[6:7], off
	s_waitcnt vmcnt(0)
	v_subrev_u32_e32 v6, s2, v6
	v_subrev_u32_e32 v19, s2, v7
	v_add_u32_e32 v14, v6, v0
	v_cmp_lt_i32_e64 s[0:1], v14, v19
	s_cbranch_scc0 .LBB46_12
; %bb.7:
	v_mov_b32_e32 v10, 0
	v_mov_b32_e32 v6, 0
	;; [unrolled: 1-line block ×8, first 2 shown]
	s_and_saveexec_b64 s[6:7], s[0:1]
	s_cbranch_execz .LBB46_11
; %bb.8:
	v_mov_b32_e32 v10, 0
	v_mov_b32_e32 v6, 0
	;; [unrolled: 1-line block ×4, first 2 shown]
	v_lshlrev_b32_e32 v15, 3, v14
	v_mov_b32_e32 v11, 0
	s_mov_b64 s[8:9], 0
	v_mov_b32_e32 v20, s11
	v_mov_b32_e32 v16, 0
	;; [unrolled: 1-line block ×8, first 2 shown]
.LBB46_9:                               ; =>This Inner Loop Header: Depth=1
	v_ashrrev_i32_e32 v18, 31, v17
	v_lshlrev_b64 v[23:24], 2, v[17:18]
	v_mov_b32_e32 v32, v16
	v_add_co_u32_e32 v23, vcc, s10, v23
	v_addc_co_u32_e32 v24, vcc, v20, v24, vcc
	global_load_dword v18, v[23:24], off
	v_lshlrev_b64 v[23:24], 3, v[15:16]
	v_add_u32_e32 v17, 64, v17
	v_add_co_u32_e32 v43, vcc, s12, v23
	v_addc_co_u32_e32 v44, vcc, v21, v24, vcc
	global_load_dwordx4 v[23:26], v[43:44], off
	global_load_dwordx4 v[27:30], v[43:44], off offset:16
	v_add_u32_e32 v15, 0x200, v15
	s_waitcnt vmcnt(2)
	v_subrev_u32_e32 v18, s2, v18
	v_lshlrev_b32_e32 v31, 1, v18
	v_lshlrev_b64 v[31:32], 3, v[31:32]
	v_add_co_u32_e32 v45, vcc, s14, v31
	v_addc_co_u32_e32 v46, vcc, v22, v32, vcc
	global_load_dwordx4 v[31:34], v[45:46], off
	global_load_dwordx4 v[35:38], v[43:44], off offset:32
	global_load_dwordx4 v[39:42], v[43:44], off offset:48
	v_cmp_ge_i32_e32 vcc, v17, v19
	s_or_b64 s[8:9], vcc, s[8:9]
	s_waitcnt vmcnt(2)
	v_fma_f64 v[10:11], v[23:24], v[31:32], v[10:11]
	v_fma_f64 v[12:13], v[25:26], v[31:32], v[12:13]
	;; [unrolled: 1-line block ×4, first 2 shown]
	s_waitcnt vmcnt(1)
	v_fma_f64 v[10:11], v[35:36], v[33:34], v[10:11]
	v_fma_f64 v[12:13], v[37:38], v[33:34], v[12:13]
	s_waitcnt vmcnt(0)
	v_fma_f64 v[8:9], v[39:40], v[33:34], v[8:9]
	v_fma_f64 v[6:7], v[41:42], v[33:34], v[6:7]
	s_andn2_b64 exec, exec, s[8:9]
	s_cbranch_execnz .LBB46_9
; %bb.10:
	s_or_b64 exec, exec, s[8:9]
.LBB46_11:
	s_or_b64 exec, exec, s[6:7]
	s_cbranch_execz .LBB46_13
	s_branch .LBB46_18
.LBB46_12:
                                        ; implicit-def: $vgpr10_vgpr11
                                        ; implicit-def: $vgpr6_vgpr7
                                        ; implicit-def: $vgpr8_vgpr9
                                        ; implicit-def: $vgpr12_vgpr13
.LBB46_13:
	v_mov_b32_e32 v10, 0
	v_mov_b32_e32 v6, 0
	;; [unrolled: 1-line block ×8, first 2 shown]
	s_and_saveexec_b64 s[6:7], s[0:1]
	s_cbranch_execz .LBB46_17
; %bb.14:
	v_mov_b32_e32 v10, 0
	v_mov_b32_e32 v6, 0
	;; [unrolled: 1-line block ×4, first 2 shown]
	v_lshlrev_b32_e32 v16, 3, v14
	v_mov_b32_e32 v11, 0
	s_mov_b64 s[0:1], 0
	v_mov_b32_e32 v18, s11
	v_mov_b32_e32 v17, 0
	;; [unrolled: 1-line block ×7, first 2 shown]
.LBB46_15:                              ; =>This Inner Loop Header: Depth=1
	v_lshlrev_b64 v[22:23], 3, v[16:17]
	v_ashrrev_i32_e32 v15, 31, v14
	v_lshlrev_b64 v[24:25], 2, v[14:15]
	v_add_co_u32_e32 v38, vcc, s12, v22
	v_addc_co_u32_e32 v39, vcc, v20, v23, vcc
	v_add_co_u32_e32 v32, vcc, s10, v24
	v_addc_co_u32_e32 v33, vcc, v18, v25, vcc
	global_load_dwordx4 v[22:25], v[38:39], off
	global_load_dwordx4 v[26:29], v[38:39], off offset:16
	global_load_dword v15, v[32:33], off
	v_mov_b32_e32 v31, v17
	v_add_u32_e32 v14, 64, v14
	v_add_u32_e32 v16, 0x200, v16
	s_waitcnt vmcnt(0)
	v_subrev_u32_e32 v15, s2, v15
	v_lshlrev_b32_e32 v30, 1, v15
	v_lshlrev_b64 v[30:31], 3, v[30:31]
	v_add_co_u32_e32 v30, vcc, s14, v30
	v_addc_co_u32_e32 v31, vcc, v21, v31, vcc
	global_load_dwordx4 v[30:33], v[30:31], off
	v_cmp_ge_i32_e32 vcc, v14, v19
	s_or_b64 s[0:1], vcc, s[0:1]
	s_waitcnt vmcnt(0)
	v_fma_f64 v[10:11], v[22:23], v[30:31], v[10:11]
	v_fma_f64 v[12:13], v[26:27], v[30:31], v[12:13]
	;; [unrolled: 1-line block ×3, first 2 shown]
	global_load_dwordx4 v[22:25], v[38:39], off offset:32
	global_load_dwordx4 v[34:37], v[38:39], off offset:48
	v_fma_f64 v[12:13], v[28:29], v[32:33], v[12:13]
	s_waitcnt vmcnt(1)
	v_fma_f64 v[8:9], v[22:23], v[30:31], v[8:9]
	s_waitcnt vmcnt(0)
	v_fma_f64 v[6:7], v[34:35], v[30:31], v[6:7]
	v_fma_f64 v[8:9], v[24:25], v[32:33], v[8:9]
	;; [unrolled: 1-line block ×3, first 2 shown]
	s_andn2_b64 exec, exec, s[0:1]
	s_cbranch_execnz .LBB46_15
; %bb.16:
	s_or_b64 exec, exec, s[0:1]
.LBB46_17:
	s_or_b64 exec, exec, s[6:7]
.LBB46_18:
	v_mov_b32_dpp v14, v10 row_shr:1 row_mask:0xf bank_mask:0xf
	v_mov_b32_dpp v15, v11 row_shr:1 row_mask:0xf bank_mask:0xf
	v_add_f64 v[10:11], v[10:11], v[14:15]
	v_mov_b32_dpp v14, v12 row_shr:1 row_mask:0xf bank_mask:0xf
	v_mov_b32_dpp v15, v13 row_shr:1 row_mask:0xf bank_mask:0xf
	v_add_f64 v[12:13], v[12:13], v[14:15]
	;; [unrolled: 3-line block ×3, first 2 shown]
	v_cmp_eq_u32_e32 vcc, 63, v0
	v_mov_b32_dpp v14, v10 row_shr:2 row_mask:0xf bank_mask:0xf
	v_mov_b32_dpp v15, v11 row_shr:2 row_mask:0xf bank_mask:0xf
	v_add_f64 v[10:11], v[10:11], v[14:15]
	v_mov_b32_dpp v14, v8 row_shr:1 row_mask:0xf bank_mask:0xf
	v_mov_b32_dpp v15, v9 row_shr:1 row_mask:0xf bank_mask:0xf
	v_add_f64 v[8:9], v[8:9], v[14:15]
	v_mov_b32_dpp v14, v12 row_shr:2 row_mask:0xf bank_mask:0xf
	v_mov_b32_dpp v15, v10 row_shr:4 row_mask:0xf bank_mask:0xe
	v_mov_b32_dpp v16, v11 row_shr:4 row_mask:0xf bank_mask:0xe
	v_add_f64 v[10:11], v[10:11], v[15:16]
	v_mov_b32_dpp v15, v13 row_shr:2 row_mask:0xf bank_mask:0xf
	;; [unrolled: 4-line block ×3, first 2 shown]
	v_add_f64 v[8:9], v[8:9], v[16:17]
	v_mov_b32_dpp v15, v7 row_shr:2 row_mask:0xf bank_mask:0xf
	v_add_f64 v[6:7], v[6:7], v[14:15]
	v_mov_b32_dpp v16, v10 row_shr:8 row_mask:0xf bank_mask:0xc
	v_mov_b32_dpp v17, v11 row_shr:8 row_mask:0xf bank_mask:0xc
	v_add_f64 v[10:11], v[10:11], v[16:17]
	v_mov_b32_dpp v14, v12 row_shr:4 row_mask:0xf bank_mask:0xe
	v_mov_b32_dpp v15, v13 row_shr:4 row_mask:0xf bank_mask:0xe
	;; [unrolled: 1-line block ×3, first 2 shown]
	v_add_f64 v[12:13], v[12:13], v[14:15]
	v_mov_b32_dpp v17, v9 row_shr:4 row_mask:0xf bank_mask:0xe
	v_add_f64 v[8:9], v[8:9], v[16:17]
	v_mov_b32_dpp v15, v6 row_shr:4 row_mask:0xf bank_mask:0xe
	v_mov_b32_dpp v16, v7 row_shr:4 row_mask:0xf bank_mask:0xe
	v_add_f64 v[6:7], v[6:7], v[15:16]
	v_mov_b32_dpp v14, v10 row_bcast:15 row_mask:0xa bank_mask:0xf
	v_mov_b32_dpp v15, v11 row_bcast:15 row_mask:0xa bank_mask:0xf
	v_mov_b32_dpp v16, v12 row_shr:8 row_mask:0xf bank_mask:0xc
	v_mov_b32_dpp v17, v13 row_shr:8 row_mask:0xf bank_mask:0xc
	v_add_f64 v[12:13], v[12:13], v[16:17]
	v_mov_b32_dpp v16, v8 row_shr:8 row_mask:0xf bank_mask:0xc
	v_mov_b32_dpp v17, v9 row_shr:8 row_mask:0xf bank_mask:0xc
	v_add_f64 v[16:17], v[8:9], v[16:17]
	v_mov_b32_dpp v8, v6 row_shr:8 row_mask:0xf bank_mask:0xc
	v_mov_b32_dpp v9, v7 row_shr:8 row_mask:0xf bank_mask:0xc
	v_add_f64 v[18:19], v[6:7], v[8:9]
	v_add_f64 v[6:7], v[10:11], v[14:15]
	v_mov_b32_dpp v8, v12 row_bcast:15 row_mask:0xa bank_mask:0xf
	v_mov_b32_dpp v9, v13 row_bcast:15 row_mask:0xa bank_mask:0xf
	v_add_f64 v[8:9], v[12:13], v[8:9]
	v_mov_b32_dpp v10, v16 row_bcast:15 row_mask:0xa bank_mask:0xf
	v_mov_b32_dpp v11, v17 row_bcast:15 row_mask:0xa bank_mask:0xf
	;; [unrolled: 3-line block ×4, first 2 shown]
	v_mov_b32_dpp v10, v8 row_bcast:31 row_mask:0xc bank_mask:0xf
	v_mov_b32_dpp v11, v9 row_bcast:31 row_mask:0xc bank_mask:0xf
	v_mov_b32_dpp v20, v14 row_bcast:31 row_mask:0xc bank_mask:0xf
	v_mov_b32_dpp v21, v15 row_bcast:31 row_mask:0xc bank_mask:0xf
	v_mov_b32_dpp v18, v16 row_bcast:31 row_mask:0xc bank_mask:0xf
	v_mov_b32_dpp v19, v17 row_bcast:31 row_mask:0xc bank_mask:0xf
	s_and_b64 exec, exec, vcc
	s_cbranch_execz .LBB46_23
; %bb.19:
	v_add_f64 v[12:13], v[6:7], v[12:13]
	v_add_f64 v[10:11], v[8:9], v[10:11]
	;; [unrolled: 1-line block ×4, first 2 shown]
	v_cmp_eq_f64_e32 vcc, 0, v[3:4]
	s_load_dwordx2 s[0:1], s[4:5], 0x38
	s_and_saveexec_b64 s[2:3], vcc
	s_xor_b64 s[2:3], exec, s[2:3]
	s_cbranch_execz .LBB46_21
; %bb.20:
	v_mul_f64 v[12:13], v[1:2], v[12:13]
	v_mul_f64 v[14:15], v[1:2], v[10:11]
	v_lshlrev_b32_e32 v16, 2, v5
	v_mul_f64 v[3:4], v[1:2], v[6:7]
	v_mul_f64 v[5:6], v[1:2], v[8:9]
	v_ashrrev_i32_e32 v17, 31, v16
	v_lshlrev_b64 v[0:1], 3, v[16:17]
	s_waitcnt lgkmcnt(0)
	v_mov_b32_e32 v2, s1
	v_add_co_u32_e32 v0, vcc, s0, v0
	v_addc_co_u32_e32 v1, vcc, v2, v1, vcc
	global_store_dwordx4 v[0:1], v[12:15], off
	global_store_dwordx4 v[0:1], v[3:6], off offset:16
                                        ; implicit-def: $vgpr5
                                        ; implicit-def: $vgpr1_vgpr2
                                        ; implicit-def: $vgpr12_vgpr13
                                        ; implicit-def: $vgpr3_vgpr4
                                        ; implicit-def: $vgpr10_vgpr11
                                        ; implicit-def: $vgpr6_vgpr7
                                        ; implicit-def: $vgpr8_vgpr9
.LBB46_21:
	s_andn2_saveexec_b64 s[2:3], s[2:3]
	s_cbranch_execz .LBB46_23
; %bb.22:
	v_lshlrev_b32_e32 v14, 2, v5
	v_ashrrev_i32_e32 v15, 31, v14
	v_lshlrev_b64 v[14:15], 3, v[14:15]
	s_waitcnt lgkmcnt(0)
	v_mov_b32_e32 v0, s1
	v_add_co_u32_e32 v22, vcc, s0, v14
	v_addc_co_u32_e32 v23, vcc, v0, v15, vcc
	global_load_dwordx4 v[14:17], v[22:23], off
	global_load_dwordx4 v[18:21], v[22:23], off offset:16
	v_mul_f64 v[12:13], v[1:2], v[12:13]
	v_mul_f64 v[10:11], v[1:2], v[10:11]
	;; [unrolled: 1-line block ×4, first 2 shown]
	s_waitcnt vmcnt(1)
	v_fma_f64 v[5:6], v[3:4], v[14:15], v[12:13]
	v_fma_f64 v[7:8], v[3:4], v[16:17], v[10:11]
	s_waitcnt vmcnt(0)
	v_fma_f64 v[0:1], v[3:4], v[18:19], v[24:25]
	v_fma_f64 v[2:3], v[3:4], v[20:21], v[26:27]
	global_store_dwordx4 v[22:23], v[5:8], off
	global_store_dwordx4 v[22:23], v[0:3], off offset:16
.LBB46_23:
	s_endpgm
	.section	.rodata,"a",@progbits
	.p2align	6, 0x0
	.amdhsa_kernel _ZN9rocsparseL19gebsrmvn_4xn_kernelILj128ELj2ELj64EdEEvi20rocsparse_direction_NS_24const_host_device_scalarIT2_EEPKiS6_PKS3_S8_S4_PS3_21rocsparse_index_base_b
		.amdhsa_group_segment_fixed_size 0
		.amdhsa_private_segment_fixed_size 0
		.amdhsa_kernarg_size 72
		.amdhsa_user_sgpr_count 6
		.amdhsa_user_sgpr_private_segment_buffer 1
		.amdhsa_user_sgpr_dispatch_ptr 0
		.amdhsa_user_sgpr_queue_ptr 0
		.amdhsa_user_sgpr_kernarg_segment_ptr 1
		.amdhsa_user_sgpr_dispatch_id 0
		.amdhsa_user_sgpr_flat_scratch_init 0
		.amdhsa_user_sgpr_private_segment_size 0
		.amdhsa_uses_dynamic_stack 0
		.amdhsa_system_sgpr_private_segment_wavefront_offset 0
		.amdhsa_system_sgpr_workgroup_id_x 1
		.amdhsa_system_sgpr_workgroup_id_y 0
		.amdhsa_system_sgpr_workgroup_id_z 0
		.amdhsa_system_sgpr_workgroup_info 0
		.amdhsa_system_vgpr_workitem_id 0
		.amdhsa_next_free_vgpr 47
		.amdhsa_next_free_sgpr 16
		.amdhsa_reserve_vcc 1
		.amdhsa_reserve_flat_scratch 0
		.amdhsa_float_round_mode_32 0
		.amdhsa_float_round_mode_16_64 0
		.amdhsa_float_denorm_mode_32 3
		.amdhsa_float_denorm_mode_16_64 3
		.amdhsa_dx10_clamp 1
		.amdhsa_ieee_mode 1
		.amdhsa_fp16_overflow 0
		.amdhsa_exception_fp_ieee_invalid_op 0
		.amdhsa_exception_fp_denorm_src 0
		.amdhsa_exception_fp_ieee_div_zero 0
		.amdhsa_exception_fp_ieee_overflow 0
		.amdhsa_exception_fp_ieee_underflow 0
		.amdhsa_exception_fp_ieee_inexact 0
		.amdhsa_exception_int_div_zero 0
	.end_amdhsa_kernel
	.section	.text._ZN9rocsparseL19gebsrmvn_4xn_kernelILj128ELj2ELj64EdEEvi20rocsparse_direction_NS_24const_host_device_scalarIT2_EEPKiS6_PKS3_S8_S4_PS3_21rocsparse_index_base_b,"axG",@progbits,_ZN9rocsparseL19gebsrmvn_4xn_kernelILj128ELj2ELj64EdEEvi20rocsparse_direction_NS_24const_host_device_scalarIT2_EEPKiS6_PKS3_S8_S4_PS3_21rocsparse_index_base_b,comdat
.Lfunc_end46:
	.size	_ZN9rocsparseL19gebsrmvn_4xn_kernelILj128ELj2ELj64EdEEvi20rocsparse_direction_NS_24const_host_device_scalarIT2_EEPKiS6_PKS3_S8_S4_PS3_21rocsparse_index_base_b, .Lfunc_end46-_ZN9rocsparseL19gebsrmvn_4xn_kernelILj128ELj2ELj64EdEEvi20rocsparse_direction_NS_24const_host_device_scalarIT2_EEPKiS6_PKS3_S8_S4_PS3_21rocsparse_index_base_b
                                        ; -- End function
	.set _ZN9rocsparseL19gebsrmvn_4xn_kernelILj128ELj2ELj64EdEEvi20rocsparse_direction_NS_24const_host_device_scalarIT2_EEPKiS6_PKS3_S8_S4_PS3_21rocsparse_index_base_b.num_vgpr, 47
	.set _ZN9rocsparseL19gebsrmvn_4xn_kernelILj128ELj2ELj64EdEEvi20rocsparse_direction_NS_24const_host_device_scalarIT2_EEPKiS6_PKS3_S8_S4_PS3_21rocsparse_index_base_b.num_agpr, 0
	.set _ZN9rocsparseL19gebsrmvn_4xn_kernelILj128ELj2ELj64EdEEvi20rocsparse_direction_NS_24const_host_device_scalarIT2_EEPKiS6_PKS3_S8_S4_PS3_21rocsparse_index_base_b.numbered_sgpr, 16
	.set _ZN9rocsparseL19gebsrmvn_4xn_kernelILj128ELj2ELj64EdEEvi20rocsparse_direction_NS_24const_host_device_scalarIT2_EEPKiS6_PKS3_S8_S4_PS3_21rocsparse_index_base_b.num_named_barrier, 0
	.set _ZN9rocsparseL19gebsrmvn_4xn_kernelILj128ELj2ELj64EdEEvi20rocsparse_direction_NS_24const_host_device_scalarIT2_EEPKiS6_PKS3_S8_S4_PS3_21rocsparse_index_base_b.private_seg_size, 0
	.set _ZN9rocsparseL19gebsrmvn_4xn_kernelILj128ELj2ELj64EdEEvi20rocsparse_direction_NS_24const_host_device_scalarIT2_EEPKiS6_PKS3_S8_S4_PS3_21rocsparse_index_base_b.uses_vcc, 1
	.set _ZN9rocsparseL19gebsrmvn_4xn_kernelILj128ELj2ELj64EdEEvi20rocsparse_direction_NS_24const_host_device_scalarIT2_EEPKiS6_PKS3_S8_S4_PS3_21rocsparse_index_base_b.uses_flat_scratch, 0
	.set _ZN9rocsparseL19gebsrmvn_4xn_kernelILj128ELj2ELj64EdEEvi20rocsparse_direction_NS_24const_host_device_scalarIT2_EEPKiS6_PKS3_S8_S4_PS3_21rocsparse_index_base_b.has_dyn_sized_stack, 0
	.set _ZN9rocsparseL19gebsrmvn_4xn_kernelILj128ELj2ELj64EdEEvi20rocsparse_direction_NS_24const_host_device_scalarIT2_EEPKiS6_PKS3_S8_S4_PS3_21rocsparse_index_base_b.has_recursion, 0
	.set _ZN9rocsparseL19gebsrmvn_4xn_kernelILj128ELj2ELj64EdEEvi20rocsparse_direction_NS_24const_host_device_scalarIT2_EEPKiS6_PKS3_S8_S4_PS3_21rocsparse_index_base_b.has_indirect_call, 0
	.section	.AMDGPU.csdata,"",@progbits
; Kernel info:
; codeLenInByte = 1748
; TotalNumSgprs: 20
; NumVgprs: 47
; ScratchSize: 0
; MemoryBound: 0
; FloatMode: 240
; IeeeMode: 1
; LDSByteSize: 0 bytes/workgroup (compile time only)
; SGPRBlocks: 2
; VGPRBlocks: 11
; NumSGPRsForWavesPerEU: 20
; NumVGPRsForWavesPerEU: 47
; Occupancy: 5
; WaveLimiterHint : 1
; COMPUTE_PGM_RSRC2:SCRATCH_EN: 0
; COMPUTE_PGM_RSRC2:USER_SGPR: 6
; COMPUTE_PGM_RSRC2:TRAP_HANDLER: 0
; COMPUTE_PGM_RSRC2:TGID_X_EN: 1
; COMPUTE_PGM_RSRC2:TGID_Y_EN: 0
; COMPUTE_PGM_RSRC2:TGID_Z_EN: 0
; COMPUTE_PGM_RSRC2:TIDIG_COMP_CNT: 0
	.section	.text._ZN9rocsparseL19gebsrmvn_4xn_kernelILj128ELj3ELj4EdEEvi20rocsparse_direction_NS_24const_host_device_scalarIT2_EEPKiS6_PKS3_S8_S4_PS3_21rocsparse_index_base_b,"axG",@progbits,_ZN9rocsparseL19gebsrmvn_4xn_kernelILj128ELj3ELj4EdEEvi20rocsparse_direction_NS_24const_host_device_scalarIT2_EEPKiS6_PKS3_S8_S4_PS3_21rocsparse_index_base_b,comdat
	.globl	_ZN9rocsparseL19gebsrmvn_4xn_kernelILj128ELj3ELj4EdEEvi20rocsparse_direction_NS_24const_host_device_scalarIT2_EEPKiS6_PKS3_S8_S4_PS3_21rocsparse_index_base_b ; -- Begin function _ZN9rocsparseL19gebsrmvn_4xn_kernelILj128ELj3ELj4EdEEvi20rocsparse_direction_NS_24const_host_device_scalarIT2_EEPKiS6_PKS3_S8_S4_PS3_21rocsparse_index_base_b
	.p2align	8
	.type	_ZN9rocsparseL19gebsrmvn_4xn_kernelILj128ELj3ELj4EdEEvi20rocsparse_direction_NS_24const_host_device_scalarIT2_EEPKiS6_PKS3_S8_S4_PS3_21rocsparse_index_base_b,@function
_ZN9rocsparseL19gebsrmvn_4xn_kernelILj128ELj3ELj4EdEEvi20rocsparse_direction_NS_24const_host_device_scalarIT2_EEPKiS6_PKS3_S8_S4_PS3_21rocsparse_index_base_b: ; @_ZN9rocsparseL19gebsrmvn_4xn_kernelILj128ELj3ELj4EdEEvi20rocsparse_direction_NS_24const_host_device_scalarIT2_EEPKiS6_PKS3_S8_S4_PS3_21rocsparse_index_base_b
; %bb.0:
	s_load_dwordx2 s[2:3], s[4:5], 0x40
	s_load_dwordx2 s[10:11], s[4:5], 0x8
	;; [unrolled: 1-line block ×3, first 2 shown]
	s_waitcnt lgkmcnt(0)
	s_bitcmp1_b32 s3, 0
	s_cselect_b64 s[12:13], -1, 0
	v_mov_b32_e32 v1, s10
	s_xor_b64 s[8:9], s[12:13], -1
	s_and_b64 vcc, exec, s[12:13]
	v_mov_b32_e32 v2, s11
	s_cbranch_vccnz .LBB47_2
; %bb.1:
	v_mov_b32_e32 v1, s10
	v_mov_b32_e32 v2, s11
	flat_load_dwordx2 v[1:2], v[1:2]
.LBB47_2:
	v_mov_b32_e32 v4, s1
	s_andn2_b64 vcc, exec, s[8:9]
	v_mov_b32_e32 v3, s0
	s_cbranch_vccnz .LBB47_4
; %bb.3:
	v_mov_b32_e32 v4, s1
	v_mov_b32_e32 v3, s0
	flat_load_dwordx2 v[3:4], v[3:4]
.LBB47_4:
	s_waitcnt vmcnt(0) lgkmcnt(0)
	v_cmp_neq_f64_e32 vcc, 0, v[1:2]
	v_cmp_neq_f64_e64 s[0:1], 1.0, v[3:4]
	s_or_b64 s[0:1], vcc, s[0:1]
	s_and_saveexec_b64 s[8:9], s[0:1]
	s_cbranch_execz .LBB47_23
; %bb.5:
	s_load_dwordx2 s[0:1], s[4:5], 0x0
	v_lshrrev_b32_e32 v5, 2, v0
	v_lshl_or_b32 v5, s6, 5, v5
	s_waitcnt lgkmcnt(0)
	v_cmp_gt_i32_e32 vcc, s0, v5
	s_and_b64 exec, exec, vcc
	s_cbranch_execz .LBB47_23
; %bb.6:
	s_load_dwordx8 s[8:15], s[4:5], 0x10
	v_ashrrev_i32_e32 v6, 31, v5
	v_lshlrev_b64 v[6:7], 2, v[5:6]
	v_and_b32_e32 v0, 3, v0
	s_cmp_lg_u32 s1, 0
	s_waitcnt lgkmcnt(0)
	v_mov_b32_e32 v8, s9
	v_add_co_u32_e32 v6, vcc, s8, v6
	v_addc_co_u32_e32 v7, vcc, v8, v7, vcc
	global_load_dwordx2 v[6:7], v[6:7], off
	s_waitcnt vmcnt(0)
	v_subrev_u32_e32 v6, s2, v6
	v_subrev_u32_e32 v20, s2, v7
	v_add_u32_e32 v6, v6, v0
	v_cmp_lt_i32_e64 s[0:1], v6, v20
	s_cbranch_scc0 .LBB47_12
; %bb.7:
	v_mov_b32_e32 v14, 0
	v_mov_b32_e32 v8, 0
	;; [unrolled: 1-line block ×8, first 2 shown]
	s_and_saveexec_b64 s[6:7], s[0:1]
	s_cbranch_execz .LBB47_11
; %bb.8:
	v_mul_lo_u32 v16, v6, 12
	v_mov_b32_e32 v14, 0
	v_mov_b32_e32 v8, 0
	;; [unrolled: 1-line block ×5, first 2 shown]
	s_mov_b64 s[8:9], 0
	v_mov_b32_e32 v7, s11
	v_mov_b32_e32 v17, 0
	;; [unrolled: 1-line block ×8, first 2 shown]
.LBB47_9:                               ; =>This Inner Loop Header: Depth=1
	v_ashrrev_i32_e32 v19, 31, v18
	v_lshlrev_b64 v[23:24], 2, v[18:19]
	v_add_u32_e32 v25, 4, v16
	v_add_co_u32_e32 v23, vcc, s10, v23
	v_addc_co_u32_e32 v24, vcc, v7, v24, vcc
	global_load_dword v19, v[23:24], off
	v_lshlrev_b64 v[23:24], 3, v[16:17]
	v_mov_b32_e32 v26, v17
	v_lshlrev_b64 v[31:32], 3, v[25:26]
	v_add_co_u32_e32 v35, vcc, s12, v23
	v_add_u32_e32 v27, 8, v16
	v_mov_b32_e32 v28, v17
	v_addc_co_u32_e32 v36, vcc, v21, v24, vcc
	v_lshlrev_b64 v[33:34], 3, v[27:28]
	v_add_co_u32_e32 v52, vcc, s12, v31
	v_addc_co_u32_e32 v53, vcc, v21, v32, vcc
	v_mov_b32_e32 v48, v17
	v_add_co_u32_e32 v54, vcc, s12, v33
	global_load_dwordx4 v[23:26], v[35:36], off
	global_load_dwordx4 v[27:30], v[35:36], off offset:16
	v_addc_co_u32_e32 v55, vcc, v21, v34, vcc
	global_load_dwordx4 v[31:34], v[52:53], off
	global_load_dwordx4 v[35:38], v[52:53], off offset:16
	global_load_dwordx4 v[39:42], v[54:55], off offset:16
	global_load_dwordx4 v[43:46], v[54:55], off
	v_mov_b32_e32 v49, v17
	v_mov_b32_e32 v51, v17
	v_add_u32_e32 v18, 4, v18
	v_add_u32_e32 v16, 48, v16
	s_waitcnt vmcnt(6)
	v_subrev_u32_e32 v19, s2, v19
	v_lshl_add_u32 v47, v19, 1, v19
	v_lshlrev_b64 v[52:53], 3, v[47:48]
	v_add_u32_e32 v48, 1, v47
	v_add_u32_e32 v50, 2, v47
	v_lshlrev_b64 v[47:48], 3, v[48:49]
	v_lshlrev_b64 v[49:50], 3, v[50:51]
	v_add_co_u32_e32 v51, vcc, s14, v52
	v_addc_co_u32_e32 v52, vcc, v22, v53, vcc
	global_load_dwordx2 v[51:52], v[51:52], off
	v_add_co_u32_e32 v47, vcc, s14, v47
	v_addc_co_u32_e32 v48, vcc, v22, v48, vcc
	global_load_dwordx2 v[47:48], v[47:48], off
	;; [unrolled: 3-line block ×3, first 2 shown]
	v_cmp_ge_i32_e32 vcc, v18, v20
	s_or_b64 s[8:9], vcc, s[8:9]
	s_waitcnt vmcnt(2)
	v_fma_f64 v[14:15], v[23:24], v[51:52], v[14:15]
	v_fma_f64 v[12:13], v[25:26], v[51:52], v[12:13]
	v_fma_f64 v[10:11], v[27:28], v[51:52], v[10:11]
	v_fma_f64 v[8:9], v[29:30], v[51:52], v[8:9]
	s_waitcnt vmcnt(1)
	v_fma_f64 v[14:15], v[31:32], v[47:48], v[14:15]
	v_fma_f64 v[12:13], v[33:34], v[47:48], v[12:13]
	v_fma_f64 v[10:11], v[35:36], v[47:48], v[10:11]
	v_fma_f64 v[8:9], v[37:38], v[47:48], v[8:9]
	s_waitcnt vmcnt(0)
	v_fma_f64 v[14:15], v[43:44], v[49:50], v[14:15]
	v_fma_f64 v[12:13], v[45:46], v[49:50], v[12:13]
	v_fma_f64 v[10:11], v[39:40], v[49:50], v[10:11]
	v_fma_f64 v[8:9], v[41:42], v[49:50], v[8:9]
	s_andn2_b64 exec, exec, s[8:9]
	s_cbranch_execnz .LBB47_9
; %bb.10:
	s_or_b64 exec, exec, s[8:9]
.LBB47_11:
	s_or_b64 exec, exec, s[6:7]
	s_cbranch_execz .LBB47_13
	s_branch .LBB47_18
.LBB47_12:
                                        ; implicit-def: $vgpr14_vgpr15
                                        ; implicit-def: $vgpr8_vgpr9
                                        ; implicit-def: $vgpr10_vgpr11
                                        ; implicit-def: $vgpr12_vgpr13
.LBB47_13:
	v_mov_b32_e32 v14, 0
	v_mov_b32_e32 v8, 0
	;; [unrolled: 1-line block ×8, first 2 shown]
	s_and_saveexec_b64 s[6:7], s[0:1]
	s_cbranch_execz .LBB47_17
; %bb.14:
	v_mad_u64_u32 v[16:17], s[0:1], v6, 12, 11
	v_mov_b32_e32 v14, 0
	v_mov_b32_e32 v8, 0
	;; [unrolled: 1-line block ×5, first 2 shown]
	s_mov_b64 s[0:1], 0
	v_mov_b32_e32 v21, s11
	v_mov_b32_e32 v19, 0
	;; [unrolled: 1-line block ×7, first 2 shown]
.LBB47_15:                              ; =>This Inner Loop Header: Depth=1
	v_ashrrev_i32_e32 v7, 31, v6
	v_lshlrev_b64 v[28:29], 2, v[6:7]
	v_add_u32_e32 v18, -11, v16
	v_lshlrev_b64 v[30:31], 3, v[18:19]
	v_add_co_u32_e32 v28, vcc, s10, v28
	v_addc_co_u32_e32 v29, vcc, v21, v29, vcc
	v_add_u32_e32 v24, -5, v16
	v_mov_b32_e32 v25, v19
	v_add_u32_e32 v26, -2, v16
	v_mov_b32_e32 v27, v19
	v_add_co_u32_e32 v38, vcc, s12, v30
	v_lshlrev_b64 v[34:35], 3, v[24:25]
	v_lshlrev_b64 v[36:37], 3, v[26:27]
	v_addc_co_u32_e32 v39, vcc, v22, v31, vcc
	global_load_dword v7, v[28:29], off
	global_load_dwordx4 v[24:27], v[38:39], off
	v_mov_b32_e32 v33, v19
	v_mov_b32_e32 v17, v19
	v_add_u32_e32 v6, 4, v6
	s_waitcnt vmcnt(1)
	v_subrev_u32_e32 v7, s2, v7
	v_lshl_add_u32 v32, v7, 1, v7
	v_lshlrev_b64 v[28:29], 3, v[32:33]
	v_add_u32_e32 v18, 1, v32
	v_lshlrev_b64 v[30:31], 3, v[18:19]
	v_add_co_u32_e32 v40, vcc, s14, v28
	v_addc_co_u32_e32 v41, vcc, v23, v29, vcc
	v_add_co_u32_e32 v42, vcc, s14, v30
	v_addc_co_u32_e32 v43, vcc, v23, v31, vcc
	global_load_dwordx4 v[28:31], v[38:39], off offset:16
	global_load_dwordx2 v[44:45], v[40:41], off
	global_load_dwordx2 v[46:47], v[42:43], off
	v_lshlrev_b64 v[17:18], 3, v[16:17]
	s_waitcnt vmcnt(1)
	v_fma_f64 v[14:15], v[24:25], v[44:45], v[14:15]
	v_add_co_u32_e32 v24, vcc, s12, v34
	v_addc_co_u32_e32 v25, vcc, v22, v35, vcc
	v_fma_f64 v[12:13], v[30:31], v[44:45], v[12:13]
	s_waitcnt vmcnt(0)
	v_fma_f64 v[14:15], v[26:27], v[46:47], v[14:15]
	v_add_co_u32_e32 v26, vcc, s12, v36
	v_addc_co_u32_e32 v27, vcc, v22, v37, vcc
	v_add_co_u32_e32 v33, vcc, s12, v17
	v_addc_co_u32_e32 v34, vcc, v22, v18, vcc
	v_add_u32_e32 v18, -7, v16
	v_lshlrev_b64 v[17:18], 3, v[18:19]
	global_load_dwordx2 v[50:51], v[24:25], off
	global_load_dwordx2 v[52:53], v[26:27], off
	v_add_co_u32_e32 v35, vcc, s12, v17
	v_addc_co_u32_e32 v36, vcc, v22, v18, vcc
	v_add_u32_e32 v18, -4, v16
	v_lshlrev_b64 v[37:38], 3, v[18:19]
	v_add_u32_e32 v18, -1, v16
	v_lshlrev_b64 v[39:40], 3, v[18:19]
	v_add_co_u32_e32 v37, vcc, s12, v37
	v_addc_co_u32_e32 v38, vcc, v22, v38, vcc
	v_add_co_u32_e32 v39, vcc, s12, v39
	v_addc_co_u32_e32 v40, vcc, v22, v40, vcc
	global_load_dwordx2 v[24:25], v[35:36], off
	global_load_dwordx2 v[26:27], v[37:38], off
	;; [unrolled: 1-line block ×3, first 2 shown]
	v_add_u32_e32 v18, 2, v32
	v_lshlrev_b64 v[17:18], 3, v[18:19]
	v_add_co_u32_e32 v41, vcc, s14, v17
	v_addc_co_u32_e32 v42, vcc, v23, v18, vcc
	v_add_u32_e32 v18, -6, v16
	v_lshlrev_b64 v[17:18], 3, v[18:19]
	v_add_co_u32_e32 v48, vcc, s12, v17
	v_addc_co_u32_e32 v49, vcc, v22, v18, vcc
	v_add_u32_e32 v18, -3, v16
	v_lshlrev_b64 v[17:18], 3, v[18:19]
	v_add_u32_e32 v16, 48, v16
	v_add_co_u32_e32 v17, vcc, s12, v17
	v_addc_co_u32_e32 v18, vcc, v22, v18, vcc
	v_cmp_ge_i32_e32 vcc, v6, v20
	s_or_b64 s[0:1], vcc, s[0:1]
	s_waitcnt vmcnt(4)
	v_fma_f64 v[10:11], v[50:51], v[44:45], v[10:11]
	s_waitcnt vmcnt(3)
	v_fma_f64 v[7:8], v[52:53], v[44:45], v[8:9]
	;; [unrolled: 2-line block ×3, first 2 shown]
	global_load_dwordx2 v[24:25], v[41:42], off
	global_load_dwordx2 v[35:36], v[48:49], off
	;; [unrolled: 1-line block ×4, first 2 shown]
	s_waitcnt vmcnt(5)
	v_fma_f64 v[9:10], v[26:27], v[46:47], v[10:11]
	s_waitcnt vmcnt(4)
	v_fma_f64 v[7:8], v[30:31], v[46:47], v[7:8]
	;; [unrolled: 2-line block ×6, first 2 shown]
	s_andn2_b64 exec, exec, s[0:1]
	s_cbranch_execnz .LBB47_15
; %bb.16:
	s_or_b64 exec, exec, s[0:1]
.LBB47_17:
	s_or_b64 exec, exec, s[6:7]
.LBB47_18:
	v_mov_b32_dpp v6, v14 row_shr:1 row_mask:0xf bank_mask:0xf
	v_mov_b32_dpp v7, v15 row_shr:1 row_mask:0xf bank_mask:0xf
	v_add_f64 v[6:7], v[14:15], v[6:7]
	v_mov_b32_dpp v14, v12 row_shr:1 row_mask:0xf bank_mask:0xf
	v_mov_b32_dpp v15, v13 row_shr:1 row_mask:0xf bank_mask:0xf
	v_add_f64 v[14:15], v[12:13], v[14:15]
	;; [unrolled: 3-line block ×4, first 2 shown]
	v_mov_b32_dpp v12, v6 row_shr:2 row_mask:0xf bank_mask:0xf
	v_mov_b32_dpp v13, v7 row_shr:2 row_mask:0xf bank_mask:0xf
	v_mov_b32_dpp v10, v14 row_shr:2 row_mask:0xf bank_mask:0xf
	v_mov_b32_dpp v11, v15 row_shr:2 row_mask:0xf bank_mask:0xf
	v_mov_b32_dpp v20, v16 row_shr:2 row_mask:0xf bank_mask:0xf
	v_mov_b32_dpp v21, v17 row_shr:2 row_mask:0xf bank_mask:0xf
	v_cmp_eq_u32_e32 vcc, 3, v0
	v_mov_b32_dpp v18, v8 row_shr:2 row_mask:0xf bank_mask:0xf
	v_mov_b32_dpp v19, v9 row_shr:2 row_mask:0xf bank_mask:0xf
	s_and_b64 exec, exec, vcc
	s_cbranch_execz .LBB47_23
; %bb.19:
	v_add_f64 v[12:13], v[6:7], v[12:13]
	v_add_f64 v[10:11], v[14:15], v[10:11]
	;; [unrolled: 1-line block ×4, first 2 shown]
	v_cmp_eq_f64_e32 vcc, 0, v[3:4]
	s_load_dwordx2 s[0:1], s[4:5], 0x38
	s_and_saveexec_b64 s[2:3], vcc
	s_xor_b64 s[2:3], exec, s[2:3]
	s_cbranch_execz .LBB47_21
; %bb.20:
	v_mul_f64 v[12:13], v[1:2], v[12:13]
	v_mul_f64 v[14:15], v[1:2], v[10:11]
	v_lshlrev_b32_e32 v16, 2, v5
	v_mul_f64 v[3:4], v[1:2], v[6:7]
	v_mul_f64 v[5:6], v[1:2], v[8:9]
	v_ashrrev_i32_e32 v17, 31, v16
	v_lshlrev_b64 v[0:1], 3, v[16:17]
	s_waitcnt lgkmcnt(0)
	v_mov_b32_e32 v2, s1
	v_add_co_u32_e32 v0, vcc, s0, v0
	v_addc_co_u32_e32 v1, vcc, v2, v1, vcc
	global_store_dwordx4 v[0:1], v[12:15], off
	global_store_dwordx4 v[0:1], v[3:6], off offset:16
                                        ; implicit-def: $vgpr5
                                        ; implicit-def: $vgpr1_vgpr2
                                        ; implicit-def: $vgpr12_vgpr13
                                        ; implicit-def: $vgpr3_vgpr4
                                        ; implicit-def: $vgpr10_vgpr11
                                        ; implicit-def: $vgpr6_vgpr7
                                        ; implicit-def: $vgpr8_vgpr9
.LBB47_21:
	s_andn2_saveexec_b64 s[2:3], s[2:3]
	s_cbranch_execz .LBB47_23
; %bb.22:
	v_lshlrev_b32_e32 v14, 2, v5
	v_ashrrev_i32_e32 v15, 31, v14
	v_lshlrev_b64 v[14:15], 3, v[14:15]
	s_waitcnt lgkmcnt(0)
	v_mov_b32_e32 v0, s1
	v_add_co_u32_e32 v22, vcc, s0, v14
	v_addc_co_u32_e32 v23, vcc, v0, v15, vcc
	global_load_dwordx4 v[14:17], v[22:23], off
	global_load_dwordx4 v[18:21], v[22:23], off offset:16
	v_mul_f64 v[12:13], v[1:2], v[12:13]
	v_mul_f64 v[10:11], v[1:2], v[10:11]
	;; [unrolled: 1-line block ×4, first 2 shown]
	s_waitcnt vmcnt(1)
	v_fma_f64 v[5:6], v[3:4], v[14:15], v[12:13]
	v_fma_f64 v[7:8], v[3:4], v[16:17], v[10:11]
	s_waitcnt vmcnt(0)
	v_fma_f64 v[0:1], v[3:4], v[18:19], v[24:25]
	v_fma_f64 v[2:3], v[3:4], v[20:21], v[26:27]
	global_store_dwordx4 v[22:23], v[5:8], off
	global_store_dwordx4 v[22:23], v[0:3], off offset:16
.LBB47_23:
	s_endpgm
	.section	.rodata,"a",@progbits
	.p2align	6, 0x0
	.amdhsa_kernel _ZN9rocsparseL19gebsrmvn_4xn_kernelILj128ELj3ELj4EdEEvi20rocsparse_direction_NS_24const_host_device_scalarIT2_EEPKiS6_PKS3_S8_S4_PS3_21rocsparse_index_base_b
		.amdhsa_group_segment_fixed_size 0
		.amdhsa_private_segment_fixed_size 0
		.amdhsa_kernarg_size 72
		.amdhsa_user_sgpr_count 6
		.amdhsa_user_sgpr_private_segment_buffer 1
		.amdhsa_user_sgpr_dispatch_ptr 0
		.amdhsa_user_sgpr_queue_ptr 0
		.amdhsa_user_sgpr_kernarg_segment_ptr 1
		.amdhsa_user_sgpr_dispatch_id 0
		.amdhsa_user_sgpr_flat_scratch_init 0
		.amdhsa_user_sgpr_private_segment_size 0
		.amdhsa_uses_dynamic_stack 0
		.amdhsa_system_sgpr_private_segment_wavefront_offset 0
		.amdhsa_system_sgpr_workgroup_id_x 1
		.amdhsa_system_sgpr_workgroup_id_y 0
		.amdhsa_system_sgpr_workgroup_id_z 0
		.amdhsa_system_sgpr_workgroup_info 0
		.amdhsa_system_vgpr_workitem_id 0
		.amdhsa_next_free_vgpr 56
		.amdhsa_next_free_sgpr 16
		.amdhsa_reserve_vcc 1
		.amdhsa_reserve_flat_scratch 0
		.amdhsa_float_round_mode_32 0
		.amdhsa_float_round_mode_16_64 0
		.amdhsa_float_denorm_mode_32 3
		.amdhsa_float_denorm_mode_16_64 3
		.amdhsa_dx10_clamp 1
		.amdhsa_ieee_mode 1
		.amdhsa_fp16_overflow 0
		.amdhsa_exception_fp_ieee_invalid_op 0
		.amdhsa_exception_fp_denorm_src 0
		.amdhsa_exception_fp_ieee_div_zero 0
		.amdhsa_exception_fp_ieee_overflow 0
		.amdhsa_exception_fp_ieee_underflow 0
		.amdhsa_exception_fp_ieee_inexact 0
		.amdhsa_exception_int_div_zero 0
	.end_amdhsa_kernel
	.section	.text._ZN9rocsparseL19gebsrmvn_4xn_kernelILj128ELj3ELj4EdEEvi20rocsparse_direction_NS_24const_host_device_scalarIT2_EEPKiS6_PKS3_S8_S4_PS3_21rocsparse_index_base_b,"axG",@progbits,_ZN9rocsparseL19gebsrmvn_4xn_kernelILj128ELj3ELj4EdEEvi20rocsparse_direction_NS_24const_host_device_scalarIT2_EEPKiS6_PKS3_S8_S4_PS3_21rocsparse_index_base_b,comdat
.Lfunc_end47:
	.size	_ZN9rocsparseL19gebsrmvn_4xn_kernelILj128ELj3ELj4EdEEvi20rocsparse_direction_NS_24const_host_device_scalarIT2_EEPKiS6_PKS3_S8_S4_PS3_21rocsparse_index_base_b, .Lfunc_end47-_ZN9rocsparseL19gebsrmvn_4xn_kernelILj128ELj3ELj4EdEEvi20rocsparse_direction_NS_24const_host_device_scalarIT2_EEPKiS6_PKS3_S8_S4_PS3_21rocsparse_index_base_b
                                        ; -- End function
	.set _ZN9rocsparseL19gebsrmvn_4xn_kernelILj128ELj3ELj4EdEEvi20rocsparse_direction_NS_24const_host_device_scalarIT2_EEPKiS6_PKS3_S8_S4_PS3_21rocsparse_index_base_b.num_vgpr, 56
	.set _ZN9rocsparseL19gebsrmvn_4xn_kernelILj128ELj3ELj4EdEEvi20rocsparse_direction_NS_24const_host_device_scalarIT2_EEPKiS6_PKS3_S8_S4_PS3_21rocsparse_index_base_b.num_agpr, 0
	.set _ZN9rocsparseL19gebsrmvn_4xn_kernelILj128ELj3ELj4EdEEvi20rocsparse_direction_NS_24const_host_device_scalarIT2_EEPKiS6_PKS3_S8_S4_PS3_21rocsparse_index_base_b.numbered_sgpr, 16
	.set _ZN9rocsparseL19gebsrmvn_4xn_kernelILj128ELj3ELj4EdEEvi20rocsparse_direction_NS_24const_host_device_scalarIT2_EEPKiS6_PKS3_S8_S4_PS3_21rocsparse_index_base_b.num_named_barrier, 0
	.set _ZN9rocsparseL19gebsrmvn_4xn_kernelILj128ELj3ELj4EdEEvi20rocsparse_direction_NS_24const_host_device_scalarIT2_EEPKiS6_PKS3_S8_S4_PS3_21rocsparse_index_base_b.private_seg_size, 0
	.set _ZN9rocsparseL19gebsrmvn_4xn_kernelILj128ELj3ELj4EdEEvi20rocsparse_direction_NS_24const_host_device_scalarIT2_EEPKiS6_PKS3_S8_S4_PS3_21rocsparse_index_base_b.uses_vcc, 1
	.set _ZN9rocsparseL19gebsrmvn_4xn_kernelILj128ELj3ELj4EdEEvi20rocsparse_direction_NS_24const_host_device_scalarIT2_EEPKiS6_PKS3_S8_S4_PS3_21rocsparse_index_base_b.uses_flat_scratch, 0
	.set _ZN9rocsparseL19gebsrmvn_4xn_kernelILj128ELj3ELj4EdEEvi20rocsparse_direction_NS_24const_host_device_scalarIT2_EEPKiS6_PKS3_S8_S4_PS3_21rocsparse_index_base_b.has_dyn_sized_stack, 0
	.set _ZN9rocsparseL19gebsrmvn_4xn_kernelILj128ELj3ELj4EdEEvi20rocsparse_direction_NS_24const_host_device_scalarIT2_EEPKiS6_PKS3_S8_S4_PS3_21rocsparse_index_base_b.has_recursion, 0
	.set _ZN9rocsparseL19gebsrmvn_4xn_kernelILj128ELj3ELj4EdEEvi20rocsparse_direction_NS_24const_host_device_scalarIT2_EEPKiS6_PKS3_S8_S4_PS3_21rocsparse_index_base_b.has_indirect_call, 0
	.section	.AMDGPU.csdata,"",@progbits
; Kernel info:
; codeLenInByte = 1872
; TotalNumSgprs: 20
; NumVgprs: 56
; ScratchSize: 0
; MemoryBound: 0
; FloatMode: 240
; IeeeMode: 1
; LDSByteSize: 0 bytes/workgroup (compile time only)
; SGPRBlocks: 2
; VGPRBlocks: 13
; NumSGPRsForWavesPerEU: 20
; NumVGPRsForWavesPerEU: 56
; Occupancy: 4
; WaveLimiterHint : 1
; COMPUTE_PGM_RSRC2:SCRATCH_EN: 0
; COMPUTE_PGM_RSRC2:USER_SGPR: 6
; COMPUTE_PGM_RSRC2:TRAP_HANDLER: 0
; COMPUTE_PGM_RSRC2:TGID_X_EN: 1
; COMPUTE_PGM_RSRC2:TGID_Y_EN: 0
; COMPUTE_PGM_RSRC2:TGID_Z_EN: 0
; COMPUTE_PGM_RSRC2:TIDIG_COMP_CNT: 0
	.section	.text._ZN9rocsparseL19gebsrmvn_4xn_kernelILj128ELj3ELj8EdEEvi20rocsparse_direction_NS_24const_host_device_scalarIT2_EEPKiS6_PKS3_S8_S4_PS3_21rocsparse_index_base_b,"axG",@progbits,_ZN9rocsparseL19gebsrmvn_4xn_kernelILj128ELj3ELj8EdEEvi20rocsparse_direction_NS_24const_host_device_scalarIT2_EEPKiS6_PKS3_S8_S4_PS3_21rocsparse_index_base_b,comdat
	.globl	_ZN9rocsparseL19gebsrmvn_4xn_kernelILj128ELj3ELj8EdEEvi20rocsparse_direction_NS_24const_host_device_scalarIT2_EEPKiS6_PKS3_S8_S4_PS3_21rocsparse_index_base_b ; -- Begin function _ZN9rocsparseL19gebsrmvn_4xn_kernelILj128ELj3ELj8EdEEvi20rocsparse_direction_NS_24const_host_device_scalarIT2_EEPKiS6_PKS3_S8_S4_PS3_21rocsparse_index_base_b
	.p2align	8
	.type	_ZN9rocsparseL19gebsrmvn_4xn_kernelILj128ELj3ELj8EdEEvi20rocsparse_direction_NS_24const_host_device_scalarIT2_EEPKiS6_PKS3_S8_S4_PS3_21rocsparse_index_base_b,@function
_ZN9rocsparseL19gebsrmvn_4xn_kernelILj128ELj3ELj8EdEEvi20rocsparse_direction_NS_24const_host_device_scalarIT2_EEPKiS6_PKS3_S8_S4_PS3_21rocsparse_index_base_b: ; @_ZN9rocsparseL19gebsrmvn_4xn_kernelILj128ELj3ELj8EdEEvi20rocsparse_direction_NS_24const_host_device_scalarIT2_EEPKiS6_PKS3_S8_S4_PS3_21rocsparse_index_base_b
; %bb.0:
	s_load_dwordx2 s[2:3], s[4:5], 0x40
	s_load_dwordx2 s[10:11], s[4:5], 0x8
	s_load_dwordx2 s[0:1], s[4:5], 0x30
	s_waitcnt lgkmcnt(0)
	s_bitcmp1_b32 s3, 0
	s_cselect_b64 s[12:13], -1, 0
	v_mov_b32_e32 v1, s10
	s_xor_b64 s[8:9], s[12:13], -1
	s_and_b64 vcc, exec, s[12:13]
	v_mov_b32_e32 v2, s11
	s_cbranch_vccnz .LBB48_2
; %bb.1:
	v_mov_b32_e32 v1, s10
	v_mov_b32_e32 v2, s11
	flat_load_dwordx2 v[1:2], v[1:2]
.LBB48_2:
	v_mov_b32_e32 v4, s1
	s_andn2_b64 vcc, exec, s[8:9]
	v_mov_b32_e32 v3, s0
	s_cbranch_vccnz .LBB48_4
; %bb.3:
	v_mov_b32_e32 v4, s1
	v_mov_b32_e32 v3, s0
	flat_load_dwordx2 v[3:4], v[3:4]
.LBB48_4:
	s_waitcnt vmcnt(0) lgkmcnt(0)
	v_cmp_neq_f64_e32 vcc, 0, v[1:2]
	v_cmp_neq_f64_e64 s[0:1], 1.0, v[3:4]
	s_or_b64 s[0:1], vcc, s[0:1]
	s_and_saveexec_b64 s[8:9], s[0:1]
	s_cbranch_execz .LBB48_23
; %bb.5:
	s_load_dwordx2 s[0:1], s[4:5], 0x0
	v_lshrrev_b32_e32 v5, 3, v0
	v_lshl_or_b32 v5, s6, 4, v5
	s_waitcnt lgkmcnt(0)
	v_cmp_gt_i32_e32 vcc, s0, v5
	s_and_b64 exec, exec, vcc
	s_cbranch_execz .LBB48_23
; %bb.6:
	s_load_dwordx8 s[8:15], s[4:5], 0x10
	v_ashrrev_i32_e32 v6, 31, v5
	v_lshlrev_b64 v[6:7], 2, v[5:6]
	v_and_b32_e32 v0, 7, v0
	s_cmp_lg_u32 s1, 0
	s_waitcnt lgkmcnt(0)
	v_mov_b32_e32 v8, s9
	v_add_co_u32_e32 v6, vcc, s8, v6
	v_addc_co_u32_e32 v7, vcc, v8, v7, vcc
	global_load_dwordx2 v[6:7], v[6:7], off
	s_waitcnt vmcnt(0)
	v_subrev_u32_e32 v6, s2, v6
	v_subrev_u32_e32 v20, s2, v7
	v_add_u32_e32 v6, v6, v0
	v_cmp_lt_i32_e64 s[0:1], v6, v20
	s_cbranch_scc0 .LBB48_12
; %bb.7:
	v_mov_b32_e32 v14, 0
	v_mov_b32_e32 v8, 0
	v_mov_b32_e32 v10, 0
	v_mov_b32_e32 v12, 0
	v_mov_b32_e32 v15, 0
	v_mov_b32_e32 v9, 0
	v_mov_b32_e32 v11, 0
	v_mov_b32_e32 v13, 0
	s_and_saveexec_b64 s[6:7], s[0:1]
	s_cbranch_execz .LBB48_11
; %bb.8:
	v_mul_lo_u32 v16, v6, 12
	v_mov_b32_e32 v14, 0
	v_mov_b32_e32 v8, 0
	;; [unrolled: 1-line block ×5, first 2 shown]
	s_mov_b64 s[8:9], 0
	v_mov_b32_e32 v7, s11
	v_mov_b32_e32 v17, 0
	;; [unrolled: 1-line block ×8, first 2 shown]
.LBB48_9:                               ; =>This Inner Loop Header: Depth=1
	v_ashrrev_i32_e32 v19, 31, v18
	v_lshlrev_b64 v[23:24], 2, v[18:19]
	v_add_u32_e32 v25, 4, v16
	v_add_co_u32_e32 v23, vcc, s10, v23
	v_addc_co_u32_e32 v24, vcc, v7, v24, vcc
	global_load_dword v19, v[23:24], off
	v_lshlrev_b64 v[23:24], 3, v[16:17]
	v_mov_b32_e32 v26, v17
	v_lshlrev_b64 v[31:32], 3, v[25:26]
	v_add_co_u32_e32 v35, vcc, s12, v23
	v_add_u32_e32 v27, 8, v16
	v_mov_b32_e32 v28, v17
	v_addc_co_u32_e32 v36, vcc, v21, v24, vcc
	v_lshlrev_b64 v[33:34], 3, v[27:28]
	v_add_co_u32_e32 v52, vcc, s12, v31
	v_addc_co_u32_e32 v53, vcc, v21, v32, vcc
	v_mov_b32_e32 v48, v17
	v_add_co_u32_e32 v54, vcc, s12, v33
	global_load_dwordx4 v[23:26], v[35:36], off
	global_load_dwordx4 v[27:30], v[35:36], off offset:16
	v_addc_co_u32_e32 v55, vcc, v21, v34, vcc
	global_load_dwordx4 v[31:34], v[52:53], off
	global_load_dwordx4 v[35:38], v[52:53], off offset:16
	global_load_dwordx4 v[39:42], v[54:55], off offset:16
	global_load_dwordx4 v[43:46], v[54:55], off
	v_mov_b32_e32 v49, v17
	v_mov_b32_e32 v51, v17
	v_add_u32_e32 v18, 8, v18
	v_add_u32_e32 v16, 0x60, v16
	s_waitcnt vmcnt(6)
	v_subrev_u32_e32 v19, s2, v19
	v_lshl_add_u32 v47, v19, 1, v19
	v_lshlrev_b64 v[52:53], 3, v[47:48]
	v_add_u32_e32 v48, 1, v47
	v_add_u32_e32 v50, 2, v47
	v_lshlrev_b64 v[47:48], 3, v[48:49]
	v_lshlrev_b64 v[49:50], 3, v[50:51]
	v_add_co_u32_e32 v51, vcc, s14, v52
	v_addc_co_u32_e32 v52, vcc, v22, v53, vcc
	global_load_dwordx2 v[51:52], v[51:52], off
	v_add_co_u32_e32 v47, vcc, s14, v47
	v_addc_co_u32_e32 v48, vcc, v22, v48, vcc
	global_load_dwordx2 v[47:48], v[47:48], off
	;; [unrolled: 3-line block ×3, first 2 shown]
	v_cmp_ge_i32_e32 vcc, v18, v20
	s_or_b64 s[8:9], vcc, s[8:9]
	s_waitcnt vmcnt(2)
	v_fma_f64 v[14:15], v[23:24], v[51:52], v[14:15]
	v_fma_f64 v[12:13], v[25:26], v[51:52], v[12:13]
	v_fma_f64 v[10:11], v[27:28], v[51:52], v[10:11]
	v_fma_f64 v[8:9], v[29:30], v[51:52], v[8:9]
	s_waitcnt vmcnt(1)
	v_fma_f64 v[14:15], v[31:32], v[47:48], v[14:15]
	v_fma_f64 v[12:13], v[33:34], v[47:48], v[12:13]
	v_fma_f64 v[10:11], v[35:36], v[47:48], v[10:11]
	v_fma_f64 v[8:9], v[37:38], v[47:48], v[8:9]
	;; [unrolled: 5-line block ×3, first 2 shown]
	s_andn2_b64 exec, exec, s[8:9]
	s_cbranch_execnz .LBB48_9
; %bb.10:
	s_or_b64 exec, exec, s[8:9]
.LBB48_11:
	s_or_b64 exec, exec, s[6:7]
	s_cbranch_execz .LBB48_13
	s_branch .LBB48_18
.LBB48_12:
                                        ; implicit-def: $vgpr14_vgpr15
                                        ; implicit-def: $vgpr8_vgpr9
                                        ; implicit-def: $vgpr10_vgpr11
                                        ; implicit-def: $vgpr12_vgpr13
.LBB48_13:
	v_mov_b32_e32 v14, 0
	v_mov_b32_e32 v8, 0
	;; [unrolled: 1-line block ×8, first 2 shown]
	s_and_saveexec_b64 s[6:7], s[0:1]
	s_cbranch_execz .LBB48_17
; %bb.14:
	v_mad_u64_u32 v[16:17], s[0:1], v6, 12, 11
	v_mov_b32_e32 v14, 0
	v_mov_b32_e32 v8, 0
	;; [unrolled: 1-line block ×5, first 2 shown]
	s_mov_b64 s[0:1], 0
	v_mov_b32_e32 v21, s11
	v_mov_b32_e32 v19, 0
	;; [unrolled: 1-line block ×7, first 2 shown]
.LBB48_15:                              ; =>This Inner Loop Header: Depth=1
	v_ashrrev_i32_e32 v7, 31, v6
	v_lshlrev_b64 v[28:29], 2, v[6:7]
	v_add_u32_e32 v18, -11, v16
	v_lshlrev_b64 v[30:31], 3, v[18:19]
	v_add_co_u32_e32 v28, vcc, s10, v28
	v_addc_co_u32_e32 v29, vcc, v21, v29, vcc
	v_add_u32_e32 v24, -5, v16
	v_mov_b32_e32 v25, v19
	v_add_u32_e32 v26, -2, v16
	v_mov_b32_e32 v27, v19
	v_add_co_u32_e32 v38, vcc, s12, v30
	v_lshlrev_b64 v[34:35], 3, v[24:25]
	v_lshlrev_b64 v[36:37], 3, v[26:27]
	v_addc_co_u32_e32 v39, vcc, v22, v31, vcc
	global_load_dword v7, v[28:29], off
	global_load_dwordx4 v[24:27], v[38:39], off
	v_mov_b32_e32 v33, v19
	v_mov_b32_e32 v17, v19
	v_add_u32_e32 v6, 8, v6
	s_waitcnt vmcnt(1)
	v_subrev_u32_e32 v7, s2, v7
	v_lshl_add_u32 v32, v7, 1, v7
	v_lshlrev_b64 v[28:29], 3, v[32:33]
	v_add_u32_e32 v18, 1, v32
	v_lshlrev_b64 v[30:31], 3, v[18:19]
	v_add_co_u32_e32 v40, vcc, s14, v28
	v_addc_co_u32_e32 v41, vcc, v23, v29, vcc
	v_add_co_u32_e32 v42, vcc, s14, v30
	v_addc_co_u32_e32 v43, vcc, v23, v31, vcc
	global_load_dwordx4 v[28:31], v[38:39], off offset:16
	global_load_dwordx2 v[44:45], v[40:41], off
	global_load_dwordx2 v[46:47], v[42:43], off
	v_lshlrev_b64 v[17:18], 3, v[16:17]
	s_waitcnt vmcnt(1)
	v_fma_f64 v[14:15], v[24:25], v[44:45], v[14:15]
	v_add_co_u32_e32 v24, vcc, s12, v34
	v_addc_co_u32_e32 v25, vcc, v22, v35, vcc
	v_fma_f64 v[12:13], v[30:31], v[44:45], v[12:13]
	s_waitcnt vmcnt(0)
	v_fma_f64 v[14:15], v[26:27], v[46:47], v[14:15]
	v_add_co_u32_e32 v26, vcc, s12, v36
	v_addc_co_u32_e32 v27, vcc, v22, v37, vcc
	v_add_co_u32_e32 v33, vcc, s12, v17
	v_addc_co_u32_e32 v34, vcc, v22, v18, vcc
	v_add_u32_e32 v18, -7, v16
	v_lshlrev_b64 v[17:18], 3, v[18:19]
	global_load_dwordx2 v[50:51], v[24:25], off
	global_load_dwordx2 v[52:53], v[26:27], off
	v_add_co_u32_e32 v35, vcc, s12, v17
	v_addc_co_u32_e32 v36, vcc, v22, v18, vcc
	v_add_u32_e32 v18, -4, v16
	v_lshlrev_b64 v[37:38], 3, v[18:19]
	v_add_u32_e32 v18, -1, v16
	v_lshlrev_b64 v[39:40], 3, v[18:19]
	v_add_co_u32_e32 v37, vcc, s12, v37
	v_addc_co_u32_e32 v38, vcc, v22, v38, vcc
	v_add_co_u32_e32 v39, vcc, s12, v39
	v_addc_co_u32_e32 v40, vcc, v22, v40, vcc
	global_load_dwordx2 v[24:25], v[35:36], off
	global_load_dwordx2 v[26:27], v[37:38], off
	;; [unrolled: 1-line block ×3, first 2 shown]
	v_add_u32_e32 v18, 2, v32
	v_lshlrev_b64 v[17:18], 3, v[18:19]
	v_add_co_u32_e32 v41, vcc, s14, v17
	v_addc_co_u32_e32 v42, vcc, v23, v18, vcc
	v_add_u32_e32 v18, -6, v16
	v_lshlrev_b64 v[17:18], 3, v[18:19]
	v_add_co_u32_e32 v48, vcc, s12, v17
	v_addc_co_u32_e32 v49, vcc, v22, v18, vcc
	v_add_u32_e32 v18, -3, v16
	v_lshlrev_b64 v[17:18], 3, v[18:19]
	v_add_u32_e32 v16, 0x60, v16
	v_add_co_u32_e32 v17, vcc, s12, v17
	v_addc_co_u32_e32 v18, vcc, v22, v18, vcc
	v_cmp_ge_i32_e32 vcc, v6, v20
	s_or_b64 s[0:1], vcc, s[0:1]
	s_waitcnt vmcnt(4)
	v_fma_f64 v[10:11], v[50:51], v[44:45], v[10:11]
	s_waitcnt vmcnt(3)
	v_fma_f64 v[7:8], v[52:53], v[44:45], v[8:9]
	;; [unrolled: 2-line block ×3, first 2 shown]
	global_load_dwordx2 v[24:25], v[41:42], off
	global_load_dwordx2 v[35:36], v[48:49], off
	;; [unrolled: 1-line block ×4, first 2 shown]
	s_waitcnt vmcnt(5)
	v_fma_f64 v[9:10], v[26:27], v[46:47], v[10:11]
	s_waitcnt vmcnt(4)
	v_fma_f64 v[7:8], v[30:31], v[46:47], v[7:8]
	;; [unrolled: 2-line block ×6, first 2 shown]
	s_andn2_b64 exec, exec, s[0:1]
	s_cbranch_execnz .LBB48_15
; %bb.16:
	s_or_b64 exec, exec, s[0:1]
.LBB48_17:
	s_or_b64 exec, exec, s[6:7]
.LBB48_18:
	v_mov_b32_dpp v6, v14 row_shr:1 row_mask:0xf bank_mask:0xf
	v_mov_b32_dpp v7, v15 row_shr:1 row_mask:0xf bank_mask:0xf
	v_add_f64 v[6:7], v[14:15], v[6:7]
	v_mov_b32_dpp v14, v12 row_shr:1 row_mask:0xf bank_mask:0xf
	v_mov_b32_dpp v15, v13 row_shr:1 row_mask:0xf bank_mask:0xf
	;; [unrolled: 1-line block ×4, first 2 shown]
	v_add_f64 v[12:13], v[12:13], v[14:15]
	v_add_f64 v[10:11], v[10:11], v[16:17]
	v_mov_b32_dpp v16, v8 row_shr:1 row_mask:0xf bank_mask:0xf
	v_mov_b32_dpp v17, v9 row_shr:1 row_mask:0xf bank_mask:0xf
	v_add_f64 v[16:17], v[8:9], v[16:17]
	v_mov_b32_dpp v14, v6 row_shr:2 row_mask:0xf bank_mask:0xf
	v_mov_b32_dpp v15, v7 row_shr:2 row_mask:0xf bank_mask:0xf
	;; [unrolled: 3-line block ×6, first 2 shown]
	v_mov_b32_dpp v10, v8 row_shr:4 row_mask:0xf bank_mask:0xe
	v_mov_b32_dpp v11, v9 row_shr:4 row_mask:0xf bank_mask:0xe
	;; [unrolled: 1-line block ×4, first 2 shown]
	v_cmp_eq_u32_e32 vcc, 7, v0
	v_mov_b32_dpp v18, v16 row_shr:4 row_mask:0xf bank_mask:0xe
	v_mov_b32_dpp v19, v17 row_shr:4 row_mask:0xf bank_mask:0xe
	s_and_b64 exec, exec, vcc
	s_cbranch_execz .LBB48_23
; %bb.19:
	v_add_f64 v[12:13], v[6:7], v[12:13]
	v_add_f64 v[10:11], v[8:9], v[10:11]
	;; [unrolled: 1-line block ×4, first 2 shown]
	v_cmp_eq_f64_e32 vcc, 0, v[3:4]
	s_load_dwordx2 s[0:1], s[4:5], 0x38
	s_and_saveexec_b64 s[2:3], vcc
	s_xor_b64 s[2:3], exec, s[2:3]
	s_cbranch_execz .LBB48_21
; %bb.20:
	v_mul_f64 v[12:13], v[1:2], v[12:13]
	v_mul_f64 v[14:15], v[1:2], v[10:11]
	v_lshlrev_b32_e32 v16, 2, v5
	v_mul_f64 v[3:4], v[1:2], v[6:7]
	v_mul_f64 v[5:6], v[1:2], v[8:9]
	v_ashrrev_i32_e32 v17, 31, v16
	v_lshlrev_b64 v[0:1], 3, v[16:17]
	s_waitcnt lgkmcnt(0)
	v_mov_b32_e32 v2, s1
	v_add_co_u32_e32 v0, vcc, s0, v0
	v_addc_co_u32_e32 v1, vcc, v2, v1, vcc
	global_store_dwordx4 v[0:1], v[12:15], off
	global_store_dwordx4 v[0:1], v[3:6], off offset:16
                                        ; implicit-def: $vgpr5
                                        ; implicit-def: $vgpr1_vgpr2
                                        ; implicit-def: $vgpr12_vgpr13
                                        ; implicit-def: $vgpr3_vgpr4
                                        ; implicit-def: $vgpr10_vgpr11
                                        ; implicit-def: $vgpr6_vgpr7
                                        ; implicit-def: $vgpr8_vgpr9
.LBB48_21:
	s_andn2_saveexec_b64 s[2:3], s[2:3]
	s_cbranch_execz .LBB48_23
; %bb.22:
	v_lshlrev_b32_e32 v14, 2, v5
	v_ashrrev_i32_e32 v15, 31, v14
	v_lshlrev_b64 v[14:15], 3, v[14:15]
	s_waitcnt lgkmcnt(0)
	v_mov_b32_e32 v0, s1
	v_add_co_u32_e32 v22, vcc, s0, v14
	v_addc_co_u32_e32 v23, vcc, v0, v15, vcc
	global_load_dwordx4 v[14:17], v[22:23], off
	global_load_dwordx4 v[18:21], v[22:23], off offset:16
	v_mul_f64 v[12:13], v[1:2], v[12:13]
	v_mul_f64 v[10:11], v[1:2], v[10:11]
	;; [unrolled: 1-line block ×4, first 2 shown]
	s_waitcnt vmcnt(1)
	v_fma_f64 v[5:6], v[3:4], v[14:15], v[12:13]
	v_fma_f64 v[7:8], v[3:4], v[16:17], v[10:11]
	s_waitcnt vmcnt(0)
	v_fma_f64 v[0:1], v[3:4], v[18:19], v[24:25]
	v_fma_f64 v[2:3], v[3:4], v[20:21], v[26:27]
	global_store_dwordx4 v[22:23], v[5:8], off
	global_store_dwordx4 v[22:23], v[0:3], off offset:16
.LBB48_23:
	s_endpgm
	.section	.rodata,"a",@progbits
	.p2align	6, 0x0
	.amdhsa_kernel _ZN9rocsparseL19gebsrmvn_4xn_kernelILj128ELj3ELj8EdEEvi20rocsparse_direction_NS_24const_host_device_scalarIT2_EEPKiS6_PKS3_S8_S4_PS3_21rocsparse_index_base_b
		.amdhsa_group_segment_fixed_size 0
		.amdhsa_private_segment_fixed_size 0
		.amdhsa_kernarg_size 72
		.amdhsa_user_sgpr_count 6
		.amdhsa_user_sgpr_private_segment_buffer 1
		.amdhsa_user_sgpr_dispatch_ptr 0
		.amdhsa_user_sgpr_queue_ptr 0
		.amdhsa_user_sgpr_kernarg_segment_ptr 1
		.amdhsa_user_sgpr_dispatch_id 0
		.amdhsa_user_sgpr_flat_scratch_init 0
		.amdhsa_user_sgpr_private_segment_size 0
		.amdhsa_uses_dynamic_stack 0
		.amdhsa_system_sgpr_private_segment_wavefront_offset 0
		.amdhsa_system_sgpr_workgroup_id_x 1
		.amdhsa_system_sgpr_workgroup_id_y 0
		.amdhsa_system_sgpr_workgroup_id_z 0
		.amdhsa_system_sgpr_workgroup_info 0
		.amdhsa_system_vgpr_workitem_id 0
		.amdhsa_next_free_vgpr 56
		.amdhsa_next_free_sgpr 16
		.amdhsa_reserve_vcc 1
		.amdhsa_reserve_flat_scratch 0
		.amdhsa_float_round_mode_32 0
		.amdhsa_float_round_mode_16_64 0
		.amdhsa_float_denorm_mode_32 3
		.amdhsa_float_denorm_mode_16_64 3
		.amdhsa_dx10_clamp 1
		.amdhsa_ieee_mode 1
		.amdhsa_fp16_overflow 0
		.amdhsa_exception_fp_ieee_invalid_op 0
		.amdhsa_exception_fp_denorm_src 0
		.amdhsa_exception_fp_ieee_div_zero 0
		.amdhsa_exception_fp_ieee_overflow 0
		.amdhsa_exception_fp_ieee_underflow 0
		.amdhsa_exception_fp_ieee_inexact 0
		.amdhsa_exception_int_div_zero 0
	.end_amdhsa_kernel
	.section	.text._ZN9rocsparseL19gebsrmvn_4xn_kernelILj128ELj3ELj8EdEEvi20rocsparse_direction_NS_24const_host_device_scalarIT2_EEPKiS6_PKS3_S8_S4_PS3_21rocsparse_index_base_b,"axG",@progbits,_ZN9rocsparseL19gebsrmvn_4xn_kernelILj128ELj3ELj8EdEEvi20rocsparse_direction_NS_24const_host_device_scalarIT2_EEPKiS6_PKS3_S8_S4_PS3_21rocsparse_index_base_b,comdat
.Lfunc_end48:
	.size	_ZN9rocsparseL19gebsrmvn_4xn_kernelILj128ELj3ELj8EdEEvi20rocsparse_direction_NS_24const_host_device_scalarIT2_EEPKiS6_PKS3_S8_S4_PS3_21rocsparse_index_base_b, .Lfunc_end48-_ZN9rocsparseL19gebsrmvn_4xn_kernelILj128ELj3ELj8EdEEvi20rocsparse_direction_NS_24const_host_device_scalarIT2_EEPKiS6_PKS3_S8_S4_PS3_21rocsparse_index_base_b
                                        ; -- End function
	.set _ZN9rocsparseL19gebsrmvn_4xn_kernelILj128ELj3ELj8EdEEvi20rocsparse_direction_NS_24const_host_device_scalarIT2_EEPKiS6_PKS3_S8_S4_PS3_21rocsparse_index_base_b.num_vgpr, 56
	.set _ZN9rocsparseL19gebsrmvn_4xn_kernelILj128ELj3ELj8EdEEvi20rocsparse_direction_NS_24const_host_device_scalarIT2_EEPKiS6_PKS3_S8_S4_PS3_21rocsparse_index_base_b.num_agpr, 0
	.set _ZN9rocsparseL19gebsrmvn_4xn_kernelILj128ELj3ELj8EdEEvi20rocsparse_direction_NS_24const_host_device_scalarIT2_EEPKiS6_PKS3_S8_S4_PS3_21rocsparse_index_base_b.numbered_sgpr, 16
	.set _ZN9rocsparseL19gebsrmvn_4xn_kernelILj128ELj3ELj8EdEEvi20rocsparse_direction_NS_24const_host_device_scalarIT2_EEPKiS6_PKS3_S8_S4_PS3_21rocsparse_index_base_b.num_named_barrier, 0
	.set _ZN9rocsparseL19gebsrmvn_4xn_kernelILj128ELj3ELj8EdEEvi20rocsparse_direction_NS_24const_host_device_scalarIT2_EEPKiS6_PKS3_S8_S4_PS3_21rocsparse_index_base_b.private_seg_size, 0
	.set _ZN9rocsparseL19gebsrmvn_4xn_kernelILj128ELj3ELj8EdEEvi20rocsparse_direction_NS_24const_host_device_scalarIT2_EEPKiS6_PKS3_S8_S4_PS3_21rocsparse_index_base_b.uses_vcc, 1
	.set _ZN9rocsparseL19gebsrmvn_4xn_kernelILj128ELj3ELj8EdEEvi20rocsparse_direction_NS_24const_host_device_scalarIT2_EEPKiS6_PKS3_S8_S4_PS3_21rocsparse_index_base_b.uses_flat_scratch, 0
	.set _ZN9rocsparseL19gebsrmvn_4xn_kernelILj128ELj3ELj8EdEEvi20rocsparse_direction_NS_24const_host_device_scalarIT2_EEPKiS6_PKS3_S8_S4_PS3_21rocsparse_index_base_b.has_dyn_sized_stack, 0
	.set _ZN9rocsparseL19gebsrmvn_4xn_kernelILj128ELj3ELj8EdEEvi20rocsparse_direction_NS_24const_host_device_scalarIT2_EEPKiS6_PKS3_S8_S4_PS3_21rocsparse_index_base_b.has_recursion, 0
	.set _ZN9rocsparseL19gebsrmvn_4xn_kernelILj128ELj3ELj8EdEEvi20rocsparse_direction_NS_24const_host_device_scalarIT2_EEPKiS6_PKS3_S8_S4_PS3_21rocsparse_index_base_b.has_indirect_call, 0
	.section	.AMDGPU.csdata,"",@progbits
; Kernel info:
; codeLenInByte = 1976
; TotalNumSgprs: 20
; NumVgprs: 56
; ScratchSize: 0
; MemoryBound: 0
; FloatMode: 240
; IeeeMode: 1
; LDSByteSize: 0 bytes/workgroup (compile time only)
; SGPRBlocks: 2
; VGPRBlocks: 13
; NumSGPRsForWavesPerEU: 20
; NumVGPRsForWavesPerEU: 56
; Occupancy: 4
; WaveLimiterHint : 1
; COMPUTE_PGM_RSRC2:SCRATCH_EN: 0
; COMPUTE_PGM_RSRC2:USER_SGPR: 6
; COMPUTE_PGM_RSRC2:TRAP_HANDLER: 0
; COMPUTE_PGM_RSRC2:TGID_X_EN: 1
; COMPUTE_PGM_RSRC2:TGID_Y_EN: 0
; COMPUTE_PGM_RSRC2:TGID_Z_EN: 0
; COMPUTE_PGM_RSRC2:TIDIG_COMP_CNT: 0
	.section	.text._ZN9rocsparseL19gebsrmvn_4xn_kernelILj128ELj3ELj16EdEEvi20rocsparse_direction_NS_24const_host_device_scalarIT2_EEPKiS6_PKS3_S8_S4_PS3_21rocsparse_index_base_b,"axG",@progbits,_ZN9rocsparseL19gebsrmvn_4xn_kernelILj128ELj3ELj16EdEEvi20rocsparse_direction_NS_24const_host_device_scalarIT2_EEPKiS6_PKS3_S8_S4_PS3_21rocsparse_index_base_b,comdat
	.globl	_ZN9rocsparseL19gebsrmvn_4xn_kernelILj128ELj3ELj16EdEEvi20rocsparse_direction_NS_24const_host_device_scalarIT2_EEPKiS6_PKS3_S8_S4_PS3_21rocsparse_index_base_b ; -- Begin function _ZN9rocsparseL19gebsrmvn_4xn_kernelILj128ELj3ELj16EdEEvi20rocsparse_direction_NS_24const_host_device_scalarIT2_EEPKiS6_PKS3_S8_S4_PS3_21rocsparse_index_base_b
	.p2align	8
	.type	_ZN9rocsparseL19gebsrmvn_4xn_kernelILj128ELj3ELj16EdEEvi20rocsparse_direction_NS_24const_host_device_scalarIT2_EEPKiS6_PKS3_S8_S4_PS3_21rocsparse_index_base_b,@function
_ZN9rocsparseL19gebsrmvn_4xn_kernelILj128ELj3ELj16EdEEvi20rocsparse_direction_NS_24const_host_device_scalarIT2_EEPKiS6_PKS3_S8_S4_PS3_21rocsparse_index_base_b: ; @_ZN9rocsparseL19gebsrmvn_4xn_kernelILj128ELj3ELj16EdEEvi20rocsparse_direction_NS_24const_host_device_scalarIT2_EEPKiS6_PKS3_S8_S4_PS3_21rocsparse_index_base_b
; %bb.0:
	s_load_dwordx2 s[2:3], s[4:5], 0x40
	s_load_dwordx2 s[10:11], s[4:5], 0x8
	;; [unrolled: 1-line block ×3, first 2 shown]
	s_waitcnt lgkmcnt(0)
	s_bitcmp1_b32 s3, 0
	s_cselect_b64 s[12:13], -1, 0
	v_mov_b32_e32 v1, s10
	s_xor_b64 s[8:9], s[12:13], -1
	s_and_b64 vcc, exec, s[12:13]
	v_mov_b32_e32 v2, s11
	s_cbranch_vccnz .LBB49_2
; %bb.1:
	v_mov_b32_e32 v1, s10
	v_mov_b32_e32 v2, s11
	flat_load_dwordx2 v[1:2], v[1:2]
.LBB49_2:
	v_mov_b32_e32 v4, s1
	s_andn2_b64 vcc, exec, s[8:9]
	v_mov_b32_e32 v3, s0
	s_cbranch_vccnz .LBB49_4
; %bb.3:
	v_mov_b32_e32 v4, s1
	v_mov_b32_e32 v3, s0
	flat_load_dwordx2 v[3:4], v[3:4]
.LBB49_4:
	s_waitcnt vmcnt(0) lgkmcnt(0)
	v_cmp_neq_f64_e32 vcc, 0, v[1:2]
	v_cmp_neq_f64_e64 s[0:1], 1.0, v[3:4]
	s_or_b64 s[0:1], vcc, s[0:1]
	s_and_saveexec_b64 s[8:9], s[0:1]
	s_cbranch_execz .LBB49_23
; %bb.5:
	s_load_dwordx2 s[0:1], s[4:5], 0x0
	v_lshrrev_b32_e32 v5, 4, v0
	v_lshl_or_b32 v5, s6, 3, v5
	s_waitcnt lgkmcnt(0)
	v_cmp_gt_i32_e32 vcc, s0, v5
	s_and_b64 exec, exec, vcc
	s_cbranch_execz .LBB49_23
; %bb.6:
	s_load_dwordx8 s[8:15], s[4:5], 0x10
	v_ashrrev_i32_e32 v6, 31, v5
	v_lshlrev_b64 v[6:7], 2, v[5:6]
	v_and_b32_e32 v0, 15, v0
	s_cmp_lg_u32 s1, 0
	s_waitcnt lgkmcnt(0)
	v_mov_b32_e32 v8, s9
	v_add_co_u32_e32 v6, vcc, s8, v6
	v_addc_co_u32_e32 v7, vcc, v8, v7, vcc
	global_load_dwordx2 v[6:7], v[6:7], off
	s_waitcnt vmcnt(0)
	v_subrev_u32_e32 v6, s2, v6
	v_subrev_u32_e32 v20, s2, v7
	v_add_u32_e32 v10, v6, v0
	v_cmp_lt_i32_e64 s[0:1], v10, v20
	s_cbranch_scc0 .LBB49_12
; %bb.7:
	v_mov_b32_e32 v14, 0
	v_mov_b32_e32 v6, 0
	;; [unrolled: 1-line block ×8, first 2 shown]
	s_and_saveexec_b64 s[6:7], s[0:1]
	s_cbranch_execz .LBB49_11
; %bb.8:
	v_mul_lo_u32 v16, v10, 12
	v_mov_b32_e32 v14, 0
	v_mov_b32_e32 v6, 0
	v_mov_b32_e32 v8, 0
	v_mov_b32_e32 v12, 0
	v_mov_b32_e32 v15, 0
	s_mov_b64 s[8:9], 0
	v_mov_b32_e32 v11, s11
	v_mov_b32_e32 v17, 0
	;; [unrolled: 1-line block ×8, first 2 shown]
.LBB49_9:                               ; =>This Inner Loop Header: Depth=1
	v_ashrrev_i32_e32 v19, 31, v18
	v_lshlrev_b64 v[23:24], 2, v[18:19]
	v_add_u32_e32 v25, 4, v16
	v_add_co_u32_e32 v23, vcc, s10, v23
	v_addc_co_u32_e32 v24, vcc, v11, v24, vcc
	global_load_dword v19, v[23:24], off
	v_lshlrev_b64 v[23:24], 3, v[16:17]
	v_mov_b32_e32 v26, v17
	v_lshlrev_b64 v[31:32], 3, v[25:26]
	v_add_co_u32_e32 v35, vcc, s12, v23
	v_add_u32_e32 v27, 8, v16
	v_mov_b32_e32 v28, v17
	v_addc_co_u32_e32 v36, vcc, v21, v24, vcc
	v_lshlrev_b64 v[33:34], 3, v[27:28]
	v_add_co_u32_e32 v52, vcc, s12, v31
	v_addc_co_u32_e32 v53, vcc, v21, v32, vcc
	v_mov_b32_e32 v48, v17
	v_add_co_u32_e32 v54, vcc, s12, v33
	global_load_dwordx4 v[23:26], v[35:36], off
	global_load_dwordx4 v[27:30], v[35:36], off offset:16
	v_addc_co_u32_e32 v55, vcc, v21, v34, vcc
	global_load_dwordx4 v[31:34], v[52:53], off
	global_load_dwordx4 v[35:38], v[52:53], off offset:16
	global_load_dwordx4 v[39:42], v[54:55], off offset:16
	global_load_dwordx4 v[43:46], v[54:55], off
	v_mov_b32_e32 v49, v17
	v_mov_b32_e32 v51, v17
	v_add_u32_e32 v18, 16, v18
	v_add_u32_e32 v16, 0xc0, v16
	s_waitcnt vmcnt(6)
	v_subrev_u32_e32 v19, s2, v19
	v_lshl_add_u32 v47, v19, 1, v19
	v_lshlrev_b64 v[52:53], 3, v[47:48]
	v_add_u32_e32 v48, 1, v47
	v_add_u32_e32 v50, 2, v47
	v_lshlrev_b64 v[47:48], 3, v[48:49]
	v_lshlrev_b64 v[49:50], 3, v[50:51]
	v_add_co_u32_e32 v51, vcc, s14, v52
	v_addc_co_u32_e32 v52, vcc, v22, v53, vcc
	global_load_dwordx2 v[51:52], v[51:52], off
	v_add_co_u32_e32 v47, vcc, s14, v47
	v_addc_co_u32_e32 v48, vcc, v22, v48, vcc
	global_load_dwordx2 v[47:48], v[47:48], off
	;; [unrolled: 3-line block ×3, first 2 shown]
	v_cmp_ge_i32_e32 vcc, v18, v20
	s_or_b64 s[8:9], vcc, s[8:9]
	s_waitcnt vmcnt(2)
	v_fma_f64 v[14:15], v[23:24], v[51:52], v[14:15]
	v_fma_f64 v[12:13], v[25:26], v[51:52], v[12:13]
	v_fma_f64 v[8:9], v[27:28], v[51:52], v[8:9]
	v_fma_f64 v[6:7], v[29:30], v[51:52], v[6:7]
	s_waitcnt vmcnt(1)
	v_fma_f64 v[14:15], v[31:32], v[47:48], v[14:15]
	v_fma_f64 v[12:13], v[33:34], v[47:48], v[12:13]
	v_fma_f64 v[8:9], v[35:36], v[47:48], v[8:9]
	v_fma_f64 v[6:7], v[37:38], v[47:48], v[6:7]
	;; [unrolled: 5-line block ×3, first 2 shown]
	s_andn2_b64 exec, exec, s[8:9]
	s_cbranch_execnz .LBB49_9
; %bb.10:
	s_or_b64 exec, exec, s[8:9]
.LBB49_11:
	s_or_b64 exec, exec, s[6:7]
	s_cbranch_execz .LBB49_13
	s_branch .LBB49_18
.LBB49_12:
                                        ; implicit-def: $vgpr14_vgpr15
                                        ; implicit-def: $vgpr6_vgpr7
                                        ; implicit-def: $vgpr8_vgpr9
                                        ; implicit-def: $vgpr12_vgpr13
.LBB49_13:
	v_mov_b32_e32 v14, 0
	v_mov_b32_e32 v6, 0
	;; [unrolled: 1-line block ×8, first 2 shown]
	s_and_saveexec_b64 s[6:7], s[0:1]
	s_cbranch_execz .LBB49_17
; %bb.14:
	v_mad_u64_u32 v[16:17], s[0:1], v10, 12, 11
	v_mov_b32_e32 v14, 0
	v_mov_b32_e32 v6, 0
	;; [unrolled: 1-line block ×5, first 2 shown]
	s_mov_b64 s[0:1], 0
	v_mov_b32_e32 v21, s11
	v_mov_b32_e32 v19, 0
	;; [unrolled: 1-line block ×7, first 2 shown]
.LBB49_15:                              ; =>This Inner Loop Header: Depth=1
	v_ashrrev_i32_e32 v11, 31, v10
	v_lshlrev_b64 v[28:29], 2, v[10:11]
	v_add_u32_e32 v18, -11, v16
	v_lshlrev_b64 v[30:31], 3, v[18:19]
	v_add_co_u32_e32 v28, vcc, s10, v28
	v_addc_co_u32_e32 v29, vcc, v21, v29, vcc
	v_add_u32_e32 v24, -5, v16
	v_mov_b32_e32 v25, v19
	v_add_u32_e32 v26, -2, v16
	v_mov_b32_e32 v27, v19
	v_add_co_u32_e32 v38, vcc, s12, v30
	v_lshlrev_b64 v[34:35], 3, v[24:25]
	v_lshlrev_b64 v[36:37], 3, v[26:27]
	v_addc_co_u32_e32 v39, vcc, v22, v31, vcc
	global_load_dword v11, v[28:29], off
	global_load_dwordx4 v[24:27], v[38:39], off
	v_mov_b32_e32 v33, v19
	v_mov_b32_e32 v17, v19
	v_add_u32_e32 v10, 16, v10
	s_waitcnt vmcnt(1)
	v_subrev_u32_e32 v11, s2, v11
	v_lshl_add_u32 v32, v11, 1, v11
	v_lshlrev_b64 v[28:29], 3, v[32:33]
	v_add_u32_e32 v18, 1, v32
	v_lshlrev_b64 v[30:31], 3, v[18:19]
	v_add_co_u32_e32 v40, vcc, s14, v28
	v_addc_co_u32_e32 v41, vcc, v23, v29, vcc
	v_add_co_u32_e32 v42, vcc, s14, v30
	v_addc_co_u32_e32 v43, vcc, v23, v31, vcc
	global_load_dwordx4 v[28:31], v[38:39], off offset:16
	global_load_dwordx2 v[44:45], v[40:41], off
	global_load_dwordx2 v[46:47], v[42:43], off
	v_lshlrev_b64 v[17:18], 3, v[16:17]
	s_waitcnt vmcnt(1)
	v_fma_f64 v[14:15], v[24:25], v[44:45], v[14:15]
	v_add_co_u32_e32 v24, vcc, s12, v34
	v_addc_co_u32_e32 v25, vcc, v22, v35, vcc
	v_fma_f64 v[11:12], v[30:31], v[44:45], v[12:13]
	s_waitcnt vmcnt(0)
	v_fma_f64 v[14:15], v[26:27], v[46:47], v[14:15]
	v_add_co_u32_e32 v26, vcc, s12, v36
	v_addc_co_u32_e32 v27, vcc, v22, v37, vcc
	v_add_co_u32_e32 v33, vcc, s12, v17
	v_addc_co_u32_e32 v34, vcc, v22, v18, vcc
	v_add_u32_e32 v18, -7, v16
	v_lshlrev_b64 v[17:18], 3, v[18:19]
	global_load_dwordx2 v[50:51], v[24:25], off
	global_load_dwordx2 v[52:53], v[26:27], off
	v_add_co_u32_e32 v35, vcc, s12, v17
	v_addc_co_u32_e32 v36, vcc, v22, v18, vcc
	v_add_u32_e32 v18, -4, v16
	v_lshlrev_b64 v[37:38], 3, v[18:19]
	v_add_u32_e32 v18, -1, v16
	v_lshlrev_b64 v[39:40], 3, v[18:19]
	v_add_co_u32_e32 v37, vcc, s12, v37
	v_addc_co_u32_e32 v38, vcc, v22, v38, vcc
	v_add_co_u32_e32 v39, vcc, s12, v39
	v_addc_co_u32_e32 v40, vcc, v22, v40, vcc
	global_load_dwordx2 v[24:25], v[35:36], off
	global_load_dwordx2 v[26:27], v[37:38], off
	;; [unrolled: 1-line block ×3, first 2 shown]
	v_add_u32_e32 v18, 2, v32
	v_lshlrev_b64 v[17:18], 3, v[18:19]
	v_add_co_u32_e32 v41, vcc, s14, v17
	v_addc_co_u32_e32 v42, vcc, v23, v18, vcc
	v_add_u32_e32 v18, -6, v16
	v_lshlrev_b64 v[17:18], 3, v[18:19]
	v_add_co_u32_e32 v48, vcc, s12, v17
	v_addc_co_u32_e32 v49, vcc, v22, v18, vcc
	v_add_u32_e32 v18, -3, v16
	v_lshlrev_b64 v[17:18], 3, v[18:19]
	v_add_u32_e32 v16, 0xc0, v16
	v_add_co_u32_e32 v17, vcc, s12, v17
	v_addc_co_u32_e32 v18, vcc, v22, v18, vcc
	v_cmp_ge_i32_e32 vcc, v10, v20
	s_or_b64 s[0:1], vcc, s[0:1]
	s_waitcnt vmcnt(4)
	v_fma_f64 v[8:9], v[50:51], v[44:45], v[8:9]
	s_waitcnt vmcnt(3)
	v_fma_f64 v[6:7], v[52:53], v[44:45], v[6:7]
	;; [unrolled: 2-line block ×3, first 2 shown]
	global_load_dwordx2 v[24:25], v[41:42], off
	global_load_dwordx2 v[35:36], v[48:49], off
	;; [unrolled: 1-line block ×4, first 2 shown]
	s_waitcnt vmcnt(5)
	v_fma_f64 v[8:9], v[26:27], v[46:47], v[8:9]
	s_waitcnt vmcnt(4)
	v_fma_f64 v[6:7], v[30:31], v[46:47], v[6:7]
	;; [unrolled: 2-line block ×6, first 2 shown]
	s_andn2_b64 exec, exec, s[0:1]
	s_cbranch_execnz .LBB49_15
; %bb.16:
	s_or_b64 exec, exec, s[0:1]
.LBB49_17:
	s_or_b64 exec, exec, s[6:7]
.LBB49_18:
	v_mov_b32_dpp v10, v14 row_shr:1 row_mask:0xf bank_mask:0xf
	v_mov_b32_dpp v11, v15 row_shr:1 row_mask:0xf bank_mask:0xf
	v_add_f64 v[10:11], v[14:15], v[10:11]
	v_mov_b32_dpp v14, v12 row_shr:1 row_mask:0xf bank_mask:0xf
	v_mov_b32_dpp v15, v13 row_shr:1 row_mask:0xf bank_mask:0xf
	;; [unrolled: 1-line block ×3, first 2 shown]
	v_add_f64 v[12:13], v[12:13], v[14:15]
	v_mov_b32_dpp v17, v9 row_shr:1 row_mask:0xf bank_mask:0xf
	v_add_f64 v[8:9], v[8:9], v[16:17]
	v_cmp_eq_u32_e32 vcc, 15, v0
	v_mov_b32_dpp v14, v10 row_shr:2 row_mask:0xf bank_mask:0xf
	v_mov_b32_dpp v15, v11 row_shr:2 row_mask:0xf bank_mask:0xf
	v_add_f64 v[10:11], v[10:11], v[14:15]
	v_mov_b32_dpp v14, v6 row_shr:1 row_mask:0xf bank_mask:0xf
	v_mov_b32_dpp v15, v7 row_shr:1 row_mask:0xf bank_mask:0xf
	v_add_f64 v[6:7], v[6:7], v[14:15]
	;; [unrolled: 3-line block ×4, first 2 shown]
	v_mov_b32_dpp v16, v10 row_shr:4 row_mask:0xf bank_mask:0xe
	v_mov_b32_dpp v8, v6 row_shr:2 row_mask:0xf bank_mask:0xf
	;; [unrolled: 1-line block ×3, first 2 shown]
	v_add_f64 v[18:19], v[6:7], v[8:9]
	v_mov_b32_dpp v17, v11 row_shr:4 row_mask:0xf bank_mask:0xe
	v_add_f64 v[6:7], v[10:11], v[16:17]
	v_mov_b32_dpp v8, v12 row_shr:4 row_mask:0xf bank_mask:0xe
	v_mov_b32_dpp v10, v14 row_shr:4 row_mask:0xf bank_mask:0xe
	;; [unrolled: 1-line block ×4, first 2 shown]
	v_add_f64 v[14:15], v[14:15], v[10:11]
	v_mov_b32_dpp v10, v18 row_shr:4 row_mask:0xf bank_mask:0xe
	v_mov_b32_dpp v11, v19 row_shr:4 row_mask:0xf bank_mask:0xe
	v_add_f64 v[8:9], v[12:13], v[8:9]
	v_add_f64 v[16:17], v[18:19], v[10:11]
	v_mov_b32_dpp v12, v6 row_shr:8 row_mask:0xf bank_mask:0xc
	v_mov_b32_dpp v13, v7 row_shr:8 row_mask:0xf bank_mask:0xc
	;; [unrolled: 1-line block ×8, first 2 shown]
	s_and_b64 exec, exec, vcc
	s_cbranch_execz .LBB49_23
; %bb.19:
	v_add_f64 v[12:13], v[6:7], v[12:13]
	v_add_f64 v[10:11], v[8:9], v[10:11]
	;; [unrolled: 1-line block ×4, first 2 shown]
	v_cmp_eq_f64_e32 vcc, 0, v[3:4]
	s_load_dwordx2 s[0:1], s[4:5], 0x38
	s_and_saveexec_b64 s[2:3], vcc
	s_xor_b64 s[2:3], exec, s[2:3]
	s_cbranch_execz .LBB49_21
; %bb.20:
	v_mul_f64 v[12:13], v[1:2], v[12:13]
	v_mul_f64 v[14:15], v[1:2], v[10:11]
	v_lshlrev_b32_e32 v16, 2, v5
	v_mul_f64 v[3:4], v[1:2], v[6:7]
	v_mul_f64 v[5:6], v[1:2], v[8:9]
	v_ashrrev_i32_e32 v17, 31, v16
	v_lshlrev_b64 v[0:1], 3, v[16:17]
	s_waitcnt lgkmcnt(0)
	v_mov_b32_e32 v2, s1
	v_add_co_u32_e32 v0, vcc, s0, v0
	v_addc_co_u32_e32 v1, vcc, v2, v1, vcc
	global_store_dwordx4 v[0:1], v[12:15], off
	global_store_dwordx4 v[0:1], v[3:6], off offset:16
                                        ; implicit-def: $vgpr5
                                        ; implicit-def: $vgpr1_vgpr2
                                        ; implicit-def: $vgpr12_vgpr13
                                        ; implicit-def: $vgpr3_vgpr4
                                        ; implicit-def: $vgpr10_vgpr11
                                        ; implicit-def: $vgpr6_vgpr7
                                        ; implicit-def: $vgpr8_vgpr9
.LBB49_21:
	s_andn2_saveexec_b64 s[2:3], s[2:3]
	s_cbranch_execz .LBB49_23
; %bb.22:
	v_lshlrev_b32_e32 v14, 2, v5
	v_ashrrev_i32_e32 v15, 31, v14
	v_lshlrev_b64 v[14:15], 3, v[14:15]
	s_waitcnt lgkmcnt(0)
	v_mov_b32_e32 v0, s1
	v_add_co_u32_e32 v22, vcc, s0, v14
	v_addc_co_u32_e32 v23, vcc, v0, v15, vcc
	global_load_dwordx4 v[14:17], v[22:23], off
	global_load_dwordx4 v[18:21], v[22:23], off offset:16
	v_mul_f64 v[12:13], v[1:2], v[12:13]
	v_mul_f64 v[10:11], v[1:2], v[10:11]
	;; [unrolled: 1-line block ×4, first 2 shown]
	s_waitcnt vmcnt(1)
	v_fma_f64 v[5:6], v[3:4], v[14:15], v[12:13]
	v_fma_f64 v[7:8], v[3:4], v[16:17], v[10:11]
	s_waitcnt vmcnt(0)
	v_fma_f64 v[0:1], v[3:4], v[18:19], v[24:25]
	v_fma_f64 v[2:3], v[3:4], v[20:21], v[26:27]
	global_store_dwordx4 v[22:23], v[5:8], off
	global_store_dwordx4 v[22:23], v[0:3], off offset:16
.LBB49_23:
	s_endpgm
	.section	.rodata,"a",@progbits
	.p2align	6, 0x0
	.amdhsa_kernel _ZN9rocsparseL19gebsrmvn_4xn_kernelILj128ELj3ELj16EdEEvi20rocsparse_direction_NS_24const_host_device_scalarIT2_EEPKiS6_PKS3_S8_S4_PS3_21rocsparse_index_base_b
		.amdhsa_group_segment_fixed_size 0
		.amdhsa_private_segment_fixed_size 0
		.amdhsa_kernarg_size 72
		.amdhsa_user_sgpr_count 6
		.amdhsa_user_sgpr_private_segment_buffer 1
		.amdhsa_user_sgpr_dispatch_ptr 0
		.amdhsa_user_sgpr_queue_ptr 0
		.amdhsa_user_sgpr_kernarg_segment_ptr 1
		.amdhsa_user_sgpr_dispatch_id 0
		.amdhsa_user_sgpr_flat_scratch_init 0
		.amdhsa_user_sgpr_private_segment_size 0
		.amdhsa_uses_dynamic_stack 0
		.amdhsa_system_sgpr_private_segment_wavefront_offset 0
		.amdhsa_system_sgpr_workgroup_id_x 1
		.amdhsa_system_sgpr_workgroup_id_y 0
		.amdhsa_system_sgpr_workgroup_id_z 0
		.amdhsa_system_sgpr_workgroup_info 0
		.amdhsa_system_vgpr_workitem_id 0
		.amdhsa_next_free_vgpr 56
		.amdhsa_next_free_sgpr 16
		.amdhsa_reserve_vcc 1
		.amdhsa_reserve_flat_scratch 0
		.amdhsa_float_round_mode_32 0
		.amdhsa_float_round_mode_16_64 0
		.amdhsa_float_denorm_mode_32 3
		.amdhsa_float_denorm_mode_16_64 3
		.amdhsa_dx10_clamp 1
		.amdhsa_ieee_mode 1
		.amdhsa_fp16_overflow 0
		.amdhsa_exception_fp_ieee_invalid_op 0
		.amdhsa_exception_fp_denorm_src 0
		.amdhsa_exception_fp_ieee_div_zero 0
		.amdhsa_exception_fp_ieee_overflow 0
		.amdhsa_exception_fp_ieee_underflow 0
		.amdhsa_exception_fp_ieee_inexact 0
		.amdhsa_exception_int_div_zero 0
	.end_amdhsa_kernel
	.section	.text._ZN9rocsparseL19gebsrmvn_4xn_kernelILj128ELj3ELj16EdEEvi20rocsparse_direction_NS_24const_host_device_scalarIT2_EEPKiS6_PKS3_S8_S4_PS3_21rocsparse_index_base_b,"axG",@progbits,_ZN9rocsparseL19gebsrmvn_4xn_kernelILj128ELj3ELj16EdEEvi20rocsparse_direction_NS_24const_host_device_scalarIT2_EEPKiS6_PKS3_S8_S4_PS3_21rocsparse_index_base_b,comdat
.Lfunc_end49:
	.size	_ZN9rocsparseL19gebsrmvn_4xn_kernelILj128ELj3ELj16EdEEvi20rocsparse_direction_NS_24const_host_device_scalarIT2_EEPKiS6_PKS3_S8_S4_PS3_21rocsparse_index_base_b, .Lfunc_end49-_ZN9rocsparseL19gebsrmvn_4xn_kernelILj128ELj3ELj16EdEEvi20rocsparse_direction_NS_24const_host_device_scalarIT2_EEPKiS6_PKS3_S8_S4_PS3_21rocsparse_index_base_b
                                        ; -- End function
	.set _ZN9rocsparseL19gebsrmvn_4xn_kernelILj128ELj3ELj16EdEEvi20rocsparse_direction_NS_24const_host_device_scalarIT2_EEPKiS6_PKS3_S8_S4_PS3_21rocsparse_index_base_b.num_vgpr, 56
	.set _ZN9rocsparseL19gebsrmvn_4xn_kernelILj128ELj3ELj16EdEEvi20rocsparse_direction_NS_24const_host_device_scalarIT2_EEPKiS6_PKS3_S8_S4_PS3_21rocsparse_index_base_b.num_agpr, 0
	.set _ZN9rocsparseL19gebsrmvn_4xn_kernelILj128ELj3ELj16EdEEvi20rocsparse_direction_NS_24const_host_device_scalarIT2_EEPKiS6_PKS3_S8_S4_PS3_21rocsparse_index_base_b.numbered_sgpr, 16
	.set _ZN9rocsparseL19gebsrmvn_4xn_kernelILj128ELj3ELj16EdEEvi20rocsparse_direction_NS_24const_host_device_scalarIT2_EEPKiS6_PKS3_S8_S4_PS3_21rocsparse_index_base_b.num_named_barrier, 0
	.set _ZN9rocsparseL19gebsrmvn_4xn_kernelILj128ELj3ELj16EdEEvi20rocsparse_direction_NS_24const_host_device_scalarIT2_EEPKiS6_PKS3_S8_S4_PS3_21rocsparse_index_base_b.private_seg_size, 0
	.set _ZN9rocsparseL19gebsrmvn_4xn_kernelILj128ELj3ELj16EdEEvi20rocsparse_direction_NS_24const_host_device_scalarIT2_EEPKiS6_PKS3_S8_S4_PS3_21rocsparse_index_base_b.uses_vcc, 1
	.set _ZN9rocsparseL19gebsrmvn_4xn_kernelILj128ELj3ELj16EdEEvi20rocsparse_direction_NS_24const_host_device_scalarIT2_EEPKiS6_PKS3_S8_S4_PS3_21rocsparse_index_base_b.uses_flat_scratch, 0
	.set _ZN9rocsparseL19gebsrmvn_4xn_kernelILj128ELj3ELj16EdEEvi20rocsparse_direction_NS_24const_host_device_scalarIT2_EEPKiS6_PKS3_S8_S4_PS3_21rocsparse_index_base_b.has_dyn_sized_stack, 0
	.set _ZN9rocsparseL19gebsrmvn_4xn_kernelILj128ELj3ELj16EdEEvi20rocsparse_direction_NS_24const_host_device_scalarIT2_EEPKiS6_PKS3_S8_S4_PS3_21rocsparse_index_base_b.has_recursion, 0
	.set _ZN9rocsparseL19gebsrmvn_4xn_kernelILj128ELj3ELj16EdEEvi20rocsparse_direction_NS_24const_host_device_scalarIT2_EEPKiS6_PKS3_S8_S4_PS3_21rocsparse_index_base_b.has_indirect_call, 0
	.section	.AMDGPU.csdata,"",@progbits
; Kernel info:
; codeLenInByte = 2072
; TotalNumSgprs: 20
; NumVgprs: 56
; ScratchSize: 0
; MemoryBound: 0
; FloatMode: 240
; IeeeMode: 1
; LDSByteSize: 0 bytes/workgroup (compile time only)
; SGPRBlocks: 2
; VGPRBlocks: 13
; NumSGPRsForWavesPerEU: 20
; NumVGPRsForWavesPerEU: 56
; Occupancy: 4
; WaveLimiterHint : 1
; COMPUTE_PGM_RSRC2:SCRATCH_EN: 0
; COMPUTE_PGM_RSRC2:USER_SGPR: 6
; COMPUTE_PGM_RSRC2:TRAP_HANDLER: 0
; COMPUTE_PGM_RSRC2:TGID_X_EN: 1
; COMPUTE_PGM_RSRC2:TGID_Y_EN: 0
; COMPUTE_PGM_RSRC2:TGID_Z_EN: 0
; COMPUTE_PGM_RSRC2:TIDIG_COMP_CNT: 0
	.section	.text._ZN9rocsparseL19gebsrmvn_4xn_kernelILj128ELj3ELj32EdEEvi20rocsparse_direction_NS_24const_host_device_scalarIT2_EEPKiS6_PKS3_S8_S4_PS3_21rocsparse_index_base_b,"axG",@progbits,_ZN9rocsparseL19gebsrmvn_4xn_kernelILj128ELj3ELj32EdEEvi20rocsparse_direction_NS_24const_host_device_scalarIT2_EEPKiS6_PKS3_S8_S4_PS3_21rocsparse_index_base_b,comdat
	.globl	_ZN9rocsparseL19gebsrmvn_4xn_kernelILj128ELj3ELj32EdEEvi20rocsparse_direction_NS_24const_host_device_scalarIT2_EEPKiS6_PKS3_S8_S4_PS3_21rocsparse_index_base_b ; -- Begin function _ZN9rocsparseL19gebsrmvn_4xn_kernelILj128ELj3ELj32EdEEvi20rocsparse_direction_NS_24const_host_device_scalarIT2_EEPKiS6_PKS3_S8_S4_PS3_21rocsparse_index_base_b
	.p2align	8
	.type	_ZN9rocsparseL19gebsrmvn_4xn_kernelILj128ELj3ELj32EdEEvi20rocsparse_direction_NS_24const_host_device_scalarIT2_EEPKiS6_PKS3_S8_S4_PS3_21rocsparse_index_base_b,@function
_ZN9rocsparseL19gebsrmvn_4xn_kernelILj128ELj3ELj32EdEEvi20rocsparse_direction_NS_24const_host_device_scalarIT2_EEPKiS6_PKS3_S8_S4_PS3_21rocsparse_index_base_b: ; @_ZN9rocsparseL19gebsrmvn_4xn_kernelILj128ELj3ELj32EdEEvi20rocsparse_direction_NS_24const_host_device_scalarIT2_EEPKiS6_PKS3_S8_S4_PS3_21rocsparse_index_base_b
; %bb.0:
	s_load_dwordx2 s[2:3], s[4:5], 0x40
	s_load_dwordx2 s[10:11], s[4:5], 0x8
	s_load_dwordx2 s[0:1], s[4:5], 0x30
	s_waitcnt lgkmcnt(0)
	s_bitcmp1_b32 s3, 0
	s_cselect_b64 s[12:13], -1, 0
	v_mov_b32_e32 v1, s10
	s_xor_b64 s[8:9], s[12:13], -1
	s_and_b64 vcc, exec, s[12:13]
	v_mov_b32_e32 v2, s11
	s_cbranch_vccnz .LBB50_2
; %bb.1:
	v_mov_b32_e32 v1, s10
	v_mov_b32_e32 v2, s11
	flat_load_dwordx2 v[1:2], v[1:2]
.LBB50_2:
	v_mov_b32_e32 v4, s1
	s_andn2_b64 vcc, exec, s[8:9]
	v_mov_b32_e32 v3, s0
	s_cbranch_vccnz .LBB50_4
; %bb.3:
	v_mov_b32_e32 v4, s1
	v_mov_b32_e32 v3, s0
	flat_load_dwordx2 v[3:4], v[3:4]
.LBB50_4:
	s_waitcnt vmcnt(0) lgkmcnt(0)
	v_cmp_neq_f64_e32 vcc, 0, v[1:2]
	v_cmp_neq_f64_e64 s[0:1], 1.0, v[3:4]
	s_or_b64 s[0:1], vcc, s[0:1]
	s_and_saveexec_b64 s[8:9], s[0:1]
	s_cbranch_execz .LBB50_23
; %bb.5:
	s_load_dwordx2 s[0:1], s[4:5], 0x0
	v_lshrrev_b32_e32 v5, 5, v0
	v_lshl_or_b32 v5, s6, 2, v5
	s_waitcnt lgkmcnt(0)
	v_cmp_gt_i32_e32 vcc, s0, v5
	s_and_b64 exec, exec, vcc
	s_cbranch_execz .LBB50_23
; %bb.6:
	s_load_dwordx8 s[8:15], s[4:5], 0x10
	v_ashrrev_i32_e32 v6, 31, v5
	v_lshlrev_b64 v[6:7], 2, v[5:6]
	v_and_b32_e32 v0, 31, v0
	s_cmp_lg_u32 s1, 0
	s_waitcnt lgkmcnt(0)
	v_mov_b32_e32 v8, s9
	v_add_co_u32_e32 v6, vcc, s8, v6
	v_addc_co_u32_e32 v7, vcc, v8, v7, vcc
	global_load_dwordx2 v[6:7], v[6:7], off
	s_waitcnt vmcnt(0)
	v_subrev_u32_e32 v6, s2, v6
	v_subrev_u32_e32 v20, s2, v7
	v_add_u32_e32 v10, v6, v0
	v_cmp_lt_i32_e64 s[0:1], v10, v20
	s_cbranch_scc0 .LBB50_12
; %bb.7:
	v_mov_b32_e32 v14, 0
	v_mov_b32_e32 v6, 0
	;; [unrolled: 1-line block ×8, first 2 shown]
	s_and_saveexec_b64 s[6:7], s[0:1]
	s_cbranch_execz .LBB50_11
; %bb.8:
	v_mul_lo_u32 v16, v10, 12
	v_mov_b32_e32 v14, 0
	v_mov_b32_e32 v6, 0
	;; [unrolled: 1-line block ×5, first 2 shown]
	s_mov_b64 s[8:9], 0
	v_mov_b32_e32 v11, s11
	v_mov_b32_e32 v17, 0
	;; [unrolled: 1-line block ×8, first 2 shown]
.LBB50_9:                               ; =>This Inner Loop Header: Depth=1
	v_ashrrev_i32_e32 v19, 31, v18
	v_lshlrev_b64 v[23:24], 2, v[18:19]
	v_add_u32_e32 v25, 4, v16
	v_add_co_u32_e32 v23, vcc, s10, v23
	v_addc_co_u32_e32 v24, vcc, v11, v24, vcc
	global_load_dword v19, v[23:24], off
	v_lshlrev_b64 v[23:24], 3, v[16:17]
	v_mov_b32_e32 v26, v17
	v_lshlrev_b64 v[31:32], 3, v[25:26]
	v_add_co_u32_e32 v35, vcc, s12, v23
	v_add_u32_e32 v27, 8, v16
	v_mov_b32_e32 v28, v17
	v_addc_co_u32_e32 v36, vcc, v21, v24, vcc
	v_lshlrev_b64 v[33:34], 3, v[27:28]
	v_add_co_u32_e32 v52, vcc, s12, v31
	v_addc_co_u32_e32 v53, vcc, v21, v32, vcc
	v_mov_b32_e32 v48, v17
	v_add_co_u32_e32 v54, vcc, s12, v33
	global_load_dwordx4 v[23:26], v[35:36], off
	global_load_dwordx4 v[27:30], v[35:36], off offset:16
	v_addc_co_u32_e32 v55, vcc, v21, v34, vcc
	global_load_dwordx4 v[31:34], v[52:53], off
	global_load_dwordx4 v[35:38], v[52:53], off offset:16
	global_load_dwordx4 v[39:42], v[54:55], off offset:16
	global_load_dwordx4 v[43:46], v[54:55], off
	v_mov_b32_e32 v49, v17
	v_mov_b32_e32 v51, v17
	v_add_u32_e32 v18, 32, v18
	v_add_u32_e32 v16, 0x180, v16
	s_waitcnt vmcnt(6)
	v_subrev_u32_e32 v19, s2, v19
	v_lshl_add_u32 v47, v19, 1, v19
	v_lshlrev_b64 v[52:53], 3, v[47:48]
	v_add_u32_e32 v48, 1, v47
	v_add_u32_e32 v50, 2, v47
	v_lshlrev_b64 v[47:48], 3, v[48:49]
	v_lshlrev_b64 v[49:50], 3, v[50:51]
	v_add_co_u32_e32 v51, vcc, s14, v52
	v_addc_co_u32_e32 v52, vcc, v22, v53, vcc
	global_load_dwordx2 v[51:52], v[51:52], off
	v_add_co_u32_e32 v47, vcc, s14, v47
	v_addc_co_u32_e32 v48, vcc, v22, v48, vcc
	global_load_dwordx2 v[47:48], v[47:48], off
	;; [unrolled: 3-line block ×3, first 2 shown]
	v_cmp_ge_i32_e32 vcc, v18, v20
	s_or_b64 s[8:9], vcc, s[8:9]
	s_waitcnt vmcnt(2)
	v_fma_f64 v[14:15], v[23:24], v[51:52], v[14:15]
	v_fma_f64 v[12:13], v[25:26], v[51:52], v[12:13]
	v_fma_f64 v[8:9], v[27:28], v[51:52], v[8:9]
	v_fma_f64 v[6:7], v[29:30], v[51:52], v[6:7]
	s_waitcnt vmcnt(1)
	v_fma_f64 v[14:15], v[31:32], v[47:48], v[14:15]
	v_fma_f64 v[12:13], v[33:34], v[47:48], v[12:13]
	v_fma_f64 v[8:9], v[35:36], v[47:48], v[8:9]
	v_fma_f64 v[6:7], v[37:38], v[47:48], v[6:7]
	;; [unrolled: 5-line block ×3, first 2 shown]
	s_andn2_b64 exec, exec, s[8:9]
	s_cbranch_execnz .LBB50_9
; %bb.10:
	s_or_b64 exec, exec, s[8:9]
.LBB50_11:
	s_or_b64 exec, exec, s[6:7]
	s_cbranch_execz .LBB50_13
	s_branch .LBB50_18
.LBB50_12:
                                        ; implicit-def: $vgpr14_vgpr15
                                        ; implicit-def: $vgpr6_vgpr7
                                        ; implicit-def: $vgpr8_vgpr9
                                        ; implicit-def: $vgpr12_vgpr13
.LBB50_13:
	v_mov_b32_e32 v14, 0
	v_mov_b32_e32 v6, 0
	;; [unrolled: 1-line block ×8, first 2 shown]
	s_and_saveexec_b64 s[6:7], s[0:1]
	s_cbranch_execz .LBB50_17
; %bb.14:
	v_mad_u64_u32 v[16:17], s[0:1], v10, 12, 11
	v_mov_b32_e32 v14, 0
	v_mov_b32_e32 v6, 0
	;; [unrolled: 1-line block ×5, first 2 shown]
	s_mov_b64 s[0:1], 0
	v_mov_b32_e32 v21, s11
	v_mov_b32_e32 v19, 0
	;; [unrolled: 1-line block ×7, first 2 shown]
.LBB50_15:                              ; =>This Inner Loop Header: Depth=1
	v_ashrrev_i32_e32 v11, 31, v10
	v_lshlrev_b64 v[28:29], 2, v[10:11]
	v_add_u32_e32 v18, -11, v16
	v_lshlrev_b64 v[30:31], 3, v[18:19]
	v_add_co_u32_e32 v28, vcc, s10, v28
	v_addc_co_u32_e32 v29, vcc, v21, v29, vcc
	v_add_u32_e32 v24, -5, v16
	v_mov_b32_e32 v25, v19
	v_add_u32_e32 v26, -2, v16
	v_mov_b32_e32 v27, v19
	v_add_co_u32_e32 v38, vcc, s12, v30
	v_lshlrev_b64 v[34:35], 3, v[24:25]
	v_lshlrev_b64 v[36:37], 3, v[26:27]
	v_addc_co_u32_e32 v39, vcc, v22, v31, vcc
	global_load_dword v11, v[28:29], off
	global_load_dwordx4 v[24:27], v[38:39], off
	v_mov_b32_e32 v33, v19
	v_mov_b32_e32 v17, v19
	v_add_u32_e32 v10, 32, v10
	s_waitcnt vmcnt(1)
	v_subrev_u32_e32 v11, s2, v11
	v_lshl_add_u32 v32, v11, 1, v11
	v_lshlrev_b64 v[28:29], 3, v[32:33]
	v_add_u32_e32 v18, 1, v32
	v_lshlrev_b64 v[30:31], 3, v[18:19]
	v_add_co_u32_e32 v40, vcc, s14, v28
	v_addc_co_u32_e32 v41, vcc, v23, v29, vcc
	v_add_co_u32_e32 v42, vcc, s14, v30
	v_addc_co_u32_e32 v43, vcc, v23, v31, vcc
	global_load_dwordx4 v[28:31], v[38:39], off offset:16
	global_load_dwordx2 v[44:45], v[40:41], off
	global_load_dwordx2 v[46:47], v[42:43], off
	v_lshlrev_b64 v[17:18], 3, v[16:17]
	s_waitcnt vmcnt(1)
	v_fma_f64 v[14:15], v[24:25], v[44:45], v[14:15]
	v_add_co_u32_e32 v24, vcc, s12, v34
	v_addc_co_u32_e32 v25, vcc, v22, v35, vcc
	v_fma_f64 v[11:12], v[30:31], v[44:45], v[12:13]
	s_waitcnt vmcnt(0)
	v_fma_f64 v[14:15], v[26:27], v[46:47], v[14:15]
	v_add_co_u32_e32 v26, vcc, s12, v36
	v_addc_co_u32_e32 v27, vcc, v22, v37, vcc
	v_add_co_u32_e32 v33, vcc, s12, v17
	v_addc_co_u32_e32 v34, vcc, v22, v18, vcc
	v_add_u32_e32 v18, -7, v16
	v_lshlrev_b64 v[17:18], 3, v[18:19]
	global_load_dwordx2 v[50:51], v[24:25], off
	global_load_dwordx2 v[52:53], v[26:27], off
	v_add_co_u32_e32 v35, vcc, s12, v17
	v_addc_co_u32_e32 v36, vcc, v22, v18, vcc
	v_add_u32_e32 v18, -4, v16
	v_lshlrev_b64 v[37:38], 3, v[18:19]
	v_add_u32_e32 v18, -1, v16
	v_lshlrev_b64 v[39:40], 3, v[18:19]
	v_add_co_u32_e32 v37, vcc, s12, v37
	v_addc_co_u32_e32 v38, vcc, v22, v38, vcc
	v_add_co_u32_e32 v39, vcc, s12, v39
	v_addc_co_u32_e32 v40, vcc, v22, v40, vcc
	global_load_dwordx2 v[24:25], v[35:36], off
	global_load_dwordx2 v[26:27], v[37:38], off
	;; [unrolled: 1-line block ×3, first 2 shown]
	v_add_u32_e32 v18, 2, v32
	v_lshlrev_b64 v[17:18], 3, v[18:19]
	v_add_co_u32_e32 v41, vcc, s14, v17
	v_addc_co_u32_e32 v42, vcc, v23, v18, vcc
	v_add_u32_e32 v18, -6, v16
	v_lshlrev_b64 v[17:18], 3, v[18:19]
	v_add_co_u32_e32 v48, vcc, s12, v17
	v_addc_co_u32_e32 v49, vcc, v22, v18, vcc
	v_add_u32_e32 v18, -3, v16
	v_lshlrev_b64 v[17:18], 3, v[18:19]
	v_add_u32_e32 v16, 0x180, v16
	v_add_co_u32_e32 v17, vcc, s12, v17
	v_addc_co_u32_e32 v18, vcc, v22, v18, vcc
	v_cmp_ge_i32_e32 vcc, v10, v20
	s_or_b64 s[0:1], vcc, s[0:1]
	s_waitcnt vmcnt(4)
	v_fma_f64 v[8:9], v[50:51], v[44:45], v[8:9]
	s_waitcnt vmcnt(3)
	v_fma_f64 v[6:7], v[52:53], v[44:45], v[6:7]
	;; [unrolled: 2-line block ×3, first 2 shown]
	global_load_dwordx2 v[24:25], v[41:42], off
	global_load_dwordx2 v[35:36], v[48:49], off
	;; [unrolled: 1-line block ×4, first 2 shown]
	s_waitcnt vmcnt(5)
	v_fma_f64 v[8:9], v[26:27], v[46:47], v[8:9]
	s_waitcnt vmcnt(4)
	v_fma_f64 v[6:7], v[30:31], v[46:47], v[6:7]
	s_waitcnt vmcnt(3)
	v_fma_f64 v[14:15], v[28:29], v[24:25], v[14:15]
	s_waitcnt vmcnt(2)
	v_fma_f64 v[12:13], v[35:36], v[24:25], v[11:12]
	s_waitcnt vmcnt(1)
	v_fma_f64 v[8:9], v[37:38], v[24:25], v[8:9]
	s_waitcnt vmcnt(0)
	v_fma_f64 v[6:7], v[39:40], v[24:25], v[6:7]
	s_andn2_b64 exec, exec, s[0:1]
	s_cbranch_execnz .LBB50_15
; %bb.16:
	s_or_b64 exec, exec, s[0:1]
.LBB50_17:
	s_or_b64 exec, exec, s[6:7]
.LBB50_18:
	v_mov_b32_dpp v10, v14 row_shr:1 row_mask:0xf bank_mask:0xf
	v_mov_b32_dpp v11, v15 row_shr:1 row_mask:0xf bank_mask:0xf
	v_add_f64 v[10:11], v[14:15], v[10:11]
	v_mov_b32_dpp v14, v12 row_shr:1 row_mask:0xf bank_mask:0xf
	v_mov_b32_dpp v15, v13 row_shr:1 row_mask:0xf bank_mask:0xf
	v_add_f64 v[12:13], v[12:13], v[14:15]
	;; [unrolled: 3-line block ×3, first 2 shown]
	v_cmp_eq_u32_e32 vcc, 31, v0
	v_mov_b32_dpp v14, v10 row_shr:2 row_mask:0xf bank_mask:0xf
	v_mov_b32_dpp v15, v11 row_shr:2 row_mask:0xf bank_mask:0xf
	v_add_f64 v[10:11], v[10:11], v[14:15]
	v_mov_b32_dpp v14, v6 row_shr:1 row_mask:0xf bank_mask:0xf
	v_mov_b32_dpp v15, v7 row_shr:1 row_mask:0xf bank_mask:0xf
	v_add_f64 v[6:7], v[6:7], v[14:15]
	;; [unrolled: 3-line block ×4, first 2 shown]
	v_mov_b32_dpp v16, v8 row_shr:2 row_mask:0xf bank_mask:0xf
	v_mov_b32_dpp v17, v9 row_shr:2 row_mask:0xf bank_mask:0xf
	;; [unrolled: 1-line block ×3, first 2 shown]
	v_add_f64 v[8:9], v[8:9], v[16:17]
	v_mov_b32_dpp v15, v7 row_shr:2 row_mask:0xf bank_mask:0xf
	v_add_f64 v[6:7], v[6:7], v[14:15]
	v_mov_b32_dpp v16, v12 row_shr:4 row_mask:0xf bank_mask:0xe
	v_mov_b32_dpp v17, v13 row_shr:4 row_mask:0xf bank_mask:0xe
	v_add_f64 v[12:13], v[12:13], v[16:17]
	v_mov_b32_dpp v14, v10 row_shr:8 row_mask:0xf bank_mask:0xc
	v_mov_b32_dpp v15, v11 row_shr:8 row_mask:0xf bank_mask:0xc
	;; [unrolled: 1-line block ×4, first 2 shown]
	v_add_f64 v[16:17], v[8:9], v[16:17]
	v_mov_b32_dpp v8, v6 row_shr:4 row_mask:0xf bank_mask:0xe
	v_mov_b32_dpp v9, v7 row_shr:4 row_mask:0xf bank_mask:0xe
	v_add_f64 v[18:19], v[6:7], v[8:9]
	v_add_f64 v[6:7], v[10:11], v[14:15]
	v_mov_b32_dpp v8, v12 row_shr:8 row_mask:0xf bank_mask:0xc
	v_mov_b32_dpp v9, v13 row_shr:8 row_mask:0xf bank_mask:0xc
	v_add_f64 v[8:9], v[12:13], v[8:9]
	v_mov_b32_dpp v10, v16 row_shr:8 row_mask:0xf bank_mask:0xc
	v_mov_b32_dpp v11, v17 row_shr:8 row_mask:0xf bank_mask:0xc
	;; [unrolled: 3-line block ×3, first 2 shown]
	v_add_f64 v[16:17], v[18:19], v[10:11]
	v_mov_b32_dpp v12, v6 row_bcast:15 row_mask:0xa bank_mask:0xf
	v_mov_b32_dpp v13, v7 row_bcast:15 row_mask:0xa bank_mask:0xf
	;; [unrolled: 1-line block ×8, first 2 shown]
	s_and_b64 exec, exec, vcc
	s_cbranch_execz .LBB50_23
; %bb.19:
	v_add_f64 v[12:13], v[6:7], v[12:13]
	v_add_f64 v[10:11], v[8:9], v[10:11]
	;; [unrolled: 1-line block ×4, first 2 shown]
	v_cmp_eq_f64_e32 vcc, 0, v[3:4]
	s_load_dwordx2 s[0:1], s[4:5], 0x38
	s_and_saveexec_b64 s[2:3], vcc
	s_xor_b64 s[2:3], exec, s[2:3]
	s_cbranch_execz .LBB50_21
; %bb.20:
	v_mul_f64 v[12:13], v[1:2], v[12:13]
	v_mul_f64 v[14:15], v[1:2], v[10:11]
	v_lshlrev_b32_e32 v16, 2, v5
	v_mul_f64 v[3:4], v[1:2], v[6:7]
	v_mul_f64 v[5:6], v[1:2], v[8:9]
	v_ashrrev_i32_e32 v17, 31, v16
	v_lshlrev_b64 v[0:1], 3, v[16:17]
	s_waitcnt lgkmcnt(0)
	v_mov_b32_e32 v2, s1
	v_add_co_u32_e32 v0, vcc, s0, v0
	v_addc_co_u32_e32 v1, vcc, v2, v1, vcc
	global_store_dwordx4 v[0:1], v[12:15], off
	global_store_dwordx4 v[0:1], v[3:6], off offset:16
                                        ; implicit-def: $vgpr5
                                        ; implicit-def: $vgpr1_vgpr2
                                        ; implicit-def: $vgpr12_vgpr13
                                        ; implicit-def: $vgpr3_vgpr4
                                        ; implicit-def: $vgpr10_vgpr11
                                        ; implicit-def: $vgpr6_vgpr7
                                        ; implicit-def: $vgpr8_vgpr9
.LBB50_21:
	s_andn2_saveexec_b64 s[2:3], s[2:3]
	s_cbranch_execz .LBB50_23
; %bb.22:
	v_lshlrev_b32_e32 v14, 2, v5
	v_ashrrev_i32_e32 v15, 31, v14
	v_lshlrev_b64 v[14:15], 3, v[14:15]
	s_waitcnt lgkmcnt(0)
	v_mov_b32_e32 v0, s1
	v_add_co_u32_e32 v22, vcc, s0, v14
	v_addc_co_u32_e32 v23, vcc, v0, v15, vcc
	global_load_dwordx4 v[14:17], v[22:23], off
	global_load_dwordx4 v[18:21], v[22:23], off offset:16
	v_mul_f64 v[12:13], v[1:2], v[12:13]
	v_mul_f64 v[10:11], v[1:2], v[10:11]
	;; [unrolled: 1-line block ×4, first 2 shown]
	s_waitcnt vmcnt(1)
	v_fma_f64 v[5:6], v[3:4], v[14:15], v[12:13]
	v_fma_f64 v[7:8], v[3:4], v[16:17], v[10:11]
	s_waitcnt vmcnt(0)
	v_fma_f64 v[0:1], v[3:4], v[18:19], v[24:25]
	v_fma_f64 v[2:3], v[3:4], v[20:21], v[26:27]
	global_store_dwordx4 v[22:23], v[5:8], off
	global_store_dwordx4 v[22:23], v[0:3], off offset:16
.LBB50_23:
	s_endpgm
	.section	.rodata,"a",@progbits
	.p2align	6, 0x0
	.amdhsa_kernel _ZN9rocsparseL19gebsrmvn_4xn_kernelILj128ELj3ELj32EdEEvi20rocsparse_direction_NS_24const_host_device_scalarIT2_EEPKiS6_PKS3_S8_S4_PS3_21rocsparse_index_base_b
		.amdhsa_group_segment_fixed_size 0
		.amdhsa_private_segment_fixed_size 0
		.amdhsa_kernarg_size 72
		.amdhsa_user_sgpr_count 6
		.amdhsa_user_sgpr_private_segment_buffer 1
		.amdhsa_user_sgpr_dispatch_ptr 0
		.amdhsa_user_sgpr_queue_ptr 0
		.amdhsa_user_sgpr_kernarg_segment_ptr 1
		.amdhsa_user_sgpr_dispatch_id 0
		.amdhsa_user_sgpr_flat_scratch_init 0
		.amdhsa_user_sgpr_private_segment_size 0
		.amdhsa_uses_dynamic_stack 0
		.amdhsa_system_sgpr_private_segment_wavefront_offset 0
		.amdhsa_system_sgpr_workgroup_id_x 1
		.amdhsa_system_sgpr_workgroup_id_y 0
		.amdhsa_system_sgpr_workgroup_id_z 0
		.amdhsa_system_sgpr_workgroup_info 0
		.amdhsa_system_vgpr_workitem_id 0
		.amdhsa_next_free_vgpr 56
		.amdhsa_next_free_sgpr 16
		.amdhsa_reserve_vcc 1
		.amdhsa_reserve_flat_scratch 0
		.amdhsa_float_round_mode_32 0
		.amdhsa_float_round_mode_16_64 0
		.amdhsa_float_denorm_mode_32 3
		.amdhsa_float_denorm_mode_16_64 3
		.amdhsa_dx10_clamp 1
		.amdhsa_ieee_mode 1
		.amdhsa_fp16_overflow 0
		.amdhsa_exception_fp_ieee_invalid_op 0
		.amdhsa_exception_fp_denorm_src 0
		.amdhsa_exception_fp_ieee_div_zero 0
		.amdhsa_exception_fp_ieee_overflow 0
		.amdhsa_exception_fp_ieee_underflow 0
		.amdhsa_exception_fp_ieee_inexact 0
		.amdhsa_exception_int_div_zero 0
	.end_amdhsa_kernel
	.section	.text._ZN9rocsparseL19gebsrmvn_4xn_kernelILj128ELj3ELj32EdEEvi20rocsparse_direction_NS_24const_host_device_scalarIT2_EEPKiS6_PKS3_S8_S4_PS3_21rocsparse_index_base_b,"axG",@progbits,_ZN9rocsparseL19gebsrmvn_4xn_kernelILj128ELj3ELj32EdEEvi20rocsparse_direction_NS_24const_host_device_scalarIT2_EEPKiS6_PKS3_S8_S4_PS3_21rocsparse_index_base_b,comdat
.Lfunc_end50:
	.size	_ZN9rocsparseL19gebsrmvn_4xn_kernelILj128ELj3ELj32EdEEvi20rocsparse_direction_NS_24const_host_device_scalarIT2_EEPKiS6_PKS3_S8_S4_PS3_21rocsparse_index_base_b, .Lfunc_end50-_ZN9rocsparseL19gebsrmvn_4xn_kernelILj128ELj3ELj32EdEEvi20rocsparse_direction_NS_24const_host_device_scalarIT2_EEPKiS6_PKS3_S8_S4_PS3_21rocsparse_index_base_b
                                        ; -- End function
	.set _ZN9rocsparseL19gebsrmvn_4xn_kernelILj128ELj3ELj32EdEEvi20rocsparse_direction_NS_24const_host_device_scalarIT2_EEPKiS6_PKS3_S8_S4_PS3_21rocsparse_index_base_b.num_vgpr, 56
	.set _ZN9rocsparseL19gebsrmvn_4xn_kernelILj128ELj3ELj32EdEEvi20rocsparse_direction_NS_24const_host_device_scalarIT2_EEPKiS6_PKS3_S8_S4_PS3_21rocsparse_index_base_b.num_agpr, 0
	.set _ZN9rocsparseL19gebsrmvn_4xn_kernelILj128ELj3ELj32EdEEvi20rocsparse_direction_NS_24const_host_device_scalarIT2_EEPKiS6_PKS3_S8_S4_PS3_21rocsparse_index_base_b.numbered_sgpr, 16
	.set _ZN9rocsparseL19gebsrmvn_4xn_kernelILj128ELj3ELj32EdEEvi20rocsparse_direction_NS_24const_host_device_scalarIT2_EEPKiS6_PKS3_S8_S4_PS3_21rocsparse_index_base_b.num_named_barrier, 0
	.set _ZN9rocsparseL19gebsrmvn_4xn_kernelILj128ELj3ELj32EdEEvi20rocsparse_direction_NS_24const_host_device_scalarIT2_EEPKiS6_PKS3_S8_S4_PS3_21rocsparse_index_base_b.private_seg_size, 0
	.set _ZN9rocsparseL19gebsrmvn_4xn_kernelILj128ELj3ELj32EdEEvi20rocsparse_direction_NS_24const_host_device_scalarIT2_EEPKiS6_PKS3_S8_S4_PS3_21rocsparse_index_base_b.uses_vcc, 1
	.set _ZN9rocsparseL19gebsrmvn_4xn_kernelILj128ELj3ELj32EdEEvi20rocsparse_direction_NS_24const_host_device_scalarIT2_EEPKiS6_PKS3_S8_S4_PS3_21rocsparse_index_base_b.uses_flat_scratch, 0
	.set _ZN9rocsparseL19gebsrmvn_4xn_kernelILj128ELj3ELj32EdEEvi20rocsparse_direction_NS_24const_host_device_scalarIT2_EEPKiS6_PKS3_S8_S4_PS3_21rocsparse_index_base_b.has_dyn_sized_stack, 0
	.set _ZN9rocsparseL19gebsrmvn_4xn_kernelILj128ELj3ELj32EdEEvi20rocsparse_direction_NS_24const_host_device_scalarIT2_EEPKiS6_PKS3_S8_S4_PS3_21rocsparse_index_base_b.has_recursion, 0
	.set _ZN9rocsparseL19gebsrmvn_4xn_kernelILj128ELj3ELj32EdEEvi20rocsparse_direction_NS_24const_host_device_scalarIT2_EEPKiS6_PKS3_S8_S4_PS3_21rocsparse_index_base_b.has_indirect_call, 0
	.section	.AMDGPU.csdata,"",@progbits
; Kernel info:
; codeLenInByte = 2168
; TotalNumSgprs: 20
; NumVgprs: 56
; ScratchSize: 0
; MemoryBound: 0
; FloatMode: 240
; IeeeMode: 1
; LDSByteSize: 0 bytes/workgroup (compile time only)
; SGPRBlocks: 2
; VGPRBlocks: 13
; NumSGPRsForWavesPerEU: 20
; NumVGPRsForWavesPerEU: 56
; Occupancy: 4
; WaveLimiterHint : 1
; COMPUTE_PGM_RSRC2:SCRATCH_EN: 0
; COMPUTE_PGM_RSRC2:USER_SGPR: 6
; COMPUTE_PGM_RSRC2:TRAP_HANDLER: 0
; COMPUTE_PGM_RSRC2:TGID_X_EN: 1
; COMPUTE_PGM_RSRC2:TGID_Y_EN: 0
; COMPUTE_PGM_RSRC2:TGID_Z_EN: 0
; COMPUTE_PGM_RSRC2:TIDIG_COMP_CNT: 0
	.section	.text._ZN9rocsparseL19gebsrmvn_4xn_kernelILj128ELj3ELj64EdEEvi20rocsparse_direction_NS_24const_host_device_scalarIT2_EEPKiS6_PKS3_S8_S4_PS3_21rocsparse_index_base_b,"axG",@progbits,_ZN9rocsparseL19gebsrmvn_4xn_kernelILj128ELj3ELj64EdEEvi20rocsparse_direction_NS_24const_host_device_scalarIT2_EEPKiS6_PKS3_S8_S4_PS3_21rocsparse_index_base_b,comdat
	.globl	_ZN9rocsparseL19gebsrmvn_4xn_kernelILj128ELj3ELj64EdEEvi20rocsparse_direction_NS_24const_host_device_scalarIT2_EEPKiS6_PKS3_S8_S4_PS3_21rocsparse_index_base_b ; -- Begin function _ZN9rocsparseL19gebsrmvn_4xn_kernelILj128ELj3ELj64EdEEvi20rocsparse_direction_NS_24const_host_device_scalarIT2_EEPKiS6_PKS3_S8_S4_PS3_21rocsparse_index_base_b
	.p2align	8
	.type	_ZN9rocsparseL19gebsrmvn_4xn_kernelILj128ELj3ELj64EdEEvi20rocsparse_direction_NS_24const_host_device_scalarIT2_EEPKiS6_PKS3_S8_S4_PS3_21rocsparse_index_base_b,@function
_ZN9rocsparseL19gebsrmvn_4xn_kernelILj128ELj3ELj64EdEEvi20rocsparse_direction_NS_24const_host_device_scalarIT2_EEPKiS6_PKS3_S8_S4_PS3_21rocsparse_index_base_b: ; @_ZN9rocsparseL19gebsrmvn_4xn_kernelILj128ELj3ELj64EdEEvi20rocsparse_direction_NS_24const_host_device_scalarIT2_EEPKiS6_PKS3_S8_S4_PS3_21rocsparse_index_base_b
; %bb.0:
	s_load_dwordx2 s[2:3], s[4:5], 0x40
	s_load_dwordx2 s[10:11], s[4:5], 0x8
	;; [unrolled: 1-line block ×3, first 2 shown]
	s_waitcnt lgkmcnt(0)
	s_bitcmp1_b32 s3, 0
	s_cselect_b64 s[12:13], -1, 0
	v_mov_b32_e32 v1, s10
	s_xor_b64 s[8:9], s[12:13], -1
	s_and_b64 vcc, exec, s[12:13]
	v_mov_b32_e32 v2, s11
	s_cbranch_vccnz .LBB51_2
; %bb.1:
	v_mov_b32_e32 v1, s10
	v_mov_b32_e32 v2, s11
	flat_load_dwordx2 v[1:2], v[1:2]
.LBB51_2:
	v_mov_b32_e32 v4, s1
	s_andn2_b64 vcc, exec, s[8:9]
	v_mov_b32_e32 v3, s0
	s_cbranch_vccnz .LBB51_4
; %bb.3:
	v_mov_b32_e32 v4, s1
	v_mov_b32_e32 v3, s0
	flat_load_dwordx2 v[3:4], v[3:4]
.LBB51_4:
	s_waitcnt vmcnt(0) lgkmcnt(0)
	v_cmp_neq_f64_e32 vcc, 0, v[1:2]
	v_cmp_neq_f64_e64 s[0:1], 1.0, v[3:4]
	s_or_b64 s[0:1], vcc, s[0:1]
	s_and_saveexec_b64 s[8:9], s[0:1]
	s_cbranch_execz .LBB51_23
; %bb.5:
	s_load_dwordx2 s[0:1], s[4:5], 0x0
	v_lshrrev_b32_e32 v5, 6, v0
	v_lshl_or_b32 v5, s6, 1, v5
	s_waitcnt lgkmcnt(0)
	v_cmp_gt_i32_e32 vcc, s0, v5
	s_and_b64 exec, exec, vcc
	s_cbranch_execz .LBB51_23
; %bb.6:
	s_load_dwordx8 s[8:15], s[4:5], 0x10
	v_ashrrev_i32_e32 v6, 31, v5
	v_lshlrev_b64 v[6:7], 2, v[5:6]
	v_and_b32_e32 v0, 63, v0
	s_cmp_lg_u32 s1, 0
	s_waitcnt lgkmcnt(0)
	v_mov_b32_e32 v8, s9
	v_add_co_u32_e32 v6, vcc, s8, v6
	v_addc_co_u32_e32 v7, vcc, v8, v7, vcc
	global_load_dwordx2 v[6:7], v[6:7], off
	s_waitcnt vmcnt(0)
	v_subrev_u32_e32 v6, s2, v6
	v_subrev_u32_e32 v20, s2, v7
	v_add_u32_e32 v10, v6, v0
	v_cmp_lt_i32_e64 s[0:1], v10, v20
	s_cbranch_scc0 .LBB51_12
; %bb.7:
	v_mov_b32_e32 v14, 0
	v_mov_b32_e32 v6, 0
	;; [unrolled: 1-line block ×8, first 2 shown]
	s_and_saveexec_b64 s[6:7], s[0:1]
	s_cbranch_execz .LBB51_11
; %bb.8:
	v_mul_lo_u32 v16, v10, 12
	v_mov_b32_e32 v14, 0
	v_mov_b32_e32 v6, 0
	;; [unrolled: 1-line block ×5, first 2 shown]
	s_mov_b64 s[8:9], 0
	v_mov_b32_e32 v11, s11
	v_mov_b32_e32 v17, 0
	;; [unrolled: 1-line block ×8, first 2 shown]
.LBB51_9:                               ; =>This Inner Loop Header: Depth=1
	v_ashrrev_i32_e32 v19, 31, v18
	v_lshlrev_b64 v[23:24], 2, v[18:19]
	v_add_u32_e32 v25, 4, v16
	v_add_co_u32_e32 v23, vcc, s10, v23
	v_addc_co_u32_e32 v24, vcc, v11, v24, vcc
	global_load_dword v19, v[23:24], off
	v_lshlrev_b64 v[23:24], 3, v[16:17]
	v_mov_b32_e32 v26, v17
	v_lshlrev_b64 v[31:32], 3, v[25:26]
	v_add_co_u32_e32 v35, vcc, s12, v23
	v_add_u32_e32 v27, 8, v16
	v_mov_b32_e32 v28, v17
	v_addc_co_u32_e32 v36, vcc, v21, v24, vcc
	v_lshlrev_b64 v[33:34], 3, v[27:28]
	v_add_co_u32_e32 v52, vcc, s12, v31
	v_addc_co_u32_e32 v53, vcc, v21, v32, vcc
	v_mov_b32_e32 v48, v17
	v_add_co_u32_e32 v54, vcc, s12, v33
	global_load_dwordx4 v[23:26], v[35:36], off
	global_load_dwordx4 v[27:30], v[35:36], off offset:16
	v_addc_co_u32_e32 v55, vcc, v21, v34, vcc
	global_load_dwordx4 v[31:34], v[52:53], off
	global_load_dwordx4 v[35:38], v[52:53], off offset:16
	global_load_dwordx4 v[39:42], v[54:55], off offset:16
	global_load_dwordx4 v[43:46], v[54:55], off
	v_mov_b32_e32 v49, v17
	v_mov_b32_e32 v51, v17
	v_add_u32_e32 v18, 64, v18
	v_add_u32_e32 v16, 0x300, v16
	s_waitcnt vmcnt(6)
	v_subrev_u32_e32 v19, s2, v19
	v_lshl_add_u32 v47, v19, 1, v19
	v_lshlrev_b64 v[52:53], 3, v[47:48]
	v_add_u32_e32 v48, 1, v47
	v_add_u32_e32 v50, 2, v47
	v_lshlrev_b64 v[47:48], 3, v[48:49]
	v_lshlrev_b64 v[49:50], 3, v[50:51]
	v_add_co_u32_e32 v51, vcc, s14, v52
	v_addc_co_u32_e32 v52, vcc, v22, v53, vcc
	global_load_dwordx2 v[51:52], v[51:52], off
	v_add_co_u32_e32 v47, vcc, s14, v47
	v_addc_co_u32_e32 v48, vcc, v22, v48, vcc
	global_load_dwordx2 v[47:48], v[47:48], off
	v_add_co_u32_e32 v49, vcc, s14, v49
	v_addc_co_u32_e32 v50, vcc, v22, v50, vcc
	global_load_dwordx2 v[49:50], v[49:50], off
	v_cmp_ge_i32_e32 vcc, v18, v20
	s_or_b64 s[8:9], vcc, s[8:9]
	s_waitcnt vmcnt(2)
	v_fma_f64 v[14:15], v[23:24], v[51:52], v[14:15]
	v_fma_f64 v[12:13], v[25:26], v[51:52], v[12:13]
	v_fma_f64 v[8:9], v[27:28], v[51:52], v[8:9]
	v_fma_f64 v[6:7], v[29:30], v[51:52], v[6:7]
	s_waitcnt vmcnt(1)
	v_fma_f64 v[14:15], v[31:32], v[47:48], v[14:15]
	v_fma_f64 v[12:13], v[33:34], v[47:48], v[12:13]
	v_fma_f64 v[8:9], v[35:36], v[47:48], v[8:9]
	v_fma_f64 v[6:7], v[37:38], v[47:48], v[6:7]
	s_waitcnt vmcnt(0)
	v_fma_f64 v[14:15], v[43:44], v[49:50], v[14:15]
	v_fma_f64 v[12:13], v[45:46], v[49:50], v[12:13]
	v_fma_f64 v[8:9], v[39:40], v[49:50], v[8:9]
	v_fma_f64 v[6:7], v[41:42], v[49:50], v[6:7]
	s_andn2_b64 exec, exec, s[8:9]
	s_cbranch_execnz .LBB51_9
; %bb.10:
	s_or_b64 exec, exec, s[8:9]
.LBB51_11:
	s_or_b64 exec, exec, s[6:7]
	s_cbranch_execz .LBB51_13
	s_branch .LBB51_18
.LBB51_12:
                                        ; implicit-def: $vgpr14_vgpr15
                                        ; implicit-def: $vgpr6_vgpr7
                                        ; implicit-def: $vgpr8_vgpr9
                                        ; implicit-def: $vgpr12_vgpr13
.LBB51_13:
	v_mov_b32_e32 v14, 0
	v_mov_b32_e32 v6, 0
	;; [unrolled: 1-line block ×8, first 2 shown]
	s_and_saveexec_b64 s[6:7], s[0:1]
	s_cbranch_execz .LBB51_17
; %bb.14:
	v_mad_u64_u32 v[16:17], s[0:1], v10, 12, 11
	v_mov_b32_e32 v14, 0
	v_mov_b32_e32 v6, 0
	v_mov_b32_e32 v8, 0
	v_mov_b32_e32 v12, 0
	v_mov_b32_e32 v15, 0
	s_mov_b64 s[0:1], 0
	v_mov_b32_e32 v21, s11
	v_mov_b32_e32 v19, 0
	;; [unrolled: 1-line block ×7, first 2 shown]
.LBB51_15:                              ; =>This Inner Loop Header: Depth=1
	v_ashrrev_i32_e32 v11, 31, v10
	v_lshlrev_b64 v[28:29], 2, v[10:11]
	v_add_u32_e32 v18, -11, v16
	v_lshlrev_b64 v[30:31], 3, v[18:19]
	v_add_co_u32_e32 v28, vcc, s10, v28
	v_addc_co_u32_e32 v29, vcc, v21, v29, vcc
	v_add_u32_e32 v24, -5, v16
	v_mov_b32_e32 v25, v19
	v_add_u32_e32 v26, -2, v16
	v_mov_b32_e32 v27, v19
	v_add_co_u32_e32 v38, vcc, s12, v30
	v_lshlrev_b64 v[34:35], 3, v[24:25]
	v_lshlrev_b64 v[36:37], 3, v[26:27]
	v_addc_co_u32_e32 v39, vcc, v22, v31, vcc
	global_load_dword v11, v[28:29], off
	global_load_dwordx4 v[24:27], v[38:39], off
	v_mov_b32_e32 v33, v19
	v_mov_b32_e32 v17, v19
	v_add_u32_e32 v10, 64, v10
	s_waitcnt vmcnt(1)
	v_subrev_u32_e32 v11, s2, v11
	v_lshl_add_u32 v32, v11, 1, v11
	v_lshlrev_b64 v[28:29], 3, v[32:33]
	v_add_u32_e32 v18, 1, v32
	v_lshlrev_b64 v[30:31], 3, v[18:19]
	v_add_co_u32_e32 v40, vcc, s14, v28
	v_addc_co_u32_e32 v41, vcc, v23, v29, vcc
	v_add_co_u32_e32 v42, vcc, s14, v30
	v_addc_co_u32_e32 v43, vcc, v23, v31, vcc
	global_load_dwordx4 v[28:31], v[38:39], off offset:16
	global_load_dwordx2 v[44:45], v[40:41], off
	global_load_dwordx2 v[46:47], v[42:43], off
	v_lshlrev_b64 v[17:18], 3, v[16:17]
	s_waitcnt vmcnt(1)
	v_fma_f64 v[14:15], v[24:25], v[44:45], v[14:15]
	v_add_co_u32_e32 v24, vcc, s12, v34
	v_addc_co_u32_e32 v25, vcc, v22, v35, vcc
	v_fma_f64 v[11:12], v[30:31], v[44:45], v[12:13]
	s_waitcnt vmcnt(0)
	v_fma_f64 v[14:15], v[26:27], v[46:47], v[14:15]
	v_add_co_u32_e32 v26, vcc, s12, v36
	v_addc_co_u32_e32 v27, vcc, v22, v37, vcc
	v_add_co_u32_e32 v33, vcc, s12, v17
	v_addc_co_u32_e32 v34, vcc, v22, v18, vcc
	v_add_u32_e32 v18, -7, v16
	v_lshlrev_b64 v[17:18], 3, v[18:19]
	global_load_dwordx2 v[50:51], v[24:25], off
	global_load_dwordx2 v[52:53], v[26:27], off
	v_add_co_u32_e32 v35, vcc, s12, v17
	v_addc_co_u32_e32 v36, vcc, v22, v18, vcc
	v_add_u32_e32 v18, -4, v16
	v_lshlrev_b64 v[37:38], 3, v[18:19]
	v_add_u32_e32 v18, -1, v16
	v_lshlrev_b64 v[39:40], 3, v[18:19]
	v_add_co_u32_e32 v37, vcc, s12, v37
	v_addc_co_u32_e32 v38, vcc, v22, v38, vcc
	v_add_co_u32_e32 v39, vcc, s12, v39
	v_addc_co_u32_e32 v40, vcc, v22, v40, vcc
	global_load_dwordx2 v[24:25], v[35:36], off
	global_load_dwordx2 v[26:27], v[37:38], off
	;; [unrolled: 1-line block ×3, first 2 shown]
	v_add_u32_e32 v18, 2, v32
	v_lshlrev_b64 v[17:18], 3, v[18:19]
	v_add_co_u32_e32 v41, vcc, s14, v17
	v_addc_co_u32_e32 v42, vcc, v23, v18, vcc
	v_add_u32_e32 v18, -6, v16
	v_lshlrev_b64 v[17:18], 3, v[18:19]
	v_add_co_u32_e32 v48, vcc, s12, v17
	v_addc_co_u32_e32 v49, vcc, v22, v18, vcc
	v_add_u32_e32 v18, -3, v16
	v_lshlrev_b64 v[17:18], 3, v[18:19]
	v_add_u32_e32 v16, 0x300, v16
	v_add_co_u32_e32 v17, vcc, s12, v17
	v_addc_co_u32_e32 v18, vcc, v22, v18, vcc
	v_cmp_ge_i32_e32 vcc, v10, v20
	s_or_b64 s[0:1], vcc, s[0:1]
	s_waitcnt vmcnt(4)
	v_fma_f64 v[8:9], v[50:51], v[44:45], v[8:9]
	s_waitcnt vmcnt(3)
	v_fma_f64 v[6:7], v[52:53], v[44:45], v[6:7]
	;; [unrolled: 2-line block ×3, first 2 shown]
	global_load_dwordx2 v[24:25], v[41:42], off
	global_load_dwordx2 v[35:36], v[48:49], off
	;; [unrolled: 1-line block ×4, first 2 shown]
	s_waitcnt vmcnt(5)
	v_fma_f64 v[8:9], v[26:27], v[46:47], v[8:9]
	s_waitcnt vmcnt(4)
	v_fma_f64 v[6:7], v[30:31], v[46:47], v[6:7]
	;; [unrolled: 2-line block ×6, first 2 shown]
	s_andn2_b64 exec, exec, s[0:1]
	s_cbranch_execnz .LBB51_15
; %bb.16:
	s_or_b64 exec, exec, s[0:1]
.LBB51_17:
	s_or_b64 exec, exec, s[6:7]
.LBB51_18:
	v_mov_b32_dpp v10, v14 row_shr:1 row_mask:0xf bank_mask:0xf
	v_mov_b32_dpp v11, v15 row_shr:1 row_mask:0xf bank_mask:0xf
	v_add_f64 v[10:11], v[14:15], v[10:11]
	v_mov_b32_dpp v14, v12 row_shr:1 row_mask:0xf bank_mask:0xf
	v_mov_b32_dpp v15, v13 row_shr:1 row_mask:0xf bank_mask:0xf
	v_add_f64 v[12:13], v[12:13], v[14:15]
	;; [unrolled: 3-line block ×3, first 2 shown]
	v_cmp_eq_u32_e32 vcc, 63, v0
	v_mov_b32_dpp v14, v10 row_shr:2 row_mask:0xf bank_mask:0xf
	v_mov_b32_dpp v15, v11 row_shr:2 row_mask:0xf bank_mask:0xf
	v_add_f64 v[10:11], v[10:11], v[14:15]
	v_mov_b32_dpp v14, v8 row_shr:1 row_mask:0xf bank_mask:0xf
	v_mov_b32_dpp v15, v9 row_shr:1 row_mask:0xf bank_mask:0xf
	v_add_f64 v[8:9], v[8:9], v[14:15]
	v_mov_b32_dpp v14, v12 row_shr:2 row_mask:0xf bank_mask:0xf
	v_mov_b32_dpp v15, v10 row_shr:4 row_mask:0xf bank_mask:0xe
	v_mov_b32_dpp v16, v11 row_shr:4 row_mask:0xf bank_mask:0xe
	v_add_f64 v[10:11], v[10:11], v[15:16]
	v_mov_b32_dpp v15, v13 row_shr:2 row_mask:0xf bank_mask:0xf
	;; [unrolled: 4-line block ×3, first 2 shown]
	v_add_f64 v[8:9], v[8:9], v[16:17]
	v_mov_b32_dpp v15, v7 row_shr:2 row_mask:0xf bank_mask:0xf
	v_add_f64 v[6:7], v[6:7], v[14:15]
	v_mov_b32_dpp v16, v10 row_shr:8 row_mask:0xf bank_mask:0xc
	v_mov_b32_dpp v17, v11 row_shr:8 row_mask:0xf bank_mask:0xc
	v_add_f64 v[10:11], v[10:11], v[16:17]
	v_mov_b32_dpp v14, v12 row_shr:4 row_mask:0xf bank_mask:0xe
	v_mov_b32_dpp v15, v13 row_shr:4 row_mask:0xf bank_mask:0xe
	;; [unrolled: 1-line block ×3, first 2 shown]
	v_add_f64 v[12:13], v[12:13], v[14:15]
	v_mov_b32_dpp v17, v9 row_shr:4 row_mask:0xf bank_mask:0xe
	v_add_f64 v[8:9], v[8:9], v[16:17]
	v_mov_b32_dpp v15, v6 row_shr:4 row_mask:0xf bank_mask:0xe
	v_mov_b32_dpp v16, v7 row_shr:4 row_mask:0xf bank_mask:0xe
	v_add_f64 v[6:7], v[6:7], v[15:16]
	v_mov_b32_dpp v14, v10 row_bcast:15 row_mask:0xa bank_mask:0xf
	v_mov_b32_dpp v15, v11 row_bcast:15 row_mask:0xa bank_mask:0xf
	v_mov_b32_dpp v16, v12 row_shr:8 row_mask:0xf bank_mask:0xc
	v_mov_b32_dpp v17, v13 row_shr:8 row_mask:0xf bank_mask:0xc
	v_add_f64 v[12:13], v[12:13], v[16:17]
	v_mov_b32_dpp v16, v8 row_shr:8 row_mask:0xf bank_mask:0xc
	v_mov_b32_dpp v17, v9 row_shr:8 row_mask:0xf bank_mask:0xc
	v_add_f64 v[16:17], v[8:9], v[16:17]
	;; [unrolled: 3-line block ×3, first 2 shown]
	v_add_f64 v[6:7], v[10:11], v[14:15]
	v_mov_b32_dpp v8, v12 row_bcast:15 row_mask:0xa bank_mask:0xf
	v_mov_b32_dpp v9, v13 row_bcast:15 row_mask:0xa bank_mask:0xf
	v_add_f64 v[8:9], v[12:13], v[8:9]
	v_mov_b32_dpp v10, v16 row_bcast:15 row_mask:0xa bank_mask:0xf
	v_mov_b32_dpp v11, v17 row_bcast:15 row_mask:0xa bank_mask:0xf
	;; [unrolled: 3-line block ×4, first 2 shown]
	v_mov_b32_dpp v10, v8 row_bcast:31 row_mask:0xc bank_mask:0xf
	v_mov_b32_dpp v11, v9 row_bcast:31 row_mask:0xc bank_mask:0xf
	;; [unrolled: 1-line block ×6, first 2 shown]
	s_and_b64 exec, exec, vcc
	s_cbranch_execz .LBB51_23
; %bb.19:
	v_add_f64 v[12:13], v[6:7], v[12:13]
	v_add_f64 v[10:11], v[8:9], v[10:11]
	;; [unrolled: 1-line block ×4, first 2 shown]
	v_cmp_eq_f64_e32 vcc, 0, v[3:4]
	s_load_dwordx2 s[0:1], s[4:5], 0x38
	s_and_saveexec_b64 s[2:3], vcc
	s_xor_b64 s[2:3], exec, s[2:3]
	s_cbranch_execz .LBB51_21
; %bb.20:
	v_mul_f64 v[12:13], v[1:2], v[12:13]
	v_mul_f64 v[14:15], v[1:2], v[10:11]
	v_lshlrev_b32_e32 v16, 2, v5
	v_mul_f64 v[3:4], v[1:2], v[6:7]
	v_mul_f64 v[5:6], v[1:2], v[8:9]
	v_ashrrev_i32_e32 v17, 31, v16
	v_lshlrev_b64 v[0:1], 3, v[16:17]
	s_waitcnt lgkmcnt(0)
	v_mov_b32_e32 v2, s1
	v_add_co_u32_e32 v0, vcc, s0, v0
	v_addc_co_u32_e32 v1, vcc, v2, v1, vcc
	global_store_dwordx4 v[0:1], v[12:15], off
	global_store_dwordx4 v[0:1], v[3:6], off offset:16
                                        ; implicit-def: $vgpr5
                                        ; implicit-def: $vgpr1_vgpr2
                                        ; implicit-def: $vgpr12_vgpr13
                                        ; implicit-def: $vgpr3_vgpr4
                                        ; implicit-def: $vgpr10_vgpr11
                                        ; implicit-def: $vgpr6_vgpr7
                                        ; implicit-def: $vgpr8_vgpr9
.LBB51_21:
	s_andn2_saveexec_b64 s[2:3], s[2:3]
	s_cbranch_execz .LBB51_23
; %bb.22:
	v_lshlrev_b32_e32 v14, 2, v5
	v_ashrrev_i32_e32 v15, 31, v14
	v_lshlrev_b64 v[14:15], 3, v[14:15]
	s_waitcnt lgkmcnt(0)
	v_mov_b32_e32 v0, s1
	v_add_co_u32_e32 v22, vcc, s0, v14
	v_addc_co_u32_e32 v23, vcc, v0, v15, vcc
	global_load_dwordx4 v[14:17], v[22:23], off
	global_load_dwordx4 v[18:21], v[22:23], off offset:16
	v_mul_f64 v[12:13], v[1:2], v[12:13]
	v_mul_f64 v[10:11], v[1:2], v[10:11]
	;; [unrolled: 1-line block ×4, first 2 shown]
	s_waitcnt vmcnt(1)
	v_fma_f64 v[5:6], v[3:4], v[14:15], v[12:13]
	v_fma_f64 v[7:8], v[3:4], v[16:17], v[10:11]
	s_waitcnt vmcnt(0)
	v_fma_f64 v[0:1], v[3:4], v[18:19], v[24:25]
	v_fma_f64 v[2:3], v[3:4], v[20:21], v[26:27]
	global_store_dwordx4 v[22:23], v[5:8], off
	global_store_dwordx4 v[22:23], v[0:3], off offset:16
.LBB51_23:
	s_endpgm
	.section	.rodata,"a",@progbits
	.p2align	6, 0x0
	.amdhsa_kernel _ZN9rocsparseL19gebsrmvn_4xn_kernelILj128ELj3ELj64EdEEvi20rocsparse_direction_NS_24const_host_device_scalarIT2_EEPKiS6_PKS3_S8_S4_PS3_21rocsparse_index_base_b
		.amdhsa_group_segment_fixed_size 0
		.amdhsa_private_segment_fixed_size 0
		.amdhsa_kernarg_size 72
		.amdhsa_user_sgpr_count 6
		.amdhsa_user_sgpr_private_segment_buffer 1
		.amdhsa_user_sgpr_dispatch_ptr 0
		.amdhsa_user_sgpr_queue_ptr 0
		.amdhsa_user_sgpr_kernarg_segment_ptr 1
		.amdhsa_user_sgpr_dispatch_id 0
		.amdhsa_user_sgpr_flat_scratch_init 0
		.amdhsa_user_sgpr_private_segment_size 0
		.amdhsa_uses_dynamic_stack 0
		.amdhsa_system_sgpr_private_segment_wavefront_offset 0
		.amdhsa_system_sgpr_workgroup_id_x 1
		.amdhsa_system_sgpr_workgroup_id_y 0
		.amdhsa_system_sgpr_workgroup_id_z 0
		.amdhsa_system_sgpr_workgroup_info 0
		.amdhsa_system_vgpr_workitem_id 0
		.amdhsa_next_free_vgpr 56
		.amdhsa_next_free_sgpr 16
		.amdhsa_reserve_vcc 1
		.amdhsa_reserve_flat_scratch 0
		.amdhsa_float_round_mode_32 0
		.amdhsa_float_round_mode_16_64 0
		.amdhsa_float_denorm_mode_32 3
		.amdhsa_float_denorm_mode_16_64 3
		.amdhsa_dx10_clamp 1
		.amdhsa_ieee_mode 1
		.amdhsa_fp16_overflow 0
		.amdhsa_exception_fp_ieee_invalid_op 0
		.amdhsa_exception_fp_denorm_src 0
		.amdhsa_exception_fp_ieee_div_zero 0
		.amdhsa_exception_fp_ieee_overflow 0
		.amdhsa_exception_fp_ieee_underflow 0
		.amdhsa_exception_fp_ieee_inexact 0
		.amdhsa_exception_int_div_zero 0
	.end_amdhsa_kernel
	.section	.text._ZN9rocsparseL19gebsrmvn_4xn_kernelILj128ELj3ELj64EdEEvi20rocsparse_direction_NS_24const_host_device_scalarIT2_EEPKiS6_PKS3_S8_S4_PS3_21rocsparse_index_base_b,"axG",@progbits,_ZN9rocsparseL19gebsrmvn_4xn_kernelILj128ELj3ELj64EdEEvi20rocsparse_direction_NS_24const_host_device_scalarIT2_EEPKiS6_PKS3_S8_S4_PS3_21rocsparse_index_base_b,comdat
.Lfunc_end51:
	.size	_ZN9rocsparseL19gebsrmvn_4xn_kernelILj128ELj3ELj64EdEEvi20rocsparse_direction_NS_24const_host_device_scalarIT2_EEPKiS6_PKS3_S8_S4_PS3_21rocsparse_index_base_b, .Lfunc_end51-_ZN9rocsparseL19gebsrmvn_4xn_kernelILj128ELj3ELj64EdEEvi20rocsparse_direction_NS_24const_host_device_scalarIT2_EEPKiS6_PKS3_S8_S4_PS3_21rocsparse_index_base_b
                                        ; -- End function
	.set _ZN9rocsparseL19gebsrmvn_4xn_kernelILj128ELj3ELj64EdEEvi20rocsparse_direction_NS_24const_host_device_scalarIT2_EEPKiS6_PKS3_S8_S4_PS3_21rocsparse_index_base_b.num_vgpr, 56
	.set _ZN9rocsparseL19gebsrmvn_4xn_kernelILj128ELj3ELj64EdEEvi20rocsparse_direction_NS_24const_host_device_scalarIT2_EEPKiS6_PKS3_S8_S4_PS3_21rocsparse_index_base_b.num_agpr, 0
	.set _ZN9rocsparseL19gebsrmvn_4xn_kernelILj128ELj3ELj64EdEEvi20rocsparse_direction_NS_24const_host_device_scalarIT2_EEPKiS6_PKS3_S8_S4_PS3_21rocsparse_index_base_b.numbered_sgpr, 16
	.set _ZN9rocsparseL19gebsrmvn_4xn_kernelILj128ELj3ELj64EdEEvi20rocsparse_direction_NS_24const_host_device_scalarIT2_EEPKiS6_PKS3_S8_S4_PS3_21rocsparse_index_base_b.num_named_barrier, 0
	.set _ZN9rocsparseL19gebsrmvn_4xn_kernelILj128ELj3ELj64EdEEvi20rocsparse_direction_NS_24const_host_device_scalarIT2_EEPKiS6_PKS3_S8_S4_PS3_21rocsparse_index_base_b.private_seg_size, 0
	.set _ZN9rocsparseL19gebsrmvn_4xn_kernelILj128ELj3ELj64EdEEvi20rocsparse_direction_NS_24const_host_device_scalarIT2_EEPKiS6_PKS3_S8_S4_PS3_21rocsparse_index_base_b.uses_vcc, 1
	.set _ZN9rocsparseL19gebsrmvn_4xn_kernelILj128ELj3ELj64EdEEvi20rocsparse_direction_NS_24const_host_device_scalarIT2_EEPKiS6_PKS3_S8_S4_PS3_21rocsparse_index_base_b.uses_flat_scratch, 0
	.set _ZN9rocsparseL19gebsrmvn_4xn_kernelILj128ELj3ELj64EdEEvi20rocsparse_direction_NS_24const_host_device_scalarIT2_EEPKiS6_PKS3_S8_S4_PS3_21rocsparse_index_base_b.has_dyn_sized_stack, 0
	.set _ZN9rocsparseL19gebsrmvn_4xn_kernelILj128ELj3ELj64EdEEvi20rocsparse_direction_NS_24const_host_device_scalarIT2_EEPKiS6_PKS3_S8_S4_PS3_21rocsparse_index_base_b.has_recursion, 0
	.set _ZN9rocsparseL19gebsrmvn_4xn_kernelILj128ELj3ELj64EdEEvi20rocsparse_direction_NS_24const_host_device_scalarIT2_EEPKiS6_PKS3_S8_S4_PS3_21rocsparse_index_base_b.has_indirect_call, 0
	.section	.AMDGPU.csdata,"",@progbits
; Kernel info:
; codeLenInByte = 2264
; TotalNumSgprs: 20
; NumVgprs: 56
; ScratchSize: 0
; MemoryBound: 0
; FloatMode: 240
; IeeeMode: 1
; LDSByteSize: 0 bytes/workgroup (compile time only)
; SGPRBlocks: 2
; VGPRBlocks: 13
; NumSGPRsForWavesPerEU: 20
; NumVGPRsForWavesPerEU: 56
; Occupancy: 4
; WaveLimiterHint : 1
; COMPUTE_PGM_RSRC2:SCRATCH_EN: 0
; COMPUTE_PGM_RSRC2:USER_SGPR: 6
; COMPUTE_PGM_RSRC2:TRAP_HANDLER: 0
; COMPUTE_PGM_RSRC2:TGID_X_EN: 1
; COMPUTE_PGM_RSRC2:TGID_Y_EN: 0
; COMPUTE_PGM_RSRC2:TGID_Z_EN: 0
; COMPUTE_PGM_RSRC2:TIDIG_COMP_CNT: 0
	.section	.text._ZN9rocsparseL19gebsrmvn_4xn_kernelILj128ELj5ELj4EdEEvi20rocsparse_direction_NS_24const_host_device_scalarIT2_EEPKiS6_PKS3_S8_S4_PS3_21rocsparse_index_base_b,"axG",@progbits,_ZN9rocsparseL19gebsrmvn_4xn_kernelILj128ELj5ELj4EdEEvi20rocsparse_direction_NS_24const_host_device_scalarIT2_EEPKiS6_PKS3_S8_S4_PS3_21rocsparse_index_base_b,comdat
	.globl	_ZN9rocsparseL19gebsrmvn_4xn_kernelILj128ELj5ELj4EdEEvi20rocsparse_direction_NS_24const_host_device_scalarIT2_EEPKiS6_PKS3_S8_S4_PS3_21rocsparse_index_base_b ; -- Begin function _ZN9rocsparseL19gebsrmvn_4xn_kernelILj128ELj5ELj4EdEEvi20rocsparse_direction_NS_24const_host_device_scalarIT2_EEPKiS6_PKS3_S8_S4_PS3_21rocsparse_index_base_b
	.p2align	8
	.type	_ZN9rocsparseL19gebsrmvn_4xn_kernelILj128ELj5ELj4EdEEvi20rocsparse_direction_NS_24const_host_device_scalarIT2_EEPKiS6_PKS3_S8_S4_PS3_21rocsparse_index_base_b,@function
_ZN9rocsparseL19gebsrmvn_4xn_kernelILj128ELj5ELj4EdEEvi20rocsparse_direction_NS_24const_host_device_scalarIT2_EEPKiS6_PKS3_S8_S4_PS3_21rocsparse_index_base_b: ; @_ZN9rocsparseL19gebsrmvn_4xn_kernelILj128ELj5ELj4EdEEvi20rocsparse_direction_NS_24const_host_device_scalarIT2_EEPKiS6_PKS3_S8_S4_PS3_21rocsparse_index_base_b
; %bb.0:
	s_load_dwordx2 s[2:3], s[4:5], 0x40
	s_load_dwordx2 s[10:11], s[4:5], 0x8
	;; [unrolled: 1-line block ×3, first 2 shown]
	s_waitcnt lgkmcnt(0)
	s_bitcmp1_b32 s3, 0
	s_cselect_b64 s[12:13], -1, 0
	v_mov_b32_e32 v1, s10
	s_xor_b64 s[8:9], s[12:13], -1
	s_and_b64 vcc, exec, s[12:13]
	v_mov_b32_e32 v2, s11
	s_cbranch_vccnz .LBB52_2
; %bb.1:
	v_mov_b32_e32 v1, s10
	v_mov_b32_e32 v2, s11
	flat_load_dwordx2 v[1:2], v[1:2]
.LBB52_2:
	v_mov_b32_e32 v4, s1
	s_andn2_b64 vcc, exec, s[8:9]
	v_mov_b32_e32 v3, s0
	s_cbranch_vccnz .LBB52_4
; %bb.3:
	v_mov_b32_e32 v4, s1
	v_mov_b32_e32 v3, s0
	flat_load_dwordx2 v[3:4], v[3:4]
.LBB52_4:
	s_waitcnt vmcnt(0) lgkmcnt(0)
	v_cmp_neq_f64_e32 vcc, 0, v[1:2]
	v_cmp_neq_f64_e64 s[0:1], 1.0, v[3:4]
	s_or_b64 s[0:1], vcc, s[0:1]
	s_and_saveexec_b64 s[8:9], s[0:1]
	s_cbranch_execz .LBB52_23
; %bb.5:
	s_load_dwordx2 s[0:1], s[4:5], 0x0
	v_lshrrev_b32_e32 v5, 2, v0
	v_lshl_or_b32 v5, s6, 5, v5
	s_waitcnt lgkmcnt(0)
	v_cmp_gt_i32_e32 vcc, s0, v5
	s_and_b64 exec, exec, vcc
	s_cbranch_execz .LBB52_23
; %bb.6:
	s_load_dwordx8 s[8:15], s[4:5], 0x10
	v_ashrrev_i32_e32 v6, 31, v5
	v_lshlrev_b64 v[6:7], 2, v[5:6]
	v_and_b32_e32 v0, 3, v0
	s_cmp_lg_u32 s1, 0
	s_waitcnt lgkmcnt(0)
	v_mov_b32_e32 v8, s9
	v_add_co_u32_e32 v6, vcc, s8, v6
	v_addc_co_u32_e32 v7, vcc, v8, v7, vcc
	global_load_dwordx2 v[6:7], v[6:7], off
	s_waitcnt vmcnt(0)
	v_subrev_u32_e32 v6, s2, v6
	v_subrev_u32_e32 v22, s2, v7
	v_add_u32_e32 v6, v6, v0
	v_cmp_lt_i32_e64 s[0:1], v6, v22
	s_cbranch_scc0 .LBB52_12
; %bb.7:
	v_mov_b32_e32 v8, 0
	v_mov_b32_e32 v10, 0
	;; [unrolled: 1-line block ×8, first 2 shown]
	s_and_saveexec_b64 s[6:7], s[0:1]
	s_cbranch_execz .LBB52_11
; %bb.8:
	v_mad_u64_u32 v[16:17], s[8:9], v6, 20, 16
	v_mov_b32_e32 v8, 0
	v_mov_b32_e32 v10, 0
	;; [unrolled: 1-line block ×5, first 2 shown]
	s_mov_b64 s[8:9], 0
	v_mov_b32_e32 v7, s11
	v_mov_b32_e32 v19, 0
	;; [unrolled: 1-line block ×8, first 2 shown]
.LBB52_9:                               ; =>This Inner Loop Header: Depth=1
	v_ashrrev_i32_e32 v21, 31, v20
	v_lshlrev_b64 v[25:26], 2, v[20:21]
	v_add_u32_e32 v18, -16, v16
	v_lshlrev_b64 v[27:28], 3, v[18:19]
	v_add_co_u32_e32 v33, vcc, s10, v25
	v_mov_b32_e32 v17, v19
	v_addc_co_u32_e32 v34, vcc, v7, v26, vcc
	v_lshlrev_b64 v[29:30], 3, v[16:17]
	v_add_co_u32_e32 v35, vcc, s12, v27
	v_addc_co_u32_e32 v36, vcc, v23, v28, vcc
	v_add_co_u32_e32 v47, vcc, s12, v29
	v_addc_co_u32_e32 v48, vcc, v23, v30, vcc
	global_load_dword v21, v[33:34], off
	global_load_dwordx4 v[25:28], v[35:36], off
	global_load_dwordx4 v[29:32], v[35:36], off offset:16
	v_add_u32_e32 v18, -12, v16
	v_lshlrev_b64 v[17:18], 3, v[18:19]
	v_mov_b32_e32 v46, v19
	v_add_co_u32_e32 v17, vcc, s12, v17
	v_addc_co_u32_e32 v18, vcc, v23, v18, vcc
	global_load_dwordx4 v[33:36], v[47:48], off
	global_load_dwordx4 v[37:40], v[17:18], off
	v_add_u32_e32 v20, 4, v20
	s_waitcnt vmcnt(4)
	v_subrev_u32_e32 v21, s2, v21
	v_lshl_add_u32 v45, v21, 2, v21
	v_lshlrev_b64 v[41:42], 3, v[45:46]
	v_add_co_u32_e32 v49, vcc, s14, v41
	v_addc_co_u32_e32 v50, vcc, v24, v42, vcc
	global_load_dwordx2 v[49:50], v[49:50], off
	s_waitcnt vmcnt(0)
	v_fma_f64 v[8:9], v[25:26], v[49:50], v[8:9]
	global_load_dwordx4 v[41:44], v[17:18], off offset:16
	v_add_u32_e32 v18, 1, v45
	v_lshlrev_b64 v[25:26], 3, v[18:19]
	v_fma_f64 v[14:15], v[27:28], v[49:50], v[14:15]
	v_add_co_u32_e32 v25, vcc, s14, v25
	v_addc_co_u32_e32 v26, vcc, v24, v26, vcc
	global_load_dwordx2 v[25:26], v[25:26], off
	v_add_u32_e32 v18, -8, v16
	v_lshlrev_b64 v[27:28], 3, v[18:19]
	v_add_u32_e32 v18, 2, v45
	v_fma_f64 v[31:32], v[31:32], v[49:50], v[10:11]
	v_lshlrev_b64 v[10:11], 3, v[18:19]
	v_add_co_u32_e32 v27, vcc, s12, v27
	v_add_u32_e32 v18, -4, v16
	v_addc_co_u32_e32 v28, vcc, v23, v28, vcc
	v_fma_f64 v[29:30], v[29:30], v[49:50], v[12:13]
	v_lshlrev_b64 v[12:13], 3, v[18:19]
	v_add_co_u32_e32 v49, vcc, s14, v10
	v_add_u32_e32 v18, 3, v45
	v_addc_co_u32_e32 v50, vcc, v24, v11, vcc
	v_lshlrev_b64 v[51:52], 3, v[18:19]
	v_add_u32_e32 v18, 4, v45
	v_add_co_u32_e32 v45, vcc, s12, v12
	v_addc_co_u32_e32 v46, vcc, v23, v13, vcc
	v_lshlrev_b64 v[17:18], 3, v[18:19]
	v_add_u32_e32 v16, 0x50, v16
	s_waitcnt vmcnt(0)
	v_fma_f64 v[37:38], v[37:38], v[25:26], v[8:9]
	v_fma_f64 v[39:40], v[39:40], v[25:26], v[14:15]
	global_load_dwordx4 v[8:11], v[27:28], off
	global_load_dwordx4 v[12:15], v[27:28], off offset:16
	global_load_dwordx2 v[53:54], v[49:50], off
	v_fma_f64 v[41:42], v[41:42], v[25:26], v[29:30]
	v_add_co_u32_e32 v29, vcc, s14, v51
	v_fma_f64 v[43:44], v[43:44], v[25:26], v[31:32]
	v_addc_co_u32_e32 v30, vcc, v24, v52, vcc
	global_load_dwordx4 v[25:28], v[45:46], off
	v_add_co_u32_e32 v17, vcc, s14, v17
	v_addc_co_u32_e32 v18, vcc, v24, v18, vcc
	v_cmp_ge_i32_e32 vcc, v20, v22
	s_or_b64 s[8:9], vcc, s[8:9]
	s_waitcnt vmcnt(1)
	v_fma_f64 v[37:38], v[8:9], v[53:54], v[37:38]
	v_fma_f64 v[39:40], v[10:11], v[53:54], v[39:40]
	global_load_dwordx4 v[8:11], v[45:46], off offset:16
	global_load_dwordx2 v[49:50], v[29:30], off
	s_nop 0
	global_load_dwordx4 v[29:32], v[47:48], off offset:16
	global_load_dwordx2 v[45:46], v[17:18], off
	v_fma_f64 v[12:13], v[12:13], v[53:54], v[41:42]
	v_fma_f64 v[14:15], v[14:15], v[53:54], v[43:44]
	s_waitcnt vmcnt(2)
	v_fma_f64 v[17:18], v[25:26], v[49:50], v[37:38]
	v_fma_f64 v[25:26], v[27:28], v[49:50], v[39:40]
	;; [unrolled: 1-line block ×4, first 2 shown]
	s_waitcnt vmcnt(0)
	v_fma_f64 v[8:9], v[33:34], v[45:46], v[17:18]
	v_fma_f64 v[14:15], v[35:36], v[45:46], v[25:26]
	;; [unrolled: 1-line block ×4, first 2 shown]
	s_andn2_b64 exec, exec, s[8:9]
	s_cbranch_execnz .LBB52_9
; %bb.10:
	s_or_b64 exec, exec, s[8:9]
.LBB52_11:
	s_or_b64 exec, exec, s[6:7]
	s_cbranch_execz .LBB52_13
	s_branch .LBB52_18
.LBB52_12:
                                        ; implicit-def: $vgpr8_vgpr9
                                        ; implicit-def: $vgpr10_vgpr11
                                        ; implicit-def: $vgpr12_vgpr13
                                        ; implicit-def: $vgpr14_vgpr15
.LBB52_13:
	v_mov_b32_e32 v8, 0
	v_mov_b32_e32 v10, 0
	;; [unrolled: 1-line block ×8, first 2 shown]
	s_and_saveexec_b64 s[6:7], s[0:1]
	s_cbranch_execz .LBB52_17
; %bb.14:
	v_mad_u64_u32 v[16:17], s[0:1], v6, 20, 19
	v_mov_b32_e32 v8, 0
	v_mov_b32_e32 v10, 0
	;; [unrolled: 1-line block ×5, first 2 shown]
	s_mov_b64 s[0:1], 0
	v_mov_b32_e32 v20, s11
	v_mov_b32_e32 v19, 0
	;; [unrolled: 1-line block ×7, first 2 shown]
.LBB52_15:                              ; =>This Inner Loop Header: Depth=1
	v_ashrrev_i32_e32 v7, 31, v6
	v_lshlrev_b64 v[30:31], 2, v[6:7]
	v_subrev_u32_e32 v18, 19, v16
	v_add_co_u32_e32 v30, vcc, s10, v30
	v_addc_co_u32_e32 v31, vcc, v20, v31, vcc
	global_load_dword v7, v[30:31], off
	v_lshlrev_b64 v[32:33], 3, v[18:19]
	v_add_u32_e32 v24, -14, v16
	v_mov_b32_e32 v25, v19
	v_lshlrev_b64 v[24:25], 3, v[24:25]
	v_add_co_u32_e32 v32, vcc, s12, v32
	v_add_u32_e32 v26, -9, v16
	v_mov_b32_e32 v27, v19
	v_addc_co_u32_e32 v33, vcc, v21, v33, vcc
	v_lshlrev_b64 v[26:27], 3, v[26:27]
	v_add_co_u32_e32 v24, vcc, s12, v24
	v_add_u32_e32 v28, -4, v16
	v_mov_b32_e32 v29, v19
	v_addc_co_u32_e32 v25, vcc, v21, v25, vcc
	v_lshlrev_b64 v[28:29], 3, v[28:29]
	v_add_co_u32_e32 v26, vcc, s12, v26
	v_mov_b32_e32 v17, v19
	v_addc_co_u32_e32 v27, vcc, v21, v27, vcc
	v_lshlrev_b64 v[17:18], 3, v[16:17]
	v_add_co_u32_e32 v28, vcc, s12, v28
	v_addc_co_u32_e32 v29, vcc, v21, v29, vcc
	v_add_co_u32_e32 v34, vcc, s12, v17
	v_addc_co_u32_e32 v35, vcc, v21, v18, vcc
	v_mov_b32_e32 v18, v19
	v_add_u32_e32 v6, 4, v6
	s_waitcnt vmcnt(0)
	v_subrev_u32_e32 v7, s2, v7
	v_lshl_add_u32 v17, v7, 2, v7
	v_lshlrev_b64 v[30:31], 3, v[17:18]
	v_add_u32_e32 v18, 1, v17
	v_add_co_u32_e32 v30, vcc, s14, v30
	v_addc_co_u32_e32 v31, vcc, v23, v31, vcc
	global_load_dwordx2 v[38:39], v[24:25], off
	global_load_dwordx2 v[40:41], v[26:27], off
	global_load_dwordx2 v[42:43], v[28:29], off
	global_load_dwordx2 v[44:45], v[30:31], off
	v_lshlrev_b64 v[36:37], 3, v[18:19]
	v_add_u32_e32 v18, -13, v16
	v_add_co_u32_e32 v36, vcc, s14, v36
	v_addc_co_u32_e32 v37, vcc, v23, v37, vcc
	s_waitcnt vmcnt(0)
	v_fma_f64 v[28:29], v[40:41], v[44:45], v[12:13]
	v_fma_f64 v[30:31], v[42:43], v[44:45], v[10:11]
	global_load_dwordx4 v[10:13], v[32:33], off
	global_load_dwordx4 v[24:27], v[32:33], off offset:16
	v_fma_f64 v[14:15], v[38:39], v[44:45], v[14:15]
	s_waitcnt vmcnt(1)
	v_fma_f64 v[7:8], v[10:11], v[44:45], v[8:9]
	global_load_dwordx2 v[9:10], v[36:37], off
	s_waitcnt vmcnt(0)
	v_fma_f64 v[7:8], v[12:13], v[9:10], v[7:8]
	v_lshlrev_b64 v[11:12], 3, v[18:19]
	v_add_u32_e32 v18, -8, v16
	v_add_co_u32_e32 v11, vcc, s12, v11
	v_lshlrev_b64 v[32:33], 3, v[18:19]
	v_addc_co_u32_e32 v12, vcc, v21, v12, vcc
	v_add_u32_e32 v18, -3, v16
	v_add_co_u32_e32 v32, vcc, s12, v32
	v_lshlrev_b64 v[36:37], 3, v[18:19]
	v_addc_co_u32_e32 v33, vcc, v21, v33, vcc
	v_add_co_u32_e32 v36, vcc, s12, v36
	v_addc_co_u32_e32 v37, vcc, v21, v37, vcc
	global_load_dwordx2 v[38:39], v[11:12], off
	global_load_dwordx2 v[40:41], v[32:33], off
	;; [unrolled: 1-line block ×3, first 2 shown]
	v_add_u32_e32 v18, 2, v17
	s_waitcnt vmcnt(2)
	v_fma_f64 v[11:12], v[38:39], v[9:10], v[14:15]
	s_waitcnt vmcnt(1)
	v_fma_f64 v[13:14], v[40:41], v[9:10], v[28:29]
	v_lshlrev_b64 v[28:29], 3, v[18:19]
	v_add_u32_e32 v18, -12, v16
	s_waitcnt vmcnt(0)
	v_fma_f64 v[9:10], v[42:43], v[9:10], v[30:31]
	v_lshlrev_b64 v[30:31], 3, v[18:19]
	v_add_co_u32_e32 v28, vcc, s14, v28
	v_add_u32_e32 v18, -7, v16
	v_addc_co_u32_e32 v29, vcc, v23, v29, vcc
	v_add_co_u32_e32 v30, vcc, s12, v30
	v_lshlrev_b64 v[32:33], 3, v[18:19]
	v_addc_co_u32_e32 v31, vcc, v21, v31, vcc
	v_add_u32_e32 v18, -2, v16
	v_add_co_u32_e32 v32, vcc, s12, v32
	v_lshlrev_b64 v[36:37], 3, v[18:19]
	v_addc_co_u32_e32 v33, vcc, v21, v33, vcc
	v_add_co_u32_e32 v36, vcc, s12, v36
	v_addc_co_u32_e32 v37, vcc, v21, v37, vcc
	v_add_u32_e32 v18, 3, v17
	global_load_dwordx2 v[42:43], v[28:29], off
	global_load_dwordx2 v[44:45], v[30:31], off
	;; [unrolled: 1-line block ×4, first 2 shown]
	v_lshlrev_b64 v[38:39], 3, v[18:19]
	v_add_u32_e32 v18, -11, v16
	v_add_co_u32_e32 v38, vcc, s14, v38
	v_addc_co_u32_e32 v39, vcc, v23, v39, vcc
	global_load_dwordx2 v[28:29], v[38:39], off
	v_lshlrev_b64 v[40:41], 3, v[18:19]
	v_add_u32_e32 v18, -6, v16
	v_add_co_u32_e32 v40, vcc, s12, v40
	v_addc_co_u32_e32 v41, vcc, v21, v41, vcc
	s_waitcnt vmcnt(4)
	v_fma_f64 v[7:8], v[24:25], v[42:43], v[7:8]
	v_lshlrev_b64 v[24:25], 3, v[18:19]
	v_add_u32_e32 v18, -1, v16
	v_add_co_u32_e32 v24, vcc, s12, v24
	v_addc_co_u32_e32 v25, vcc, v21, v25, vcc
	s_waitcnt vmcnt(3)
	v_fma_f64 v[11:12], v[44:45], v[42:43], v[11:12]
	s_waitcnt vmcnt(2)
	v_fma_f64 v[13:14], v[46:47], v[42:43], v[13:14]
	;; [unrolled: 2-line block ×4, first 2 shown]
	v_lshlrev_b64 v[26:27], 3, v[18:19]
	v_add_u32_e32 v18, -15, v16
	v_lshlrev_b64 v[30:31], 3, v[18:19]
	v_add_co_u32_e32 v26, vcc, s12, v26
	v_addc_co_u32_e32 v27, vcc, v21, v27, vcc
	v_add_co_u32_e32 v30, vcc, s12, v30
	v_addc_co_u32_e32 v31, vcc, v21, v31, vcc
	global_load_dwordx2 v[38:39], v[40:41], off
	global_load_dwordx2 v[42:43], v[24:25], off
	;; [unrolled: 1-line block ×4, first 2 shown]
	v_add_u32_e32 v18, 4, v17
	v_lshlrev_b64 v[17:18], 3, v[18:19]
	v_add_co_u32_e32 v32, vcc, s14, v17
	v_addc_co_u32_e32 v33, vcc, v23, v18, vcc
	v_add_u32_e32 v18, -10, v16
	v_lshlrev_b64 v[17:18], 3, v[18:19]
	v_add_co_u32_e32 v36, vcc, s12, v17
	v_addc_co_u32_e32 v37, vcc, v21, v18, vcc
	v_add_u32_e32 v18, -5, v16
	v_lshlrev_b64 v[17:18], 3, v[18:19]
	v_add_u32_e32 v16, 0x50, v16
	v_add_co_u32_e32 v17, vcc, s12, v17
	v_addc_co_u32_e32 v18, vcc, v21, v18, vcc
	v_cmp_ge_i32_e32 vcc, v6, v22
	s_or_b64 s[0:1], vcc, s[0:1]
	s_waitcnt vmcnt(3)
	v_fma_f64 v[11:12], v[38:39], v[28:29], v[11:12]
	s_waitcnt vmcnt(2)
	v_fma_f64 v[24:25], v[42:43], v[28:29], v[13:14]
	global_load_dwordx2 v[26:27], v[32:33], off
	global_load_dwordx2 v[13:14], v[36:37], off
	;; [unrolled: 1-line block ×4, first 2 shown]
	s_waitcnt vmcnt(5)
	v_fma_f64 v[17:18], v[44:45], v[28:29], v[9:10]
	s_waitcnt vmcnt(3)
	v_fma_f64 v[8:9], v[46:47], v[26:27], v[7:8]
	;; [unrolled: 2-line block ×5, first 2 shown]
	s_andn2_b64 exec, exec, s[0:1]
	s_cbranch_execnz .LBB52_15
; %bb.16:
	s_or_b64 exec, exec, s[0:1]
.LBB52_17:
	s_or_b64 exec, exec, s[6:7]
.LBB52_18:
	v_mov_b32_dpp v6, v8 row_shr:1 row_mask:0xf bank_mask:0xf
	v_mov_b32_dpp v7, v9 row_shr:1 row_mask:0xf bank_mask:0xf
	v_add_f64 v[6:7], v[8:9], v[6:7]
	v_mov_b32_dpp v8, v14 row_shr:1 row_mask:0xf bank_mask:0xf
	v_mov_b32_dpp v9, v15 row_shr:1 row_mask:0xf bank_mask:0xf
	v_add_f64 v[8:9], v[14:15], v[8:9]
	;; [unrolled: 3-line block ×4, first 2 shown]
	v_mov_b32_dpp v12, v6 row_shr:2 row_mask:0xf bank_mask:0xf
	v_mov_b32_dpp v13, v7 row_shr:2 row_mask:0xf bank_mask:0xf
	;; [unrolled: 1-line block ×6, first 2 shown]
	v_cmp_eq_u32_e32 vcc, 3, v0
	v_mov_b32_dpp v18, v16 row_shr:2 row_mask:0xf bank_mask:0xf
	v_mov_b32_dpp v19, v17 row_shr:2 row_mask:0xf bank_mask:0xf
	s_and_b64 exec, exec, vcc
	s_cbranch_execz .LBB52_23
; %bb.19:
	v_add_f64 v[12:13], v[6:7], v[12:13]
	v_add_f64 v[10:11], v[8:9], v[10:11]
	;; [unrolled: 1-line block ×4, first 2 shown]
	v_cmp_eq_f64_e32 vcc, 0, v[3:4]
	s_load_dwordx2 s[0:1], s[4:5], 0x38
	s_and_saveexec_b64 s[2:3], vcc
	s_xor_b64 s[2:3], exec, s[2:3]
	s_cbranch_execz .LBB52_21
; %bb.20:
	v_mul_f64 v[12:13], v[1:2], v[12:13]
	v_mul_f64 v[14:15], v[1:2], v[10:11]
	v_lshlrev_b32_e32 v16, 2, v5
	v_mul_f64 v[3:4], v[1:2], v[6:7]
	v_mul_f64 v[5:6], v[1:2], v[8:9]
	v_ashrrev_i32_e32 v17, 31, v16
	v_lshlrev_b64 v[0:1], 3, v[16:17]
	s_waitcnt lgkmcnt(0)
	v_mov_b32_e32 v2, s1
	v_add_co_u32_e32 v0, vcc, s0, v0
	v_addc_co_u32_e32 v1, vcc, v2, v1, vcc
	global_store_dwordx4 v[0:1], v[12:15], off
	global_store_dwordx4 v[0:1], v[3:6], off offset:16
                                        ; implicit-def: $vgpr5
                                        ; implicit-def: $vgpr1_vgpr2
                                        ; implicit-def: $vgpr12_vgpr13
                                        ; implicit-def: $vgpr3_vgpr4
                                        ; implicit-def: $vgpr10_vgpr11
                                        ; implicit-def: $vgpr6_vgpr7
                                        ; implicit-def: $vgpr8_vgpr9
.LBB52_21:
	s_andn2_saveexec_b64 s[2:3], s[2:3]
	s_cbranch_execz .LBB52_23
; %bb.22:
	v_lshlrev_b32_e32 v14, 2, v5
	v_ashrrev_i32_e32 v15, 31, v14
	v_lshlrev_b64 v[14:15], 3, v[14:15]
	s_waitcnt lgkmcnt(0)
	v_mov_b32_e32 v0, s1
	v_add_co_u32_e32 v22, vcc, s0, v14
	v_addc_co_u32_e32 v23, vcc, v0, v15, vcc
	global_load_dwordx4 v[14:17], v[22:23], off
	global_load_dwordx4 v[18:21], v[22:23], off offset:16
	v_mul_f64 v[12:13], v[1:2], v[12:13]
	v_mul_f64 v[10:11], v[1:2], v[10:11]
	;; [unrolled: 1-line block ×4, first 2 shown]
	s_waitcnt vmcnt(1)
	v_fma_f64 v[5:6], v[3:4], v[14:15], v[12:13]
	v_fma_f64 v[7:8], v[3:4], v[16:17], v[10:11]
	s_waitcnt vmcnt(0)
	v_fma_f64 v[0:1], v[3:4], v[18:19], v[24:25]
	v_fma_f64 v[2:3], v[3:4], v[20:21], v[26:27]
	global_store_dwordx4 v[22:23], v[5:8], off
	global_store_dwordx4 v[22:23], v[0:3], off offset:16
.LBB52_23:
	s_endpgm
	.section	.rodata,"a",@progbits
	.p2align	6, 0x0
	.amdhsa_kernel _ZN9rocsparseL19gebsrmvn_4xn_kernelILj128ELj5ELj4EdEEvi20rocsparse_direction_NS_24const_host_device_scalarIT2_EEPKiS6_PKS3_S8_S4_PS3_21rocsparse_index_base_b
		.amdhsa_group_segment_fixed_size 0
		.amdhsa_private_segment_fixed_size 0
		.amdhsa_kernarg_size 72
		.amdhsa_user_sgpr_count 6
		.amdhsa_user_sgpr_private_segment_buffer 1
		.amdhsa_user_sgpr_dispatch_ptr 0
		.amdhsa_user_sgpr_queue_ptr 0
		.amdhsa_user_sgpr_kernarg_segment_ptr 1
		.amdhsa_user_sgpr_dispatch_id 0
		.amdhsa_user_sgpr_flat_scratch_init 0
		.amdhsa_user_sgpr_private_segment_size 0
		.amdhsa_uses_dynamic_stack 0
		.amdhsa_system_sgpr_private_segment_wavefront_offset 0
		.amdhsa_system_sgpr_workgroup_id_x 1
		.amdhsa_system_sgpr_workgroup_id_y 0
		.amdhsa_system_sgpr_workgroup_id_z 0
		.amdhsa_system_sgpr_workgroup_info 0
		.amdhsa_system_vgpr_workitem_id 0
		.amdhsa_next_free_vgpr 55
		.amdhsa_next_free_sgpr 16
		.amdhsa_reserve_vcc 1
		.amdhsa_reserve_flat_scratch 0
		.amdhsa_float_round_mode_32 0
		.amdhsa_float_round_mode_16_64 0
		.amdhsa_float_denorm_mode_32 3
		.amdhsa_float_denorm_mode_16_64 3
		.amdhsa_dx10_clamp 1
		.amdhsa_ieee_mode 1
		.amdhsa_fp16_overflow 0
		.amdhsa_exception_fp_ieee_invalid_op 0
		.amdhsa_exception_fp_denorm_src 0
		.amdhsa_exception_fp_ieee_div_zero 0
		.amdhsa_exception_fp_ieee_overflow 0
		.amdhsa_exception_fp_ieee_underflow 0
		.amdhsa_exception_fp_ieee_inexact 0
		.amdhsa_exception_int_div_zero 0
	.end_amdhsa_kernel
	.section	.text._ZN9rocsparseL19gebsrmvn_4xn_kernelILj128ELj5ELj4EdEEvi20rocsparse_direction_NS_24const_host_device_scalarIT2_EEPKiS6_PKS3_S8_S4_PS3_21rocsparse_index_base_b,"axG",@progbits,_ZN9rocsparseL19gebsrmvn_4xn_kernelILj128ELj5ELj4EdEEvi20rocsparse_direction_NS_24const_host_device_scalarIT2_EEPKiS6_PKS3_S8_S4_PS3_21rocsparse_index_base_b,comdat
.Lfunc_end52:
	.size	_ZN9rocsparseL19gebsrmvn_4xn_kernelILj128ELj5ELj4EdEEvi20rocsparse_direction_NS_24const_host_device_scalarIT2_EEPKiS6_PKS3_S8_S4_PS3_21rocsparse_index_base_b, .Lfunc_end52-_ZN9rocsparseL19gebsrmvn_4xn_kernelILj128ELj5ELj4EdEEvi20rocsparse_direction_NS_24const_host_device_scalarIT2_EEPKiS6_PKS3_S8_S4_PS3_21rocsparse_index_base_b
                                        ; -- End function
	.set _ZN9rocsparseL19gebsrmvn_4xn_kernelILj128ELj5ELj4EdEEvi20rocsparse_direction_NS_24const_host_device_scalarIT2_EEPKiS6_PKS3_S8_S4_PS3_21rocsparse_index_base_b.num_vgpr, 55
	.set _ZN9rocsparseL19gebsrmvn_4xn_kernelILj128ELj5ELj4EdEEvi20rocsparse_direction_NS_24const_host_device_scalarIT2_EEPKiS6_PKS3_S8_S4_PS3_21rocsparse_index_base_b.num_agpr, 0
	.set _ZN9rocsparseL19gebsrmvn_4xn_kernelILj128ELj5ELj4EdEEvi20rocsparse_direction_NS_24const_host_device_scalarIT2_EEPKiS6_PKS3_S8_S4_PS3_21rocsparse_index_base_b.numbered_sgpr, 16
	.set _ZN9rocsparseL19gebsrmvn_4xn_kernelILj128ELj5ELj4EdEEvi20rocsparse_direction_NS_24const_host_device_scalarIT2_EEPKiS6_PKS3_S8_S4_PS3_21rocsparse_index_base_b.num_named_barrier, 0
	.set _ZN9rocsparseL19gebsrmvn_4xn_kernelILj128ELj5ELj4EdEEvi20rocsparse_direction_NS_24const_host_device_scalarIT2_EEPKiS6_PKS3_S8_S4_PS3_21rocsparse_index_base_b.private_seg_size, 0
	.set _ZN9rocsparseL19gebsrmvn_4xn_kernelILj128ELj5ELj4EdEEvi20rocsparse_direction_NS_24const_host_device_scalarIT2_EEPKiS6_PKS3_S8_S4_PS3_21rocsparse_index_base_b.uses_vcc, 1
	.set _ZN9rocsparseL19gebsrmvn_4xn_kernelILj128ELj5ELj4EdEEvi20rocsparse_direction_NS_24const_host_device_scalarIT2_EEPKiS6_PKS3_S8_S4_PS3_21rocsparse_index_base_b.uses_flat_scratch, 0
	.set _ZN9rocsparseL19gebsrmvn_4xn_kernelILj128ELj5ELj4EdEEvi20rocsparse_direction_NS_24const_host_device_scalarIT2_EEPKiS6_PKS3_S8_S4_PS3_21rocsparse_index_base_b.has_dyn_sized_stack, 0
	.set _ZN9rocsparseL19gebsrmvn_4xn_kernelILj128ELj5ELj4EdEEvi20rocsparse_direction_NS_24const_host_device_scalarIT2_EEPKiS6_PKS3_S8_S4_PS3_21rocsparse_index_base_b.has_recursion, 0
	.set _ZN9rocsparseL19gebsrmvn_4xn_kernelILj128ELj5ELj4EdEEvi20rocsparse_direction_NS_24const_host_device_scalarIT2_EEPKiS6_PKS3_S8_S4_PS3_21rocsparse_index_base_b.has_indirect_call, 0
	.section	.AMDGPU.csdata,"",@progbits
; Kernel info:
; codeLenInByte = 2448
; TotalNumSgprs: 20
; NumVgprs: 55
; ScratchSize: 0
; MemoryBound: 1
; FloatMode: 240
; IeeeMode: 1
; LDSByteSize: 0 bytes/workgroup (compile time only)
; SGPRBlocks: 2
; VGPRBlocks: 13
; NumSGPRsForWavesPerEU: 20
; NumVGPRsForWavesPerEU: 55
; Occupancy: 4
; WaveLimiterHint : 1
; COMPUTE_PGM_RSRC2:SCRATCH_EN: 0
; COMPUTE_PGM_RSRC2:USER_SGPR: 6
; COMPUTE_PGM_RSRC2:TRAP_HANDLER: 0
; COMPUTE_PGM_RSRC2:TGID_X_EN: 1
; COMPUTE_PGM_RSRC2:TGID_Y_EN: 0
; COMPUTE_PGM_RSRC2:TGID_Z_EN: 0
; COMPUTE_PGM_RSRC2:TIDIG_COMP_CNT: 0
	.section	.text._ZN9rocsparseL19gebsrmvn_4xn_kernelILj128ELj5ELj8EdEEvi20rocsparse_direction_NS_24const_host_device_scalarIT2_EEPKiS6_PKS3_S8_S4_PS3_21rocsparse_index_base_b,"axG",@progbits,_ZN9rocsparseL19gebsrmvn_4xn_kernelILj128ELj5ELj8EdEEvi20rocsparse_direction_NS_24const_host_device_scalarIT2_EEPKiS6_PKS3_S8_S4_PS3_21rocsparse_index_base_b,comdat
	.globl	_ZN9rocsparseL19gebsrmvn_4xn_kernelILj128ELj5ELj8EdEEvi20rocsparse_direction_NS_24const_host_device_scalarIT2_EEPKiS6_PKS3_S8_S4_PS3_21rocsparse_index_base_b ; -- Begin function _ZN9rocsparseL19gebsrmvn_4xn_kernelILj128ELj5ELj8EdEEvi20rocsparse_direction_NS_24const_host_device_scalarIT2_EEPKiS6_PKS3_S8_S4_PS3_21rocsparse_index_base_b
	.p2align	8
	.type	_ZN9rocsparseL19gebsrmvn_4xn_kernelILj128ELj5ELj8EdEEvi20rocsparse_direction_NS_24const_host_device_scalarIT2_EEPKiS6_PKS3_S8_S4_PS3_21rocsparse_index_base_b,@function
_ZN9rocsparseL19gebsrmvn_4xn_kernelILj128ELj5ELj8EdEEvi20rocsparse_direction_NS_24const_host_device_scalarIT2_EEPKiS6_PKS3_S8_S4_PS3_21rocsparse_index_base_b: ; @_ZN9rocsparseL19gebsrmvn_4xn_kernelILj128ELj5ELj8EdEEvi20rocsparse_direction_NS_24const_host_device_scalarIT2_EEPKiS6_PKS3_S8_S4_PS3_21rocsparse_index_base_b
; %bb.0:
	s_load_dwordx2 s[2:3], s[4:5], 0x40
	s_load_dwordx2 s[10:11], s[4:5], 0x8
	;; [unrolled: 1-line block ×3, first 2 shown]
	s_waitcnt lgkmcnt(0)
	s_bitcmp1_b32 s3, 0
	s_cselect_b64 s[12:13], -1, 0
	v_mov_b32_e32 v1, s10
	s_xor_b64 s[8:9], s[12:13], -1
	s_and_b64 vcc, exec, s[12:13]
	v_mov_b32_e32 v2, s11
	s_cbranch_vccnz .LBB53_2
; %bb.1:
	v_mov_b32_e32 v1, s10
	v_mov_b32_e32 v2, s11
	flat_load_dwordx2 v[1:2], v[1:2]
.LBB53_2:
	v_mov_b32_e32 v4, s1
	s_andn2_b64 vcc, exec, s[8:9]
	v_mov_b32_e32 v3, s0
	s_cbranch_vccnz .LBB53_4
; %bb.3:
	v_mov_b32_e32 v4, s1
	v_mov_b32_e32 v3, s0
	flat_load_dwordx2 v[3:4], v[3:4]
.LBB53_4:
	s_waitcnt vmcnt(0) lgkmcnt(0)
	v_cmp_neq_f64_e32 vcc, 0, v[1:2]
	v_cmp_neq_f64_e64 s[0:1], 1.0, v[3:4]
	s_or_b64 s[0:1], vcc, s[0:1]
	s_and_saveexec_b64 s[8:9], s[0:1]
	s_cbranch_execz .LBB53_23
; %bb.5:
	s_load_dwordx2 s[0:1], s[4:5], 0x0
	v_lshrrev_b32_e32 v5, 3, v0
	v_lshl_or_b32 v5, s6, 4, v5
	s_waitcnt lgkmcnt(0)
	v_cmp_gt_i32_e32 vcc, s0, v5
	s_and_b64 exec, exec, vcc
	s_cbranch_execz .LBB53_23
; %bb.6:
	s_load_dwordx8 s[8:15], s[4:5], 0x10
	v_ashrrev_i32_e32 v6, 31, v5
	v_lshlrev_b64 v[6:7], 2, v[5:6]
	v_and_b32_e32 v0, 7, v0
	s_cmp_lg_u32 s1, 0
	s_waitcnt lgkmcnt(0)
	v_mov_b32_e32 v8, s9
	v_add_co_u32_e32 v6, vcc, s8, v6
	v_addc_co_u32_e32 v7, vcc, v8, v7, vcc
	global_load_dwordx2 v[6:7], v[6:7], off
	s_waitcnt vmcnt(0)
	v_subrev_u32_e32 v6, s2, v6
	v_subrev_u32_e32 v22, s2, v7
	v_add_u32_e32 v6, v6, v0
	v_cmp_lt_i32_e64 s[0:1], v6, v22
	s_cbranch_scc0 .LBB53_12
; %bb.7:
	v_mov_b32_e32 v10, 0
	v_mov_b32_e32 v8, 0
	;; [unrolled: 1-line block ×8, first 2 shown]
	s_and_saveexec_b64 s[6:7], s[0:1]
	s_cbranch_execz .LBB53_11
; %bb.8:
	v_mad_u64_u32 v[16:17], s[8:9], v6, 20, 16
	v_mov_b32_e32 v10, 0
	v_mov_b32_e32 v8, 0
	;; [unrolled: 1-line block ×5, first 2 shown]
	s_mov_b64 s[8:9], 0
	v_mov_b32_e32 v7, s11
	v_mov_b32_e32 v19, 0
	;; [unrolled: 1-line block ×8, first 2 shown]
.LBB53_9:                               ; =>This Inner Loop Header: Depth=1
	v_ashrrev_i32_e32 v21, 31, v20
	v_lshlrev_b64 v[25:26], 2, v[20:21]
	v_add_u32_e32 v18, -16, v16
	v_lshlrev_b64 v[27:28], 3, v[18:19]
	v_add_co_u32_e32 v33, vcc, s10, v25
	v_mov_b32_e32 v17, v19
	v_addc_co_u32_e32 v34, vcc, v7, v26, vcc
	v_lshlrev_b64 v[29:30], 3, v[16:17]
	v_add_co_u32_e32 v35, vcc, s12, v27
	v_addc_co_u32_e32 v36, vcc, v23, v28, vcc
	v_add_co_u32_e32 v47, vcc, s12, v29
	v_addc_co_u32_e32 v48, vcc, v23, v30, vcc
	global_load_dword v21, v[33:34], off
	global_load_dwordx4 v[25:28], v[35:36], off
	global_load_dwordx4 v[29:32], v[35:36], off offset:16
	v_add_u32_e32 v18, -12, v16
	v_lshlrev_b64 v[17:18], 3, v[18:19]
	v_mov_b32_e32 v46, v19
	v_add_co_u32_e32 v17, vcc, s12, v17
	v_addc_co_u32_e32 v18, vcc, v23, v18, vcc
	global_load_dwordx4 v[33:36], v[47:48], off
	global_load_dwordx4 v[37:40], v[17:18], off
	v_add_u32_e32 v20, 8, v20
	s_waitcnt vmcnt(4)
	v_subrev_u32_e32 v21, s2, v21
	v_lshl_add_u32 v45, v21, 2, v21
	v_lshlrev_b64 v[41:42], 3, v[45:46]
	v_add_co_u32_e32 v49, vcc, s14, v41
	v_addc_co_u32_e32 v50, vcc, v24, v42, vcc
	global_load_dwordx2 v[49:50], v[49:50], off
	s_waitcnt vmcnt(0)
	v_fma_f64 v[10:11], v[25:26], v[49:50], v[10:11]
	global_load_dwordx4 v[41:44], v[17:18], off offset:16
	v_add_u32_e32 v18, 1, v45
	v_lshlrev_b64 v[25:26], 3, v[18:19]
	v_fma_f64 v[14:15], v[27:28], v[49:50], v[14:15]
	v_add_co_u32_e32 v25, vcc, s14, v25
	v_addc_co_u32_e32 v26, vcc, v24, v26, vcc
	global_load_dwordx2 v[25:26], v[25:26], off
	v_add_u32_e32 v18, -8, v16
	v_lshlrev_b64 v[27:28], 3, v[18:19]
	v_add_u32_e32 v18, 2, v45
	v_fma_f64 v[31:32], v[31:32], v[49:50], v[8:9]
	v_lshlrev_b64 v[8:9], 3, v[18:19]
	v_add_co_u32_e32 v27, vcc, s12, v27
	v_add_u32_e32 v18, -4, v16
	v_addc_co_u32_e32 v28, vcc, v23, v28, vcc
	v_fma_f64 v[29:30], v[29:30], v[49:50], v[12:13]
	v_lshlrev_b64 v[12:13], 3, v[18:19]
	v_add_co_u32_e32 v49, vcc, s14, v8
	v_add_u32_e32 v18, 3, v45
	v_addc_co_u32_e32 v50, vcc, v24, v9, vcc
	v_lshlrev_b64 v[51:52], 3, v[18:19]
	v_add_u32_e32 v18, 4, v45
	v_add_co_u32_e32 v45, vcc, s12, v12
	v_addc_co_u32_e32 v46, vcc, v23, v13, vcc
	v_lshlrev_b64 v[17:18], 3, v[18:19]
	v_add_u32_e32 v16, 0xa0, v16
	s_waitcnt vmcnt(0)
	v_fma_f64 v[37:38], v[37:38], v[25:26], v[10:11]
	v_fma_f64 v[39:40], v[39:40], v[25:26], v[14:15]
	global_load_dwordx4 v[8:11], v[27:28], off
	global_load_dwordx4 v[12:15], v[27:28], off offset:16
	global_load_dwordx2 v[53:54], v[49:50], off
	v_fma_f64 v[41:42], v[41:42], v[25:26], v[29:30]
	v_add_co_u32_e32 v29, vcc, s14, v51
	v_fma_f64 v[43:44], v[43:44], v[25:26], v[31:32]
	v_addc_co_u32_e32 v30, vcc, v24, v52, vcc
	global_load_dwordx4 v[25:28], v[45:46], off
	v_add_co_u32_e32 v17, vcc, s14, v17
	v_addc_co_u32_e32 v18, vcc, v24, v18, vcc
	v_cmp_ge_i32_e32 vcc, v20, v22
	s_or_b64 s[8:9], vcc, s[8:9]
	s_waitcnt vmcnt(1)
	v_fma_f64 v[37:38], v[8:9], v[53:54], v[37:38]
	v_fma_f64 v[39:40], v[10:11], v[53:54], v[39:40]
	global_load_dwordx4 v[8:11], v[45:46], off offset:16
	global_load_dwordx2 v[49:50], v[29:30], off
	s_nop 0
	global_load_dwordx4 v[29:32], v[47:48], off offset:16
	global_load_dwordx2 v[45:46], v[17:18], off
	v_fma_f64 v[12:13], v[12:13], v[53:54], v[41:42]
	v_fma_f64 v[14:15], v[14:15], v[53:54], v[43:44]
	s_waitcnt vmcnt(2)
	v_fma_f64 v[17:18], v[25:26], v[49:50], v[37:38]
	v_fma_f64 v[25:26], v[27:28], v[49:50], v[39:40]
	;; [unrolled: 1-line block ×4, first 2 shown]
	s_waitcnt vmcnt(0)
	v_fma_f64 v[10:11], v[33:34], v[45:46], v[17:18]
	v_fma_f64 v[14:15], v[35:36], v[45:46], v[25:26]
	;; [unrolled: 1-line block ×4, first 2 shown]
	s_andn2_b64 exec, exec, s[8:9]
	s_cbranch_execnz .LBB53_9
; %bb.10:
	s_or_b64 exec, exec, s[8:9]
.LBB53_11:
	s_or_b64 exec, exec, s[6:7]
	s_cbranch_execz .LBB53_13
	s_branch .LBB53_18
.LBB53_12:
                                        ; implicit-def: $vgpr10_vgpr11
                                        ; implicit-def: $vgpr8_vgpr9
                                        ; implicit-def: $vgpr12_vgpr13
                                        ; implicit-def: $vgpr14_vgpr15
.LBB53_13:
	v_mov_b32_e32 v10, 0
	v_mov_b32_e32 v8, 0
	;; [unrolled: 1-line block ×8, first 2 shown]
	s_and_saveexec_b64 s[6:7], s[0:1]
	s_cbranch_execz .LBB53_17
; %bb.14:
	v_mad_u64_u32 v[16:17], s[0:1], v6, 20, 19
	v_mov_b32_e32 v10, 0
	v_mov_b32_e32 v8, 0
	;; [unrolled: 1-line block ×5, first 2 shown]
	s_mov_b64 s[0:1], 0
	v_mov_b32_e32 v20, s11
	v_mov_b32_e32 v19, 0
	;; [unrolled: 1-line block ×7, first 2 shown]
.LBB53_15:                              ; =>This Inner Loop Header: Depth=1
	v_ashrrev_i32_e32 v7, 31, v6
	v_lshlrev_b64 v[30:31], 2, v[6:7]
	v_subrev_u32_e32 v18, 19, v16
	v_add_co_u32_e32 v30, vcc, s10, v30
	v_addc_co_u32_e32 v31, vcc, v20, v31, vcc
	global_load_dword v7, v[30:31], off
	v_lshlrev_b64 v[32:33], 3, v[18:19]
	v_add_u32_e32 v24, -14, v16
	v_mov_b32_e32 v25, v19
	v_lshlrev_b64 v[24:25], 3, v[24:25]
	v_add_co_u32_e32 v32, vcc, s12, v32
	v_add_u32_e32 v26, -9, v16
	v_mov_b32_e32 v27, v19
	v_addc_co_u32_e32 v33, vcc, v21, v33, vcc
	v_lshlrev_b64 v[26:27], 3, v[26:27]
	v_add_co_u32_e32 v24, vcc, s12, v24
	v_add_u32_e32 v28, -4, v16
	v_mov_b32_e32 v29, v19
	v_addc_co_u32_e32 v25, vcc, v21, v25, vcc
	v_lshlrev_b64 v[28:29], 3, v[28:29]
	v_add_co_u32_e32 v26, vcc, s12, v26
	v_mov_b32_e32 v17, v19
	v_addc_co_u32_e32 v27, vcc, v21, v27, vcc
	v_lshlrev_b64 v[17:18], 3, v[16:17]
	v_add_co_u32_e32 v28, vcc, s12, v28
	v_addc_co_u32_e32 v29, vcc, v21, v29, vcc
	v_add_co_u32_e32 v34, vcc, s12, v17
	v_addc_co_u32_e32 v35, vcc, v21, v18, vcc
	v_mov_b32_e32 v18, v19
	v_add_u32_e32 v6, 8, v6
	s_waitcnt vmcnt(0)
	v_subrev_u32_e32 v7, s2, v7
	v_lshl_add_u32 v17, v7, 2, v7
	v_lshlrev_b64 v[30:31], 3, v[17:18]
	v_add_u32_e32 v18, 1, v17
	v_add_co_u32_e32 v30, vcc, s14, v30
	v_addc_co_u32_e32 v31, vcc, v23, v31, vcc
	global_load_dwordx2 v[38:39], v[24:25], off
	global_load_dwordx2 v[40:41], v[26:27], off
	;; [unrolled: 1-line block ×4, first 2 shown]
	v_lshlrev_b64 v[36:37], 3, v[18:19]
	v_add_u32_e32 v18, -13, v16
	v_add_co_u32_e32 v36, vcc, s14, v36
	v_addc_co_u32_e32 v37, vcc, v23, v37, vcc
	s_waitcnt vmcnt(0)
	v_fma_f64 v[28:29], v[38:39], v[44:45], v[14:15]
	v_fma_f64 v[30:31], v[40:41], v[44:45], v[12:13]
	global_load_dwordx4 v[12:15], v[32:33], off
	global_load_dwordx4 v[24:27], v[32:33], off offset:16
	v_fma_f64 v[7:8], v[42:43], v[44:45], v[8:9]
	s_waitcnt vmcnt(1)
	v_fma_f64 v[9:10], v[12:13], v[44:45], v[10:11]
	global_load_dwordx2 v[11:12], v[36:37], off
	s_waitcnt vmcnt(0)
	v_fma_f64 v[9:10], v[14:15], v[11:12], v[9:10]
	v_lshlrev_b64 v[13:14], 3, v[18:19]
	v_add_u32_e32 v18, -8, v16
	v_add_co_u32_e32 v13, vcc, s12, v13
	v_lshlrev_b64 v[32:33], 3, v[18:19]
	v_addc_co_u32_e32 v14, vcc, v21, v14, vcc
	v_add_u32_e32 v18, -3, v16
	v_add_co_u32_e32 v32, vcc, s12, v32
	v_lshlrev_b64 v[36:37], 3, v[18:19]
	v_addc_co_u32_e32 v33, vcc, v21, v33, vcc
	v_add_co_u32_e32 v36, vcc, s12, v36
	v_addc_co_u32_e32 v37, vcc, v21, v37, vcc
	global_load_dwordx2 v[38:39], v[13:14], off
	global_load_dwordx2 v[40:41], v[32:33], off
	;; [unrolled: 1-line block ×3, first 2 shown]
	v_add_u32_e32 v18, 2, v17
	s_waitcnt vmcnt(2)
	v_fma_f64 v[13:14], v[38:39], v[11:12], v[28:29]
	s_waitcnt vmcnt(1)
	v_fma_f64 v[28:29], v[40:41], v[11:12], v[30:31]
	v_lshlrev_b64 v[30:31], 3, v[18:19]
	v_add_u32_e32 v18, -12, v16
	s_waitcnt vmcnt(0)
	v_fma_f64 v[7:8], v[42:43], v[11:12], v[7:8]
	v_lshlrev_b64 v[11:12], 3, v[18:19]
	v_add_co_u32_e32 v30, vcc, s14, v30
	v_add_u32_e32 v18, -7, v16
	v_addc_co_u32_e32 v31, vcc, v23, v31, vcc
	v_add_co_u32_e32 v11, vcc, s12, v11
	v_lshlrev_b64 v[32:33], 3, v[18:19]
	v_addc_co_u32_e32 v12, vcc, v21, v12, vcc
	v_add_u32_e32 v18, -2, v16
	v_add_co_u32_e32 v32, vcc, s12, v32
	v_lshlrev_b64 v[36:37], 3, v[18:19]
	v_addc_co_u32_e32 v33, vcc, v21, v33, vcc
	v_add_co_u32_e32 v36, vcc, s12, v36
	v_addc_co_u32_e32 v37, vcc, v21, v37, vcc
	global_load_dwordx2 v[42:43], v[30:31], off
	global_load_dwordx2 v[44:45], v[11:12], off
	;; [unrolled: 1-line block ×4, first 2 shown]
	v_add_u32_e32 v18, 3, v17
	v_lshlrev_b64 v[38:39], 3, v[18:19]
	v_add_u32_e32 v18, -11, v16
	v_add_co_u32_e32 v38, vcc, s14, v38
	v_addc_co_u32_e32 v39, vcc, v23, v39, vcc
	v_lshlrev_b64 v[40:41], 3, v[18:19]
	v_add_u32_e32 v18, -6, v16
	v_add_co_u32_e32 v40, vcc, s12, v40
	v_addc_co_u32_e32 v41, vcc, v21, v41, vcc
	s_waitcnt vmcnt(3)
	v_fma_f64 v[9:10], v[24:25], v[42:43], v[9:10]
	s_waitcnt vmcnt(2)
	v_fma_f64 v[11:12], v[44:45], v[42:43], v[13:14]
	;; [unrolled: 2-line block ×3, first 2 shown]
	global_load_dwordx2 v[28:29], v[38:39], off
	v_lshlrev_b64 v[24:25], 3, v[18:19]
	v_add_u32_e32 v18, -1, v16
	v_add_co_u32_e32 v24, vcc, s12, v24
	v_addc_co_u32_e32 v25, vcc, v21, v25, vcc
	s_waitcnt vmcnt(1)
	v_fma_f64 v[7:8], v[48:49], v[42:43], v[7:8]
	s_waitcnt vmcnt(0)
	v_fma_f64 v[9:10], v[26:27], v[28:29], v[9:10]
	v_lshlrev_b64 v[26:27], 3, v[18:19]
	v_add_u32_e32 v18, -15, v16
	v_lshlrev_b64 v[30:31], 3, v[18:19]
	v_add_co_u32_e32 v26, vcc, s12, v26
	v_addc_co_u32_e32 v27, vcc, v21, v27, vcc
	v_add_co_u32_e32 v30, vcc, s12, v30
	v_addc_co_u32_e32 v31, vcc, v21, v31, vcc
	global_load_dwordx2 v[38:39], v[40:41], off
	global_load_dwordx2 v[42:43], v[24:25], off
	;; [unrolled: 1-line block ×4, first 2 shown]
	v_add_u32_e32 v18, 4, v17
	v_lshlrev_b64 v[17:18], 3, v[18:19]
	v_add_co_u32_e32 v32, vcc, s14, v17
	v_addc_co_u32_e32 v33, vcc, v23, v18, vcc
	v_add_u32_e32 v18, -10, v16
	v_lshlrev_b64 v[17:18], 3, v[18:19]
	v_add_co_u32_e32 v36, vcc, s12, v17
	v_addc_co_u32_e32 v37, vcc, v21, v18, vcc
	v_add_u32_e32 v18, -5, v16
	v_lshlrev_b64 v[17:18], 3, v[18:19]
	v_add_u32_e32 v16, 0xa0, v16
	v_add_co_u32_e32 v17, vcc, s12, v17
	v_addc_co_u32_e32 v18, vcc, v21, v18, vcc
	v_cmp_ge_i32_e32 vcc, v6, v22
	s_or_b64 s[0:1], vcc, s[0:1]
	s_waitcnt vmcnt(3)
	v_fma_f64 v[24:25], v[38:39], v[28:29], v[11:12]
	s_waitcnt vmcnt(2)
	v_fma_f64 v[12:13], v[42:43], v[28:29], v[13:14]
	global_load_dwordx2 v[26:27], v[32:33], off
	global_load_dwordx2 v[14:15], v[36:37], off
	;; [unrolled: 1-line block ×4, first 2 shown]
	s_waitcnt vmcnt(5)
	v_fma_f64 v[7:8], v[44:45], v[28:29], v[7:8]
	s_waitcnt vmcnt(3)
	v_fma_f64 v[10:11], v[46:47], v[26:27], v[9:10]
	;; [unrolled: 2-line block ×5, first 2 shown]
	s_andn2_b64 exec, exec, s[0:1]
	s_cbranch_execnz .LBB53_15
; %bb.16:
	s_or_b64 exec, exec, s[0:1]
.LBB53_17:
	s_or_b64 exec, exec, s[6:7]
.LBB53_18:
	v_mov_b32_dpp v6, v10 row_shr:1 row_mask:0xf bank_mask:0xf
	v_mov_b32_dpp v7, v11 row_shr:1 row_mask:0xf bank_mask:0xf
	v_add_f64 v[6:7], v[10:11], v[6:7]
	v_mov_b32_dpp v10, v14 row_shr:1 row_mask:0xf bank_mask:0xf
	v_mov_b32_dpp v11, v15 row_shr:1 row_mask:0xf bank_mask:0xf
	;; [unrolled: 1-line block ×4, first 2 shown]
	v_add_f64 v[10:11], v[14:15], v[10:11]
	v_add_f64 v[12:13], v[12:13], v[16:17]
	v_mov_b32_dpp v16, v8 row_shr:1 row_mask:0xf bank_mask:0xf
	v_mov_b32_dpp v17, v9 row_shr:1 row_mask:0xf bank_mask:0xf
	v_add_f64 v[16:17], v[8:9], v[16:17]
	v_mov_b32_dpp v14, v6 row_shr:2 row_mask:0xf bank_mask:0xf
	v_mov_b32_dpp v15, v7 row_shr:2 row_mask:0xf bank_mask:0xf
	;; [unrolled: 3-line block ×6, first 2 shown]
	v_mov_b32_dpp v10, v8 row_shr:4 row_mask:0xf bank_mask:0xe
	v_mov_b32_dpp v11, v9 row_shr:4 row_mask:0xf bank_mask:0xe
	;; [unrolled: 1-line block ×4, first 2 shown]
	v_cmp_eq_u32_e32 vcc, 7, v0
	v_mov_b32_dpp v18, v16 row_shr:4 row_mask:0xf bank_mask:0xe
	v_mov_b32_dpp v19, v17 row_shr:4 row_mask:0xf bank_mask:0xe
	s_and_b64 exec, exec, vcc
	s_cbranch_execz .LBB53_23
; %bb.19:
	v_add_f64 v[12:13], v[6:7], v[12:13]
	v_add_f64 v[10:11], v[8:9], v[10:11]
	;; [unrolled: 1-line block ×4, first 2 shown]
	v_cmp_eq_f64_e32 vcc, 0, v[3:4]
	s_load_dwordx2 s[0:1], s[4:5], 0x38
	s_and_saveexec_b64 s[2:3], vcc
	s_xor_b64 s[2:3], exec, s[2:3]
	s_cbranch_execz .LBB53_21
; %bb.20:
	v_mul_f64 v[12:13], v[1:2], v[12:13]
	v_mul_f64 v[14:15], v[1:2], v[10:11]
	v_lshlrev_b32_e32 v16, 2, v5
	v_mul_f64 v[3:4], v[1:2], v[6:7]
	v_mul_f64 v[5:6], v[1:2], v[8:9]
	v_ashrrev_i32_e32 v17, 31, v16
	v_lshlrev_b64 v[0:1], 3, v[16:17]
	s_waitcnt lgkmcnt(0)
	v_mov_b32_e32 v2, s1
	v_add_co_u32_e32 v0, vcc, s0, v0
	v_addc_co_u32_e32 v1, vcc, v2, v1, vcc
	global_store_dwordx4 v[0:1], v[12:15], off
	global_store_dwordx4 v[0:1], v[3:6], off offset:16
                                        ; implicit-def: $vgpr5
                                        ; implicit-def: $vgpr1_vgpr2
                                        ; implicit-def: $vgpr12_vgpr13
                                        ; implicit-def: $vgpr3_vgpr4
                                        ; implicit-def: $vgpr10_vgpr11
                                        ; implicit-def: $vgpr6_vgpr7
                                        ; implicit-def: $vgpr8_vgpr9
.LBB53_21:
	s_andn2_saveexec_b64 s[2:3], s[2:3]
	s_cbranch_execz .LBB53_23
; %bb.22:
	v_lshlrev_b32_e32 v14, 2, v5
	v_ashrrev_i32_e32 v15, 31, v14
	v_lshlrev_b64 v[14:15], 3, v[14:15]
	s_waitcnt lgkmcnt(0)
	v_mov_b32_e32 v0, s1
	v_add_co_u32_e32 v22, vcc, s0, v14
	v_addc_co_u32_e32 v23, vcc, v0, v15, vcc
	global_load_dwordx4 v[14:17], v[22:23], off
	global_load_dwordx4 v[18:21], v[22:23], off offset:16
	v_mul_f64 v[12:13], v[1:2], v[12:13]
	v_mul_f64 v[10:11], v[1:2], v[10:11]
	v_mul_f64 v[24:25], v[1:2], v[6:7]
	v_mul_f64 v[26:27], v[1:2], v[8:9]
	s_waitcnt vmcnt(1)
	v_fma_f64 v[5:6], v[3:4], v[14:15], v[12:13]
	v_fma_f64 v[7:8], v[3:4], v[16:17], v[10:11]
	s_waitcnt vmcnt(0)
	v_fma_f64 v[0:1], v[3:4], v[18:19], v[24:25]
	v_fma_f64 v[2:3], v[3:4], v[20:21], v[26:27]
	global_store_dwordx4 v[22:23], v[5:8], off
	global_store_dwordx4 v[22:23], v[0:3], off offset:16
.LBB53_23:
	s_endpgm
	.section	.rodata,"a",@progbits
	.p2align	6, 0x0
	.amdhsa_kernel _ZN9rocsparseL19gebsrmvn_4xn_kernelILj128ELj5ELj8EdEEvi20rocsparse_direction_NS_24const_host_device_scalarIT2_EEPKiS6_PKS3_S8_S4_PS3_21rocsparse_index_base_b
		.amdhsa_group_segment_fixed_size 0
		.amdhsa_private_segment_fixed_size 0
		.amdhsa_kernarg_size 72
		.amdhsa_user_sgpr_count 6
		.amdhsa_user_sgpr_private_segment_buffer 1
		.amdhsa_user_sgpr_dispatch_ptr 0
		.amdhsa_user_sgpr_queue_ptr 0
		.amdhsa_user_sgpr_kernarg_segment_ptr 1
		.amdhsa_user_sgpr_dispatch_id 0
		.amdhsa_user_sgpr_flat_scratch_init 0
		.amdhsa_user_sgpr_private_segment_size 0
		.amdhsa_uses_dynamic_stack 0
		.amdhsa_system_sgpr_private_segment_wavefront_offset 0
		.amdhsa_system_sgpr_workgroup_id_x 1
		.amdhsa_system_sgpr_workgroup_id_y 0
		.amdhsa_system_sgpr_workgroup_id_z 0
		.amdhsa_system_sgpr_workgroup_info 0
		.amdhsa_system_vgpr_workitem_id 0
		.amdhsa_next_free_vgpr 55
		.amdhsa_next_free_sgpr 16
		.amdhsa_reserve_vcc 1
		.amdhsa_reserve_flat_scratch 0
		.amdhsa_float_round_mode_32 0
		.amdhsa_float_round_mode_16_64 0
		.amdhsa_float_denorm_mode_32 3
		.amdhsa_float_denorm_mode_16_64 3
		.amdhsa_dx10_clamp 1
		.amdhsa_ieee_mode 1
		.amdhsa_fp16_overflow 0
		.amdhsa_exception_fp_ieee_invalid_op 0
		.amdhsa_exception_fp_denorm_src 0
		.amdhsa_exception_fp_ieee_div_zero 0
		.amdhsa_exception_fp_ieee_overflow 0
		.amdhsa_exception_fp_ieee_underflow 0
		.amdhsa_exception_fp_ieee_inexact 0
		.amdhsa_exception_int_div_zero 0
	.end_amdhsa_kernel
	.section	.text._ZN9rocsparseL19gebsrmvn_4xn_kernelILj128ELj5ELj8EdEEvi20rocsparse_direction_NS_24const_host_device_scalarIT2_EEPKiS6_PKS3_S8_S4_PS3_21rocsparse_index_base_b,"axG",@progbits,_ZN9rocsparseL19gebsrmvn_4xn_kernelILj128ELj5ELj8EdEEvi20rocsparse_direction_NS_24const_host_device_scalarIT2_EEPKiS6_PKS3_S8_S4_PS3_21rocsparse_index_base_b,comdat
.Lfunc_end53:
	.size	_ZN9rocsparseL19gebsrmvn_4xn_kernelILj128ELj5ELj8EdEEvi20rocsparse_direction_NS_24const_host_device_scalarIT2_EEPKiS6_PKS3_S8_S4_PS3_21rocsparse_index_base_b, .Lfunc_end53-_ZN9rocsparseL19gebsrmvn_4xn_kernelILj128ELj5ELj8EdEEvi20rocsparse_direction_NS_24const_host_device_scalarIT2_EEPKiS6_PKS3_S8_S4_PS3_21rocsparse_index_base_b
                                        ; -- End function
	.set _ZN9rocsparseL19gebsrmvn_4xn_kernelILj128ELj5ELj8EdEEvi20rocsparse_direction_NS_24const_host_device_scalarIT2_EEPKiS6_PKS3_S8_S4_PS3_21rocsparse_index_base_b.num_vgpr, 55
	.set _ZN9rocsparseL19gebsrmvn_4xn_kernelILj128ELj5ELj8EdEEvi20rocsparse_direction_NS_24const_host_device_scalarIT2_EEPKiS6_PKS3_S8_S4_PS3_21rocsparse_index_base_b.num_agpr, 0
	.set _ZN9rocsparseL19gebsrmvn_4xn_kernelILj128ELj5ELj8EdEEvi20rocsparse_direction_NS_24const_host_device_scalarIT2_EEPKiS6_PKS3_S8_S4_PS3_21rocsparse_index_base_b.numbered_sgpr, 16
	.set _ZN9rocsparseL19gebsrmvn_4xn_kernelILj128ELj5ELj8EdEEvi20rocsparse_direction_NS_24const_host_device_scalarIT2_EEPKiS6_PKS3_S8_S4_PS3_21rocsparse_index_base_b.num_named_barrier, 0
	.set _ZN9rocsparseL19gebsrmvn_4xn_kernelILj128ELj5ELj8EdEEvi20rocsparse_direction_NS_24const_host_device_scalarIT2_EEPKiS6_PKS3_S8_S4_PS3_21rocsparse_index_base_b.private_seg_size, 0
	.set _ZN9rocsparseL19gebsrmvn_4xn_kernelILj128ELj5ELj8EdEEvi20rocsparse_direction_NS_24const_host_device_scalarIT2_EEPKiS6_PKS3_S8_S4_PS3_21rocsparse_index_base_b.uses_vcc, 1
	.set _ZN9rocsparseL19gebsrmvn_4xn_kernelILj128ELj5ELj8EdEEvi20rocsparse_direction_NS_24const_host_device_scalarIT2_EEPKiS6_PKS3_S8_S4_PS3_21rocsparse_index_base_b.uses_flat_scratch, 0
	.set _ZN9rocsparseL19gebsrmvn_4xn_kernelILj128ELj5ELj8EdEEvi20rocsparse_direction_NS_24const_host_device_scalarIT2_EEPKiS6_PKS3_S8_S4_PS3_21rocsparse_index_base_b.has_dyn_sized_stack, 0
	.set _ZN9rocsparseL19gebsrmvn_4xn_kernelILj128ELj5ELj8EdEEvi20rocsparse_direction_NS_24const_host_device_scalarIT2_EEPKiS6_PKS3_S8_S4_PS3_21rocsparse_index_base_b.has_recursion, 0
	.set _ZN9rocsparseL19gebsrmvn_4xn_kernelILj128ELj5ELj8EdEEvi20rocsparse_direction_NS_24const_host_device_scalarIT2_EEPKiS6_PKS3_S8_S4_PS3_21rocsparse_index_base_b.has_indirect_call, 0
	.section	.AMDGPU.csdata,"",@progbits
; Kernel info:
; codeLenInByte = 2544
; TotalNumSgprs: 20
; NumVgprs: 55
; ScratchSize: 0
; MemoryBound: 1
; FloatMode: 240
; IeeeMode: 1
; LDSByteSize: 0 bytes/workgroup (compile time only)
; SGPRBlocks: 2
; VGPRBlocks: 13
; NumSGPRsForWavesPerEU: 20
; NumVGPRsForWavesPerEU: 55
; Occupancy: 4
; WaveLimiterHint : 1
; COMPUTE_PGM_RSRC2:SCRATCH_EN: 0
; COMPUTE_PGM_RSRC2:USER_SGPR: 6
; COMPUTE_PGM_RSRC2:TRAP_HANDLER: 0
; COMPUTE_PGM_RSRC2:TGID_X_EN: 1
; COMPUTE_PGM_RSRC2:TGID_Y_EN: 0
; COMPUTE_PGM_RSRC2:TGID_Z_EN: 0
; COMPUTE_PGM_RSRC2:TIDIG_COMP_CNT: 0
	.section	.text._ZN9rocsparseL19gebsrmvn_4xn_kernelILj128ELj5ELj16EdEEvi20rocsparse_direction_NS_24const_host_device_scalarIT2_EEPKiS6_PKS3_S8_S4_PS3_21rocsparse_index_base_b,"axG",@progbits,_ZN9rocsparseL19gebsrmvn_4xn_kernelILj128ELj5ELj16EdEEvi20rocsparse_direction_NS_24const_host_device_scalarIT2_EEPKiS6_PKS3_S8_S4_PS3_21rocsparse_index_base_b,comdat
	.globl	_ZN9rocsparseL19gebsrmvn_4xn_kernelILj128ELj5ELj16EdEEvi20rocsparse_direction_NS_24const_host_device_scalarIT2_EEPKiS6_PKS3_S8_S4_PS3_21rocsparse_index_base_b ; -- Begin function _ZN9rocsparseL19gebsrmvn_4xn_kernelILj128ELj5ELj16EdEEvi20rocsparse_direction_NS_24const_host_device_scalarIT2_EEPKiS6_PKS3_S8_S4_PS3_21rocsparse_index_base_b
	.p2align	8
	.type	_ZN9rocsparseL19gebsrmvn_4xn_kernelILj128ELj5ELj16EdEEvi20rocsparse_direction_NS_24const_host_device_scalarIT2_EEPKiS6_PKS3_S8_S4_PS3_21rocsparse_index_base_b,@function
_ZN9rocsparseL19gebsrmvn_4xn_kernelILj128ELj5ELj16EdEEvi20rocsparse_direction_NS_24const_host_device_scalarIT2_EEPKiS6_PKS3_S8_S4_PS3_21rocsparse_index_base_b: ; @_ZN9rocsparseL19gebsrmvn_4xn_kernelILj128ELj5ELj16EdEEvi20rocsparse_direction_NS_24const_host_device_scalarIT2_EEPKiS6_PKS3_S8_S4_PS3_21rocsparse_index_base_b
; %bb.0:
	s_load_dwordx2 s[2:3], s[4:5], 0x40
	s_load_dwordx2 s[10:11], s[4:5], 0x8
	;; [unrolled: 1-line block ×3, first 2 shown]
	s_waitcnt lgkmcnt(0)
	s_bitcmp1_b32 s3, 0
	s_cselect_b64 s[12:13], -1, 0
	v_mov_b32_e32 v1, s10
	s_xor_b64 s[8:9], s[12:13], -1
	s_and_b64 vcc, exec, s[12:13]
	v_mov_b32_e32 v2, s11
	s_cbranch_vccnz .LBB54_2
; %bb.1:
	v_mov_b32_e32 v1, s10
	v_mov_b32_e32 v2, s11
	flat_load_dwordx2 v[1:2], v[1:2]
.LBB54_2:
	v_mov_b32_e32 v4, s1
	s_andn2_b64 vcc, exec, s[8:9]
	v_mov_b32_e32 v3, s0
	s_cbranch_vccnz .LBB54_4
; %bb.3:
	v_mov_b32_e32 v4, s1
	v_mov_b32_e32 v3, s0
	flat_load_dwordx2 v[3:4], v[3:4]
.LBB54_4:
	s_waitcnt vmcnt(0) lgkmcnt(0)
	v_cmp_neq_f64_e32 vcc, 0, v[1:2]
	v_cmp_neq_f64_e64 s[0:1], 1.0, v[3:4]
	s_or_b64 s[0:1], vcc, s[0:1]
	s_and_saveexec_b64 s[8:9], s[0:1]
	s_cbranch_execz .LBB54_23
; %bb.5:
	s_load_dwordx2 s[0:1], s[4:5], 0x0
	v_lshrrev_b32_e32 v5, 4, v0
	v_lshl_or_b32 v5, s6, 3, v5
	s_waitcnt lgkmcnt(0)
	v_cmp_gt_i32_e32 vcc, s0, v5
	s_and_b64 exec, exec, vcc
	s_cbranch_execz .LBB54_23
; %bb.6:
	s_load_dwordx8 s[8:15], s[4:5], 0x10
	v_ashrrev_i32_e32 v6, 31, v5
	v_lshlrev_b64 v[6:7], 2, v[5:6]
	v_and_b32_e32 v0, 15, v0
	s_cmp_lg_u32 s1, 0
	s_waitcnt lgkmcnt(0)
	v_mov_b32_e32 v8, s9
	v_add_co_u32_e32 v6, vcc, s8, v6
	v_addc_co_u32_e32 v7, vcc, v8, v7, vcc
	global_load_dwordx2 v[6:7], v[6:7], off
	s_waitcnt vmcnt(0)
	v_subrev_u32_e32 v6, s2, v6
	v_subrev_u32_e32 v22, s2, v7
	v_add_u32_e32 v6, v6, v0
	v_cmp_lt_i32_e64 s[0:1], v6, v22
	s_cbranch_scc0 .LBB54_12
; %bb.7:
	v_mov_b32_e32 v12, 0
	v_mov_b32_e32 v8, 0
	;; [unrolled: 1-line block ×8, first 2 shown]
	s_and_saveexec_b64 s[6:7], s[0:1]
	s_cbranch_execz .LBB54_11
; %bb.8:
	v_mad_u64_u32 v[16:17], s[8:9], v6, 20, 16
	v_mov_b32_e32 v12, 0
	v_mov_b32_e32 v8, 0
	;; [unrolled: 1-line block ×5, first 2 shown]
	s_mov_b64 s[8:9], 0
	v_mov_b32_e32 v7, s11
	v_mov_b32_e32 v19, 0
	;; [unrolled: 1-line block ×8, first 2 shown]
.LBB54_9:                               ; =>This Inner Loop Header: Depth=1
	v_ashrrev_i32_e32 v21, 31, v20
	v_lshlrev_b64 v[25:26], 2, v[20:21]
	v_add_u32_e32 v18, -16, v16
	v_lshlrev_b64 v[27:28], 3, v[18:19]
	v_add_co_u32_e32 v33, vcc, s10, v25
	v_mov_b32_e32 v17, v19
	v_addc_co_u32_e32 v34, vcc, v7, v26, vcc
	v_lshlrev_b64 v[29:30], 3, v[16:17]
	v_add_co_u32_e32 v35, vcc, s12, v27
	v_addc_co_u32_e32 v36, vcc, v23, v28, vcc
	v_add_co_u32_e32 v47, vcc, s12, v29
	v_addc_co_u32_e32 v48, vcc, v23, v30, vcc
	global_load_dword v21, v[33:34], off
	global_load_dwordx4 v[25:28], v[35:36], off
	global_load_dwordx4 v[29:32], v[35:36], off offset:16
	v_add_u32_e32 v18, -12, v16
	v_lshlrev_b64 v[17:18], 3, v[18:19]
	v_mov_b32_e32 v46, v19
	v_add_co_u32_e32 v17, vcc, s12, v17
	v_addc_co_u32_e32 v18, vcc, v23, v18, vcc
	global_load_dwordx4 v[33:36], v[47:48], off
	global_load_dwordx4 v[37:40], v[17:18], off
	v_add_u32_e32 v20, 16, v20
	s_waitcnt vmcnt(4)
	v_subrev_u32_e32 v21, s2, v21
	v_lshl_add_u32 v45, v21, 2, v21
	v_lshlrev_b64 v[41:42], 3, v[45:46]
	v_add_co_u32_e32 v49, vcc, s14, v41
	v_addc_co_u32_e32 v50, vcc, v24, v42, vcc
	global_load_dwordx2 v[49:50], v[49:50], off
	s_waitcnt vmcnt(0)
	v_fma_f64 v[12:13], v[25:26], v[49:50], v[12:13]
	global_load_dwordx4 v[41:44], v[17:18], off offset:16
	v_add_u32_e32 v18, 1, v45
	v_lshlrev_b64 v[25:26], 3, v[18:19]
	v_fma_f64 v[14:15], v[27:28], v[49:50], v[14:15]
	v_add_co_u32_e32 v25, vcc, s14, v25
	v_addc_co_u32_e32 v26, vcc, v24, v26, vcc
	global_load_dwordx2 v[25:26], v[25:26], off
	v_add_u32_e32 v18, -8, v16
	v_lshlrev_b64 v[27:28], 3, v[18:19]
	v_add_u32_e32 v18, 2, v45
	v_fma_f64 v[31:32], v[31:32], v[49:50], v[8:9]
	v_lshlrev_b64 v[8:9], 3, v[18:19]
	v_add_co_u32_e32 v27, vcc, s12, v27
	v_add_u32_e32 v18, -4, v16
	v_addc_co_u32_e32 v28, vcc, v23, v28, vcc
	v_fma_f64 v[29:30], v[29:30], v[49:50], v[10:11]
	v_lshlrev_b64 v[49:50], 3, v[18:19]
	v_add_co_u32_e32 v51, vcc, s14, v8
	v_add_u32_e32 v18, 3, v45
	v_addc_co_u32_e32 v52, vcc, v24, v9, vcc
	v_lshlrev_b64 v[53:54], 3, v[18:19]
	v_add_u32_e32 v18, 4, v45
	v_add_co_u32_e32 v45, vcc, s12, v49
	global_load_dwordx4 v[8:11], v[27:28], off
	v_addc_co_u32_e32 v46, vcc, v23, v50, vcc
	v_lshlrev_b64 v[17:18], 3, v[18:19]
	v_add_u32_e32 v16, 0x140, v16
	s_waitcnt vmcnt(1)
	v_fma_f64 v[37:38], v[37:38], v[25:26], v[12:13]
	v_fma_f64 v[39:40], v[39:40], v[25:26], v[14:15]
	global_load_dwordx4 v[12:15], v[27:28], off offset:16
	global_load_dwordx2 v[49:50], v[51:52], off
	v_fma_f64 v[41:42], v[41:42], v[25:26], v[29:30]
	v_add_co_u32_e32 v29, vcc, s14, v53
	v_fma_f64 v[43:44], v[43:44], v[25:26], v[31:32]
	v_addc_co_u32_e32 v30, vcc, v24, v54, vcc
	global_load_dwordx4 v[25:28], v[45:46], off
	v_add_co_u32_e32 v17, vcc, s14, v17
	v_addc_co_u32_e32 v18, vcc, v24, v18, vcc
	v_cmp_ge_i32_e32 vcc, v20, v22
	s_or_b64 s[8:9], vcc, s[8:9]
	s_waitcnt vmcnt(1)
	v_fma_f64 v[37:38], v[8:9], v[49:50], v[37:38]
	v_fma_f64 v[39:40], v[10:11], v[49:50], v[39:40]
	global_load_dwordx4 v[8:11], v[45:46], off offset:16
	global_load_dwordx2 v[51:52], v[29:30], off
	s_nop 0
	global_load_dwordx4 v[29:32], v[47:48], off offset:16
	global_load_dwordx2 v[45:46], v[17:18], off
	v_fma_f64 v[12:13], v[12:13], v[49:50], v[41:42]
	v_fma_f64 v[14:15], v[14:15], v[49:50], v[43:44]
	s_waitcnt vmcnt(2)
	v_fma_f64 v[17:18], v[25:26], v[51:52], v[37:38]
	v_fma_f64 v[25:26], v[27:28], v[51:52], v[39:40]
	;; [unrolled: 1-line block ×4, first 2 shown]
	s_waitcnt vmcnt(0)
	v_fma_f64 v[12:13], v[33:34], v[45:46], v[17:18]
	v_fma_f64 v[14:15], v[35:36], v[45:46], v[25:26]
	;; [unrolled: 1-line block ×4, first 2 shown]
	s_andn2_b64 exec, exec, s[8:9]
	s_cbranch_execnz .LBB54_9
; %bb.10:
	s_or_b64 exec, exec, s[8:9]
.LBB54_11:
	s_or_b64 exec, exec, s[6:7]
	s_cbranch_execz .LBB54_13
	s_branch .LBB54_18
.LBB54_12:
                                        ; implicit-def: $vgpr12_vgpr13
                                        ; implicit-def: $vgpr8_vgpr9
                                        ; implicit-def: $vgpr10_vgpr11
                                        ; implicit-def: $vgpr14_vgpr15
.LBB54_13:
	v_mov_b32_e32 v12, 0
	v_mov_b32_e32 v8, 0
	v_mov_b32_e32 v10, 0
	v_mov_b32_e32 v14, 0
	v_mov_b32_e32 v13, 0
	v_mov_b32_e32 v9, 0
	v_mov_b32_e32 v11, 0
	v_mov_b32_e32 v15, 0
	s_and_saveexec_b64 s[6:7], s[0:1]
	s_cbranch_execz .LBB54_17
; %bb.14:
	v_mad_u64_u32 v[16:17], s[0:1], v6, 20, 19
	v_mov_b32_e32 v12, 0
	v_mov_b32_e32 v8, 0
	;; [unrolled: 1-line block ×5, first 2 shown]
	s_mov_b64 s[0:1], 0
	v_mov_b32_e32 v20, s11
	v_mov_b32_e32 v19, 0
	;; [unrolled: 1-line block ×7, first 2 shown]
.LBB54_15:                              ; =>This Inner Loop Header: Depth=1
	v_ashrrev_i32_e32 v7, 31, v6
	v_lshlrev_b64 v[30:31], 2, v[6:7]
	v_subrev_u32_e32 v18, 19, v16
	v_add_co_u32_e32 v30, vcc, s10, v30
	v_addc_co_u32_e32 v31, vcc, v20, v31, vcc
	global_load_dword v7, v[30:31], off
	v_lshlrev_b64 v[32:33], 3, v[18:19]
	v_add_u32_e32 v24, -14, v16
	v_mov_b32_e32 v25, v19
	v_lshlrev_b64 v[24:25], 3, v[24:25]
	v_add_co_u32_e32 v32, vcc, s12, v32
	v_add_u32_e32 v26, -9, v16
	v_mov_b32_e32 v27, v19
	v_addc_co_u32_e32 v33, vcc, v21, v33, vcc
	v_lshlrev_b64 v[26:27], 3, v[26:27]
	v_add_co_u32_e32 v24, vcc, s12, v24
	v_add_u32_e32 v28, -4, v16
	v_mov_b32_e32 v29, v19
	v_addc_co_u32_e32 v25, vcc, v21, v25, vcc
	v_lshlrev_b64 v[28:29], 3, v[28:29]
	v_add_co_u32_e32 v26, vcc, s12, v26
	v_mov_b32_e32 v17, v19
	v_addc_co_u32_e32 v27, vcc, v21, v27, vcc
	v_lshlrev_b64 v[17:18], 3, v[16:17]
	v_add_co_u32_e32 v28, vcc, s12, v28
	v_addc_co_u32_e32 v29, vcc, v21, v29, vcc
	v_add_co_u32_e32 v34, vcc, s12, v17
	v_addc_co_u32_e32 v35, vcc, v21, v18, vcc
	v_mov_b32_e32 v18, v19
	v_add_u32_e32 v6, 16, v6
	s_waitcnt vmcnt(0)
	v_subrev_u32_e32 v7, s2, v7
	v_lshl_add_u32 v17, v7, 2, v7
	v_lshlrev_b64 v[30:31], 3, v[17:18]
	v_add_u32_e32 v18, 1, v17
	v_add_co_u32_e32 v30, vcc, s14, v30
	v_addc_co_u32_e32 v31, vcc, v23, v31, vcc
	global_load_dwordx2 v[38:39], v[24:25], off
	global_load_dwordx2 v[40:41], v[26:27], off
	;; [unrolled: 1-line block ×4, first 2 shown]
	v_lshlrev_b64 v[36:37], 3, v[18:19]
	v_add_u32_e32 v18, -13, v16
	v_add_co_u32_e32 v36, vcc, s14, v36
	v_addc_co_u32_e32 v37, vcc, v23, v37, vcc
	s_waitcnt vmcnt(0)
	v_fma_f64 v[28:29], v[40:41], v[44:45], v[10:11]
	v_fma_f64 v[30:31], v[42:43], v[44:45], v[8:9]
	global_load_dwordx4 v[7:10], v[32:33], off
	global_load_dwordx4 v[24:27], v[32:33], off offset:16
	v_fma_f64 v[14:15], v[38:39], v[44:45], v[14:15]
	s_waitcnt vmcnt(1)
	v_fma_f64 v[7:8], v[7:8], v[44:45], v[12:13]
	global_load_dwordx2 v[11:12], v[36:37], off
	s_waitcnt vmcnt(0)
	v_fma_f64 v[7:8], v[9:10], v[11:12], v[7:8]
	v_lshlrev_b64 v[9:10], 3, v[18:19]
	v_add_u32_e32 v18, -8, v16
	v_add_co_u32_e32 v9, vcc, s12, v9
	v_lshlrev_b64 v[32:33], 3, v[18:19]
	v_addc_co_u32_e32 v10, vcc, v21, v10, vcc
	v_add_u32_e32 v18, -3, v16
	v_add_co_u32_e32 v32, vcc, s12, v32
	v_lshlrev_b64 v[36:37], 3, v[18:19]
	v_addc_co_u32_e32 v33, vcc, v21, v33, vcc
	v_add_co_u32_e32 v36, vcc, s12, v36
	v_addc_co_u32_e32 v37, vcc, v21, v37, vcc
	global_load_dwordx2 v[38:39], v[9:10], off
	global_load_dwordx2 v[40:41], v[32:33], off
	;; [unrolled: 1-line block ×3, first 2 shown]
	v_add_u32_e32 v18, 2, v17
	s_waitcnt vmcnt(2)
	v_fma_f64 v[9:10], v[38:39], v[11:12], v[14:15]
	s_waitcnt vmcnt(1)
	v_fma_f64 v[13:14], v[40:41], v[11:12], v[28:29]
	v_lshlrev_b64 v[28:29], 3, v[18:19]
	v_add_u32_e32 v18, -12, v16
	s_waitcnt vmcnt(0)
	v_fma_f64 v[11:12], v[42:43], v[11:12], v[30:31]
	v_lshlrev_b64 v[30:31], 3, v[18:19]
	v_add_co_u32_e32 v28, vcc, s14, v28
	v_add_u32_e32 v18, -7, v16
	v_addc_co_u32_e32 v29, vcc, v23, v29, vcc
	v_add_co_u32_e32 v30, vcc, s12, v30
	v_lshlrev_b64 v[32:33], 3, v[18:19]
	v_addc_co_u32_e32 v31, vcc, v21, v31, vcc
	v_add_u32_e32 v18, -2, v16
	v_add_co_u32_e32 v32, vcc, s12, v32
	v_lshlrev_b64 v[36:37], 3, v[18:19]
	v_addc_co_u32_e32 v33, vcc, v21, v33, vcc
	v_add_co_u32_e32 v36, vcc, s12, v36
	v_addc_co_u32_e32 v37, vcc, v21, v37, vcc
	v_add_u32_e32 v18, 3, v17
	global_load_dwordx2 v[42:43], v[28:29], off
	global_load_dwordx2 v[44:45], v[30:31], off
	;; [unrolled: 1-line block ×4, first 2 shown]
	v_lshlrev_b64 v[38:39], 3, v[18:19]
	v_add_u32_e32 v18, -11, v16
	v_add_co_u32_e32 v38, vcc, s14, v38
	v_addc_co_u32_e32 v39, vcc, v23, v39, vcc
	global_load_dwordx2 v[28:29], v[38:39], off
	v_lshlrev_b64 v[40:41], 3, v[18:19]
	v_add_u32_e32 v18, -6, v16
	v_add_co_u32_e32 v40, vcc, s12, v40
	v_addc_co_u32_e32 v41, vcc, v21, v41, vcc
	s_waitcnt vmcnt(4)
	v_fma_f64 v[7:8], v[24:25], v[42:43], v[7:8]
	v_lshlrev_b64 v[24:25], 3, v[18:19]
	v_add_u32_e32 v18, -1, v16
	v_add_co_u32_e32 v24, vcc, s12, v24
	v_addc_co_u32_e32 v25, vcc, v21, v25, vcc
	s_waitcnt vmcnt(3)
	v_fma_f64 v[9:10], v[44:45], v[42:43], v[9:10]
	s_waitcnt vmcnt(2)
	v_fma_f64 v[13:14], v[46:47], v[42:43], v[13:14]
	s_waitcnt vmcnt(1)
	v_fma_f64 v[11:12], v[48:49], v[42:43], v[11:12]
	s_waitcnt vmcnt(0)
	v_fma_f64 v[7:8], v[26:27], v[28:29], v[7:8]
	v_lshlrev_b64 v[26:27], 3, v[18:19]
	v_add_u32_e32 v18, -15, v16
	v_lshlrev_b64 v[30:31], 3, v[18:19]
	v_add_co_u32_e32 v26, vcc, s12, v26
	v_addc_co_u32_e32 v27, vcc, v21, v27, vcc
	v_add_co_u32_e32 v30, vcc, s12, v30
	v_addc_co_u32_e32 v31, vcc, v21, v31, vcc
	global_load_dwordx2 v[38:39], v[40:41], off
	global_load_dwordx2 v[42:43], v[24:25], off
	;; [unrolled: 1-line block ×4, first 2 shown]
	v_add_u32_e32 v18, 4, v17
	v_lshlrev_b64 v[17:18], 3, v[18:19]
	v_add_co_u32_e32 v32, vcc, s14, v17
	v_addc_co_u32_e32 v33, vcc, v23, v18, vcc
	v_add_u32_e32 v18, -10, v16
	v_lshlrev_b64 v[17:18], 3, v[18:19]
	v_add_co_u32_e32 v36, vcc, s12, v17
	v_addc_co_u32_e32 v37, vcc, v21, v18, vcc
	v_add_u32_e32 v18, -5, v16
	v_lshlrev_b64 v[17:18], 3, v[18:19]
	v_add_u32_e32 v16, 0x140, v16
	v_add_co_u32_e32 v17, vcc, s12, v17
	v_addc_co_u32_e32 v18, vcc, v21, v18, vcc
	v_cmp_ge_i32_e32 vcc, v6, v22
	s_or_b64 s[0:1], vcc, s[0:1]
	s_waitcnt vmcnt(3)
	v_fma_f64 v[9:10], v[38:39], v[28:29], v[9:10]
	s_waitcnt vmcnt(2)
	v_fma_f64 v[24:25], v[42:43], v[28:29], v[13:14]
	global_load_dwordx2 v[26:27], v[32:33], off
	global_load_dwordx2 v[14:15], v[36:37], off
	;; [unrolled: 1-line block ×4, first 2 shown]
	s_waitcnt vmcnt(5)
	v_fma_f64 v[17:18], v[44:45], v[28:29], v[11:12]
	s_waitcnt vmcnt(3)
	v_fma_f64 v[12:13], v[46:47], v[26:27], v[7:8]
	;; [unrolled: 2-line block ×5, first 2 shown]
	s_andn2_b64 exec, exec, s[0:1]
	s_cbranch_execnz .LBB54_15
; %bb.16:
	s_or_b64 exec, exec, s[0:1]
.LBB54_17:
	s_or_b64 exec, exec, s[6:7]
.LBB54_18:
	v_mov_b32_dpp v6, v12 row_shr:1 row_mask:0xf bank_mask:0xf
	v_mov_b32_dpp v7, v13 row_shr:1 row_mask:0xf bank_mask:0xf
	v_add_f64 v[6:7], v[12:13], v[6:7]
	v_mov_b32_dpp v12, v14 row_shr:1 row_mask:0xf bank_mask:0xf
	v_mov_b32_dpp v13, v15 row_shr:1 row_mask:0xf bank_mask:0xf
	;; [unrolled: 1-line block ×3, first 2 shown]
	v_add_f64 v[12:13], v[14:15], v[12:13]
	v_mov_b32_dpp v17, v11 row_shr:1 row_mask:0xf bank_mask:0xf
	v_add_f64 v[10:11], v[10:11], v[16:17]
	v_cmp_eq_u32_e32 vcc, 15, v0
	v_mov_b32_dpp v14, v6 row_shr:2 row_mask:0xf bank_mask:0xf
	v_mov_b32_dpp v15, v7 row_shr:2 row_mask:0xf bank_mask:0xf
	v_add_f64 v[6:7], v[6:7], v[14:15]
	v_mov_b32_dpp v14, v8 row_shr:1 row_mask:0xf bank_mask:0xf
	v_mov_b32_dpp v15, v9 row_shr:1 row_mask:0xf bank_mask:0xf
	v_add_f64 v[8:9], v[8:9], v[14:15]
	;; [unrolled: 3-line block ×4, first 2 shown]
	v_mov_b32_dpp v16, v6 row_shr:4 row_mask:0xf bank_mask:0xe
	v_mov_b32_dpp v14, v8 row_shr:2 row_mask:0xf bank_mask:0xf
	;; [unrolled: 1-line block ×3, first 2 shown]
	v_add_f64 v[18:19], v[8:9], v[14:15]
	v_mov_b32_dpp v8, v12 row_shr:4 row_mask:0xf bank_mask:0xe
	v_mov_b32_dpp v9, v13 row_shr:4 row_mask:0xf bank_mask:0xe
	v_add_f64 v[8:9], v[12:13], v[8:9]
	v_mov_b32_dpp v12, v10 row_shr:4 row_mask:0xf bank_mask:0xe
	v_mov_b32_dpp v13, v11 row_shr:4 row_mask:0xf bank_mask:0xe
	;; [unrolled: 1-line block ×3, first 2 shown]
	v_add_f64 v[14:15], v[10:11], v[12:13]
	v_mov_b32_dpp v10, v18 row_shr:4 row_mask:0xf bank_mask:0xe
	v_mov_b32_dpp v11, v19 row_shr:4 row_mask:0xf bank_mask:0xe
	v_add_f64 v[6:7], v[6:7], v[16:17]
	v_add_f64 v[16:17], v[18:19], v[10:11]
	v_mov_b32_dpp v10, v8 row_shr:8 row_mask:0xf bank_mask:0xc
	v_mov_b32_dpp v11, v9 row_shr:8 row_mask:0xf bank_mask:0xc
	;; [unrolled: 1-line block ×8, first 2 shown]
	s_and_b64 exec, exec, vcc
	s_cbranch_execz .LBB54_23
; %bb.19:
	v_add_f64 v[12:13], v[6:7], v[12:13]
	v_add_f64 v[10:11], v[8:9], v[10:11]
	;; [unrolled: 1-line block ×4, first 2 shown]
	v_cmp_eq_f64_e32 vcc, 0, v[3:4]
	s_load_dwordx2 s[0:1], s[4:5], 0x38
	s_and_saveexec_b64 s[2:3], vcc
	s_xor_b64 s[2:3], exec, s[2:3]
	s_cbranch_execz .LBB54_21
; %bb.20:
	v_mul_f64 v[12:13], v[1:2], v[12:13]
	v_mul_f64 v[14:15], v[1:2], v[10:11]
	v_lshlrev_b32_e32 v16, 2, v5
	v_mul_f64 v[3:4], v[1:2], v[6:7]
	v_mul_f64 v[5:6], v[1:2], v[8:9]
	v_ashrrev_i32_e32 v17, 31, v16
	v_lshlrev_b64 v[0:1], 3, v[16:17]
	s_waitcnt lgkmcnt(0)
	v_mov_b32_e32 v2, s1
	v_add_co_u32_e32 v0, vcc, s0, v0
	v_addc_co_u32_e32 v1, vcc, v2, v1, vcc
	global_store_dwordx4 v[0:1], v[12:15], off
	global_store_dwordx4 v[0:1], v[3:6], off offset:16
                                        ; implicit-def: $vgpr5
                                        ; implicit-def: $vgpr1_vgpr2
                                        ; implicit-def: $vgpr12_vgpr13
                                        ; implicit-def: $vgpr3_vgpr4
                                        ; implicit-def: $vgpr10_vgpr11
                                        ; implicit-def: $vgpr6_vgpr7
                                        ; implicit-def: $vgpr8_vgpr9
.LBB54_21:
	s_andn2_saveexec_b64 s[2:3], s[2:3]
	s_cbranch_execz .LBB54_23
; %bb.22:
	v_lshlrev_b32_e32 v14, 2, v5
	v_ashrrev_i32_e32 v15, 31, v14
	v_lshlrev_b64 v[14:15], 3, v[14:15]
	s_waitcnt lgkmcnt(0)
	v_mov_b32_e32 v0, s1
	v_add_co_u32_e32 v22, vcc, s0, v14
	v_addc_co_u32_e32 v23, vcc, v0, v15, vcc
	global_load_dwordx4 v[14:17], v[22:23], off
	global_load_dwordx4 v[18:21], v[22:23], off offset:16
	v_mul_f64 v[12:13], v[1:2], v[12:13]
	v_mul_f64 v[10:11], v[1:2], v[10:11]
	;; [unrolled: 1-line block ×4, first 2 shown]
	s_waitcnt vmcnt(1)
	v_fma_f64 v[5:6], v[3:4], v[14:15], v[12:13]
	v_fma_f64 v[7:8], v[3:4], v[16:17], v[10:11]
	s_waitcnt vmcnt(0)
	v_fma_f64 v[0:1], v[3:4], v[18:19], v[24:25]
	v_fma_f64 v[2:3], v[3:4], v[20:21], v[26:27]
	global_store_dwordx4 v[22:23], v[5:8], off
	global_store_dwordx4 v[22:23], v[0:3], off offset:16
.LBB54_23:
	s_endpgm
	.section	.rodata,"a",@progbits
	.p2align	6, 0x0
	.amdhsa_kernel _ZN9rocsparseL19gebsrmvn_4xn_kernelILj128ELj5ELj16EdEEvi20rocsparse_direction_NS_24const_host_device_scalarIT2_EEPKiS6_PKS3_S8_S4_PS3_21rocsparse_index_base_b
		.amdhsa_group_segment_fixed_size 0
		.amdhsa_private_segment_fixed_size 0
		.amdhsa_kernarg_size 72
		.amdhsa_user_sgpr_count 6
		.amdhsa_user_sgpr_private_segment_buffer 1
		.amdhsa_user_sgpr_dispatch_ptr 0
		.amdhsa_user_sgpr_queue_ptr 0
		.amdhsa_user_sgpr_kernarg_segment_ptr 1
		.amdhsa_user_sgpr_dispatch_id 0
		.amdhsa_user_sgpr_flat_scratch_init 0
		.amdhsa_user_sgpr_private_segment_size 0
		.amdhsa_uses_dynamic_stack 0
		.amdhsa_system_sgpr_private_segment_wavefront_offset 0
		.amdhsa_system_sgpr_workgroup_id_x 1
		.amdhsa_system_sgpr_workgroup_id_y 0
		.amdhsa_system_sgpr_workgroup_id_z 0
		.amdhsa_system_sgpr_workgroup_info 0
		.amdhsa_system_vgpr_workitem_id 0
		.amdhsa_next_free_vgpr 55
		.amdhsa_next_free_sgpr 16
		.amdhsa_reserve_vcc 1
		.amdhsa_reserve_flat_scratch 0
		.amdhsa_float_round_mode_32 0
		.amdhsa_float_round_mode_16_64 0
		.amdhsa_float_denorm_mode_32 3
		.amdhsa_float_denorm_mode_16_64 3
		.amdhsa_dx10_clamp 1
		.amdhsa_ieee_mode 1
		.amdhsa_fp16_overflow 0
		.amdhsa_exception_fp_ieee_invalid_op 0
		.amdhsa_exception_fp_denorm_src 0
		.amdhsa_exception_fp_ieee_div_zero 0
		.amdhsa_exception_fp_ieee_overflow 0
		.amdhsa_exception_fp_ieee_underflow 0
		.amdhsa_exception_fp_ieee_inexact 0
		.amdhsa_exception_int_div_zero 0
	.end_amdhsa_kernel
	.section	.text._ZN9rocsparseL19gebsrmvn_4xn_kernelILj128ELj5ELj16EdEEvi20rocsparse_direction_NS_24const_host_device_scalarIT2_EEPKiS6_PKS3_S8_S4_PS3_21rocsparse_index_base_b,"axG",@progbits,_ZN9rocsparseL19gebsrmvn_4xn_kernelILj128ELj5ELj16EdEEvi20rocsparse_direction_NS_24const_host_device_scalarIT2_EEPKiS6_PKS3_S8_S4_PS3_21rocsparse_index_base_b,comdat
.Lfunc_end54:
	.size	_ZN9rocsparseL19gebsrmvn_4xn_kernelILj128ELj5ELj16EdEEvi20rocsparse_direction_NS_24const_host_device_scalarIT2_EEPKiS6_PKS3_S8_S4_PS3_21rocsparse_index_base_b, .Lfunc_end54-_ZN9rocsparseL19gebsrmvn_4xn_kernelILj128ELj5ELj16EdEEvi20rocsparse_direction_NS_24const_host_device_scalarIT2_EEPKiS6_PKS3_S8_S4_PS3_21rocsparse_index_base_b
                                        ; -- End function
	.set _ZN9rocsparseL19gebsrmvn_4xn_kernelILj128ELj5ELj16EdEEvi20rocsparse_direction_NS_24const_host_device_scalarIT2_EEPKiS6_PKS3_S8_S4_PS3_21rocsparse_index_base_b.num_vgpr, 55
	.set _ZN9rocsparseL19gebsrmvn_4xn_kernelILj128ELj5ELj16EdEEvi20rocsparse_direction_NS_24const_host_device_scalarIT2_EEPKiS6_PKS3_S8_S4_PS3_21rocsparse_index_base_b.num_agpr, 0
	.set _ZN9rocsparseL19gebsrmvn_4xn_kernelILj128ELj5ELj16EdEEvi20rocsparse_direction_NS_24const_host_device_scalarIT2_EEPKiS6_PKS3_S8_S4_PS3_21rocsparse_index_base_b.numbered_sgpr, 16
	.set _ZN9rocsparseL19gebsrmvn_4xn_kernelILj128ELj5ELj16EdEEvi20rocsparse_direction_NS_24const_host_device_scalarIT2_EEPKiS6_PKS3_S8_S4_PS3_21rocsparse_index_base_b.num_named_barrier, 0
	.set _ZN9rocsparseL19gebsrmvn_4xn_kernelILj128ELj5ELj16EdEEvi20rocsparse_direction_NS_24const_host_device_scalarIT2_EEPKiS6_PKS3_S8_S4_PS3_21rocsparse_index_base_b.private_seg_size, 0
	.set _ZN9rocsparseL19gebsrmvn_4xn_kernelILj128ELj5ELj16EdEEvi20rocsparse_direction_NS_24const_host_device_scalarIT2_EEPKiS6_PKS3_S8_S4_PS3_21rocsparse_index_base_b.uses_vcc, 1
	.set _ZN9rocsparseL19gebsrmvn_4xn_kernelILj128ELj5ELj16EdEEvi20rocsparse_direction_NS_24const_host_device_scalarIT2_EEPKiS6_PKS3_S8_S4_PS3_21rocsparse_index_base_b.uses_flat_scratch, 0
	.set _ZN9rocsparseL19gebsrmvn_4xn_kernelILj128ELj5ELj16EdEEvi20rocsparse_direction_NS_24const_host_device_scalarIT2_EEPKiS6_PKS3_S8_S4_PS3_21rocsparse_index_base_b.has_dyn_sized_stack, 0
	.set _ZN9rocsparseL19gebsrmvn_4xn_kernelILj128ELj5ELj16EdEEvi20rocsparse_direction_NS_24const_host_device_scalarIT2_EEPKiS6_PKS3_S8_S4_PS3_21rocsparse_index_base_b.has_recursion, 0
	.set _ZN9rocsparseL19gebsrmvn_4xn_kernelILj128ELj5ELj16EdEEvi20rocsparse_direction_NS_24const_host_device_scalarIT2_EEPKiS6_PKS3_S8_S4_PS3_21rocsparse_index_base_b.has_indirect_call, 0
	.section	.AMDGPU.csdata,"",@progbits
; Kernel info:
; codeLenInByte = 2640
; TotalNumSgprs: 20
; NumVgprs: 55
; ScratchSize: 0
; MemoryBound: 1
; FloatMode: 240
; IeeeMode: 1
; LDSByteSize: 0 bytes/workgroup (compile time only)
; SGPRBlocks: 2
; VGPRBlocks: 13
; NumSGPRsForWavesPerEU: 20
; NumVGPRsForWavesPerEU: 55
; Occupancy: 4
; WaveLimiterHint : 1
; COMPUTE_PGM_RSRC2:SCRATCH_EN: 0
; COMPUTE_PGM_RSRC2:USER_SGPR: 6
; COMPUTE_PGM_RSRC2:TRAP_HANDLER: 0
; COMPUTE_PGM_RSRC2:TGID_X_EN: 1
; COMPUTE_PGM_RSRC2:TGID_Y_EN: 0
; COMPUTE_PGM_RSRC2:TGID_Z_EN: 0
; COMPUTE_PGM_RSRC2:TIDIG_COMP_CNT: 0
	.section	.text._ZN9rocsparseL19gebsrmvn_4xn_kernelILj128ELj5ELj32EdEEvi20rocsparse_direction_NS_24const_host_device_scalarIT2_EEPKiS6_PKS3_S8_S4_PS3_21rocsparse_index_base_b,"axG",@progbits,_ZN9rocsparseL19gebsrmvn_4xn_kernelILj128ELj5ELj32EdEEvi20rocsparse_direction_NS_24const_host_device_scalarIT2_EEPKiS6_PKS3_S8_S4_PS3_21rocsparse_index_base_b,comdat
	.globl	_ZN9rocsparseL19gebsrmvn_4xn_kernelILj128ELj5ELj32EdEEvi20rocsparse_direction_NS_24const_host_device_scalarIT2_EEPKiS6_PKS3_S8_S4_PS3_21rocsparse_index_base_b ; -- Begin function _ZN9rocsparseL19gebsrmvn_4xn_kernelILj128ELj5ELj32EdEEvi20rocsparse_direction_NS_24const_host_device_scalarIT2_EEPKiS6_PKS3_S8_S4_PS3_21rocsparse_index_base_b
	.p2align	8
	.type	_ZN9rocsparseL19gebsrmvn_4xn_kernelILj128ELj5ELj32EdEEvi20rocsparse_direction_NS_24const_host_device_scalarIT2_EEPKiS6_PKS3_S8_S4_PS3_21rocsparse_index_base_b,@function
_ZN9rocsparseL19gebsrmvn_4xn_kernelILj128ELj5ELj32EdEEvi20rocsparse_direction_NS_24const_host_device_scalarIT2_EEPKiS6_PKS3_S8_S4_PS3_21rocsparse_index_base_b: ; @_ZN9rocsparseL19gebsrmvn_4xn_kernelILj128ELj5ELj32EdEEvi20rocsparse_direction_NS_24const_host_device_scalarIT2_EEPKiS6_PKS3_S8_S4_PS3_21rocsparse_index_base_b
; %bb.0:
	s_load_dwordx2 s[2:3], s[4:5], 0x40
	s_load_dwordx2 s[10:11], s[4:5], 0x8
	;; [unrolled: 1-line block ×3, first 2 shown]
	s_waitcnt lgkmcnt(0)
	s_bitcmp1_b32 s3, 0
	s_cselect_b64 s[12:13], -1, 0
	v_mov_b32_e32 v1, s10
	s_xor_b64 s[8:9], s[12:13], -1
	s_and_b64 vcc, exec, s[12:13]
	v_mov_b32_e32 v2, s11
	s_cbranch_vccnz .LBB55_2
; %bb.1:
	v_mov_b32_e32 v1, s10
	v_mov_b32_e32 v2, s11
	flat_load_dwordx2 v[1:2], v[1:2]
.LBB55_2:
	v_mov_b32_e32 v4, s1
	s_andn2_b64 vcc, exec, s[8:9]
	v_mov_b32_e32 v3, s0
	s_cbranch_vccnz .LBB55_4
; %bb.3:
	v_mov_b32_e32 v4, s1
	v_mov_b32_e32 v3, s0
	flat_load_dwordx2 v[3:4], v[3:4]
.LBB55_4:
	s_waitcnt vmcnt(0) lgkmcnt(0)
	v_cmp_neq_f64_e32 vcc, 0, v[1:2]
	v_cmp_neq_f64_e64 s[0:1], 1.0, v[3:4]
	s_or_b64 s[0:1], vcc, s[0:1]
	s_and_saveexec_b64 s[8:9], s[0:1]
	s_cbranch_execz .LBB55_23
; %bb.5:
	s_load_dwordx2 s[0:1], s[4:5], 0x0
	v_lshrrev_b32_e32 v5, 5, v0
	v_lshl_or_b32 v5, s6, 2, v5
	s_waitcnt lgkmcnt(0)
	v_cmp_gt_i32_e32 vcc, s0, v5
	s_and_b64 exec, exec, vcc
	s_cbranch_execz .LBB55_23
; %bb.6:
	s_load_dwordx8 s[8:15], s[4:5], 0x10
	v_ashrrev_i32_e32 v6, 31, v5
	v_lshlrev_b64 v[6:7], 2, v[5:6]
	v_and_b32_e32 v0, 31, v0
	s_cmp_lg_u32 s1, 0
	s_waitcnt lgkmcnt(0)
	v_mov_b32_e32 v8, s9
	v_add_co_u32_e32 v6, vcc, s8, v6
	v_addc_co_u32_e32 v7, vcc, v8, v7, vcc
	global_load_dwordx2 v[6:7], v[6:7], off
	s_waitcnt vmcnt(0)
	v_subrev_u32_e32 v6, s2, v6
	v_subrev_u32_e32 v22, s2, v7
	v_add_u32_e32 v6, v6, v0
	v_cmp_lt_i32_e64 s[0:1], v6, v22
	s_cbranch_scc0 .LBB55_12
; %bb.7:
	v_mov_b32_e32 v12, 0
	v_mov_b32_e32 v8, 0
	;; [unrolled: 1-line block ×8, first 2 shown]
	s_and_saveexec_b64 s[6:7], s[0:1]
	s_cbranch_execz .LBB55_11
; %bb.8:
	v_mad_u64_u32 v[16:17], s[8:9], v6, 20, 16
	v_mov_b32_e32 v12, 0
	v_mov_b32_e32 v8, 0
	v_mov_b32_e32 v10, 0
	v_mov_b32_e32 v14, 0
	v_mov_b32_e32 v13, 0
	s_mov_b64 s[8:9], 0
	v_mov_b32_e32 v7, s11
	v_mov_b32_e32 v19, 0
	;; [unrolled: 1-line block ×8, first 2 shown]
.LBB55_9:                               ; =>This Inner Loop Header: Depth=1
	v_ashrrev_i32_e32 v21, 31, v20
	v_lshlrev_b64 v[25:26], 2, v[20:21]
	v_add_u32_e32 v18, -16, v16
	v_lshlrev_b64 v[27:28], 3, v[18:19]
	v_add_co_u32_e32 v33, vcc, s10, v25
	v_mov_b32_e32 v17, v19
	v_addc_co_u32_e32 v34, vcc, v7, v26, vcc
	v_lshlrev_b64 v[29:30], 3, v[16:17]
	v_add_co_u32_e32 v35, vcc, s12, v27
	v_addc_co_u32_e32 v36, vcc, v23, v28, vcc
	v_add_co_u32_e32 v47, vcc, s12, v29
	v_addc_co_u32_e32 v48, vcc, v23, v30, vcc
	global_load_dword v21, v[33:34], off
	global_load_dwordx4 v[25:28], v[35:36], off
	global_load_dwordx4 v[29:32], v[35:36], off offset:16
	v_add_u32_e32 v18, -12, v16
	v_lshlrev_b64 v[17:18], 3, v[18:19]
	v_mov_b32_e32 v46, v19
	v_add_co_u32_e32 v17, vcc, s12, v17
	v_addc_co_u32_e32 v18, vcc, v23, v18, vcc
	global_load_dwordx4 v[33:36], v[47:48], off
	global_load_dwordx4 v[37:40], v[17:18], off
	v_add_u32_e32 v20, 32, v20
	s_waitcnt vmcnt(4)
	v_subrev_u32_e32 v21, s2, v21
	v_lshl_add_u32 v45, v21, 2, v21
	v_lshlrev_b64 v[41:42], 3, v[45:46]
	v_add_co_u32_e32 v49, vcc, s14, v41
	v_addc_co_u32_e32 v50, vcc, v24, v42, vcc
	global_load_dwordx2 v[49:50], v[49:50], off
	s_waitcnt vmcnt(0)
	v_fma_f64 v[12:13], v[25:26], v[49:50], v[12:13]
	global_load_dwordx4 v[41:44], v[17:18], off offset:16
	v_add_u32_e32 v18, 1, v45
	v_lshlrev_b64 v[25:26], 3, v[18:19]
	v_fma_f64 v[14:15], v[27:28], v[49:50], v[14:15]
	v_add_co_u32_e32 v25, vcc, s14, v25
	v_addc_co_u32_e32 v26, vcc, v24, v26, vcc
	global_load_dwordx2 v[25:26], v[25:26], off
	v_add_u32_e32 v18, -8, v16
	v_lshlrev_b64 v[27:28], 3, v[18:19]
	v_add_u32_e32 v18, 2, v45
	v_fma_f64 v[31:32], v[31:32], v[49:50], v[8:9]
	v_lshlrev_b64 v[8:9], 3, v[18:19]
	v_add_co_u32_e32 v27, vcc, s12, v27
	v_add_u32_e32 v18, -4, v16
	v_addc_co_u32_e32 v28, vcc, v23, v28, vcc
	v_fma_f64 v[29:30], v[29:30], v[49:50], v[10:11]
	v_lshlrev_b64 v[49:50], 3, v[18:19]
	v_add_co_u32_e32 v51, vcc, s14, v8
	v_add_u32_e32 v18, 3, v45
	v_addc_co_u32_e32 v52, vcc, v24, v9, vcc
	v_lshlrev_b64 v[53:54], 3, v[18:19]
	v_add_u32_e32 v18, 4, v45
	v_add_co_u32_e32 v45, vcc, s12, v49
	global_load_dwordx4 v[8:11], v[27:28], off
	v_addc_co_u32_e32 v46, vcc, v23, v50, vcc
	v_lshlrev_b64 v[17:18], 3, v[18:19]
	v_add_u32_e32 v16, 0x280, v16
	s_waitcnt vmcnt(1)
	v_fma_f64 v[37:38], v[37:38], v[25:26], v[12:13]
	v_fma_f64 v[39:40], v[39:40], v[25:26], v[14:15]
	global_load_dwordx4 v[12:15], v[27:28], off offset:16
	global_load_dwordx2 v[49:50], v[51:52], off
	v_fma_f64 v[41:42], v[41:42], v[25:26], v[29:30]
	v_add_co_u32_e32 v29, vcc, s14, v53
	v_fma_f64 v[43:44], v[43:44], v[25:26], v[31:32]
	v_addc_co_u32_e32 v30, vcc, v24, v54, vcc
	global_load_dwordx4 v[25:28], v[45:46], off
	v_add_co_u32_e32 v17, vcc, s14, v17
	v_addc_co_u32_e32 v18, vcc, v24, v18, vcc
	v_cmp_ge_i32_e32 vcc, v20, v22
	s_or_b64 s[8:9], vcc, s[8:9]
	s_waitcnt vmcnt(1)
	v_fma_f64 v[37:38], v[8:9], v[49:50], v[37:38]
	v_fma_f64 v[39:40], v[10:11], v[49:50], v[39:40]
	global_load_dwordx4 v[8:11], v[45:46], off offset:16
	global_load_dwordx2 v[51:52], v[29:30], off
	s_nop 0
	global_load_dwordx4 v[29:32], v[47:48], off offset:16
	global_load_dwordx2 v[45:46], v[17:18], off
	v_fma_f64 v[12:13], v[12:13], v[49:50], v[41:42]
	v_fma_f64 v[14:15], v[14:15], v[49:50], v[43:44]
	s_waitcnt vmcnt(2)
	v_fma_f64 v[17:18], v[25:26], v[51:52], v[37:38]
	v_fma_f64 v[25:26], v[27:28], v[51:52], v[39:40]
	;; [unrolled: 1-line block ×4, first 2 shown]
	s_waitcnt vmcnt(0)
	v_fma_f64 v[12:13], v[33:34], v[45:46], v[17:18]
	v_fma_f64 v[14:15], v[35:36], v[45:46], v[25:26]
	;; [unrolled: 1-line block ×4, first 2 shown]
	s_andn2_b64 exec, exec, s[8:9]
	s_cbranch_execnz .LBB55_9
; %bb.10:
	s_or_b64 exec, exec, s[8:9]
.LBB55_11:
	s_or_b64 exec, exec, s[6:7]
	s_cbranch_execz .LBB55_13
	s_branch .LBB55_18
.LBB55_12:
                                        ; implicit-def: $vgpr12_vgpr13
                                        ; implicit-def: $vgpr8_vgpr9
                                        ; implicit-def: $vgpr10_vgpr11
                                        ; implicit-def: $vgpr14_vgpr15
.LBB55_13:
	v_mov_b32_e32 v12, 0
	v_mov_b32_e32 v8, 0
	;; [unrolled: 1-line block ×8, first 2 shown]
	s_and_saveexec_b64 s[6:7], s[0:1]
	s_cbranch_execz .LBB55_17
; %bb.14:
	v_mad_u64_u32 v[16:17], s[0:1], v6, 20, 19
	v_mov_b32_e32 v12, 0
	v_mov_b32_e32 v8, 0
	;; [unrolled: 1-line block ×5, first 2 shown]
	s_mov_b64 s[0:1], 0
	v_mov_b32_e32 v20, s11
	v_mov_b32_e32 v19, 0
	;; [unrolled: 1-line block ×7, first 2 shown]
.LBB55_15:                              ; =>This Inner Loop Header: Depth=1
	v_ashrrev_i32_e32 v7, 31, v6
	v_lshlrev_b64 v[30:31], 2, v[6:7]
	v_subrev_u32_e32 v18, 19, v16
	v_add_co_u32_e32 v30, vcc, s10, v30
	v_addc_co_u32_e32 v31, vcc, v20, v31, vcc
	global_load_dword v7, v[30:31], off
	v_lshlrev_b64 v[32:33], 3, v[18:19]
	v_add_u32_e32 v24, -14, v16
	v_mov_b32_e32 v25, v19
	v_lshlrev_b64 v[24:25], 3, v[24:25]
	v_add_co_u32_e32 v32, vcc, s12, v32
	v_add_u32_e32 v26, -9, v16
	v_mov_b32_e32 v27, v19
	v_addc_co_u32_e32 v33, vcc, v21, v33, vcc
	v_lshlrev_b64 v[26:27], 3, v[26:27]
	v_add_co_u32_e32 v24, vcc, s12, v24
	v_add_u32_e32 v28, -4, v16
	v_mov_b32_e32 v29, v19
	v_addc_co_u32_e32 v25, vcc, v21, v25, vcc
	v_lshlrev_b64 v[28:29], 3, v[28:29]
	v_add_co_u32_e32 v26, vcc, s12, v26
	v_mov_b32_e32 v17, v19
	v_addc_co_u32_e32 v27, vcc, v21, v27, vcc
	v_lshlrev_b64 v[17:18], 3, v[16:17]
	v_add_co_u32_e32 v28, vcc, s12, v28
	v_addc_co_u32_e32 v29, vcc, v21, v29, vcc
	v_add_co_u32_e32 v34, vcc, s12, v17
	v_addc_co_u32_e32 v35, vcc, v21, v18, vcc
	v_mov_b32_e32 v18, v19
	v_add_u32_e32 v6, 32, v6
	s_waitcnt vmcnt(0)
	v_subrev_u32_e32 v7, s2, v7
	v_lshl_add_u32 v17, v7, 2, v7
	v_lshlrev_b64 v[30:31], 3, v[17:18]
	v_add_u32_e32 v18, 1, v17
	v_add_co_u32_e32 v30, vcc, s14, v30
	v_addc_co_u32_e32 v31, vcc, v23, v31, vcc
	global_load_dwordx2 v[38:39], v[24:25], off
	global_load_dwordx2 v[40:41], v[26:27], off
	;; [unrolled: 1-line block ×4, first 2 shown]
	v_lshlrev_b64 v[36:37], 3, v[18:19]
	v_add_u32_e32 v18, -13, v16
	v_add_co_u32_e32 v36, vcc, s14, v36
	v_addc_co_u32_e32 v37, vcc, v23, v37, vcc
	s_waitcnt vmcnt(0)
	v_fma_f64 v[28:29], v[40:41], v[44:45], v[10:11]
	v_fma_f64 v[30:31], v[42:43], v[44:45], v[8:9]
	global_load_dwordx4 v[7:10], v[32:33], off
	global_load_dwordx4 v[24:27], v[32:33], off offset:16
	v_fma_f64 v[14:15], v[38:39], v[44:45], v[14:15]
	s_waitcnt vmcnt(1)
	v_fma_f64 v[7:8], v[7:8], v[44:45], v[12:13]
	global_load_dwordx2 v[11:12], v[36:37], off
	s_waitcnt vmcnt(0)
	v_fma_f64 v[7:8], v[9:10], v[11:12], v[7:8]
	v_lshlrev_b64 v[9:10], 3, v[18:19]
	v_add_u32_e32 v18, -8, v16
	v_add_co_u32_e32 v9, vcc, s12, v9
	v_lshlrev_b64 v[32:33], 3, v[18:19]
	v_addc_co_u32_e32 v10, vcc, v21, v10, vcc
	v_add_u32_e32 v18, -3, v16
	v_add_co_u32_e32 v32, vcc, s12, v32
	v_lshlrev_b64 v[36:37], 3, v[18:19]
	v_addc_co_u32_e32 v33, vcc, v21, v33, vcc
	v_add_co_u32_e32 v36, vcc, s12, v36
	v_addc_co_u32_e32 v37, vcc, v21, v37, vcc
	global_load_dwordx2 v[38:39], v[9:10], off
	global_load_dwordx2 v[40:41], v[32:33], off
	global_load_dwordx2 v[42:43], v[36:37], off
	v_add_u32_e32 v18, 2, v17
	s_waitcnt vmcnt(2)
	v_fma_f64 v[9:10], v[38:39], v[11:12], v[14:15]
	s_waitcnt vmcnt(1)
	v_fma_f64 v[13:14], v[40:41], v[11:12], v[28:29]
	v_lshlrev_b64 v[28:29], 3, v[18:19]
	v_add_u32_e32 v18, -12, v16
	s_waitcnt vmcnt(0)
	v_fma_f64 v[11:12], v[42:43], v[11:12], v[30:31]
	v_lshlrev_b64 v[30:31], 3, v[18:19]
	v_add_co_u32_e32 v28, vcc, s14, v28
	v_add_u32_e32 v18, -7, v16
	v_addc_co_u32_e32 v29, vcc, v23, v29, vcc
	v_add_co_u32_e32 v30, vcc, s12, v30
	v_lshlrev_b64 v[32:33], 3, v[18:19]
	v_addc_co_u32_e32 v31, vcc, v21, v31, vcc
	v_add_u32_e32 v18, -2, v16
	v_add_co_u32_e32 v32, vcc, s12, v32
	v_lshlrev_b64 v[36:37], 3, v[18:19]
	v_addc_co_u32_e32 v33, vcc, v21, v33, vcc
	v_add_co_u32_e32 v36, vcc, s12, v36
	v_addc_co_u32_e32 v37, vcc, v21, v37, vcc
	v_add_u32_e32 v18, 3, v17
	global_load_dwordx2 v[42:43], v[28:29], off
	global_load_dwordx2 v[44:45], v[30:31], off
	;; [unrolled: 1-line block ×4, first 2 shown]
	v_lshlrev_b64 v[38:39], 3, v[18:19]
	v_add_u32_e32 v18, -11, v16
	v_add_co_u32_e32 v38, vcc, s14, v38
	v_addc_co_u32_e32 v39, vcc, v23, v39, vcc
	global_load_dwordx2 v[28:29], v[38:39], off
	v_lshlrev_b64 v[40:41], 3, v[18:19]
	v_add_u32_e32 v18, -6, v16
	v_add_co_u32_e32 v40, vcc, s12, v40
	v_addc_co_u32_e32 v41, vcc, v21, v41, vcc
	s_waitcnt vmcnt(4)
	v_fma_f64 v[7:8], v[24:25], v[42:43], v[7:8]
	v_lshlrev_b64 v[24:25], 3, v[18:19]
	v_add_u32_e32 v18, -1, v16
	v_add_co_u32_e32 v24, vcc, s12, v24
	v_addc_co_u32_e32 v25, vcc, v21, v25, vcc
	s_waitcnt vmcnt(3)
	v_fma_f64 v[9:10], v[44:45], v[42:43], v[9:10]
	s_waitcnt vmcnt(2)
	v_fma_f64 v[13:14], v[46:47], v[42:43], v[13:14]
	;; [unrolled: 2-line block ×4, first 2 shown]
	v_lshlrev_b64 v[26:27], 3, v[18:19]
	v_add_u32_e32 v18, -15, v16
	v_lshlrev_b64 v[30:31], 3, v[18:19]
	v_add_co_u32_e32 v26, vcc, s12, v26
	v_addc_co_u32_e32 v27, vcc, v21, v27, vcc
	v_add_co_u32_e32 v30, vcc, s12, v30
	v_addc_co_u32_e32 v31, vcc, v21, v31, vcc
	global_load_dwordx2 v[38:39], v[40:41], off
	global_load_dwordx2 v[42:43], v[24:25], off
	;; [unrolled: 1-line block ×4, first 2 shown]
	v_add_u32_e32 v18, 4, v17
	v_lshlrev_b64 v[17:18], 3, v[18:19]
	v_add_co_u32_e32 v32, vcc, s14, v17
	v_addc_co_u32_e32 v33, vcc, v23, v18, vcc
	v_add_u32_e32 v18, -10, v16
	v_lshlrev_b64 v[17:18], 3, v[18:19]
	v_add_co_u32_e32 v36, vcc, s12, v17
	v_addc_co_u32_e32 v37, vcc, v21, v18, vcc
	v_add_u32_e32 v18, -5, v16
	v_lshlrev_b64 v[17:18], 3, v[18:19]
	v_add_u32_e32 v16, 0x280, v16
	v_add_co_u32_e32 v17, vcc, s12, v17
	v_addc_co_u32_e32 v18, vcc, v21, v18, vcc
	v_cmp_ge_i32_e32 vcc, v6, v22
	s_or_b64 s[0:1], vcc, s[0:1]
	s_waitcnt vmcnt(3)
	v_fma_f64 v[9:10], v[38:39], v[28:29], v[9:10]
	s_waitcnt vmcnt(2)
	v_fma_f64 v[24:25], v[42:43], v[28:29], v[13:14]
	global_load_dwordx2 v[26:27], v[32:33], off
	global_load_dwordx2 v[14:15], v[36:37], off
	;; [unrolled: 1-line block ×4, first 2 shown]
	s_waitcnt vmcnt(5)
	v_fma_f64 v[17:18], v[44:45], v[28:29], v[11:12]
	s_waitcnt vmcnt(3)
	v_fma_f64 v[12:13], v[46:47], v[26:27], v[7:8]
	;; [unrolled: 2-line block ×5, first 2 shown]
	s_andn2_b64 exec, exec, s[0:1]
	s_cbranch_execnz .LBB55_15
; %bb.16:
	s_or_b64 exec, exec, s[0:1]
.LBB55_17:
	s_or_b64 exec, exec, s[6:7]
.LBB55_18:
	v_mov_b32_dpp v6, v12 row_shr:1 row_mask:0xf bank_mask:0xf
	v_mov_b32_dpp v7, v13 row_shr:1 row_mask:0xf bank_mask:0xf
	v_add_f64 v[6:7], v[12:13], v[6:7]
	v_mov_b32_dpp v12, v14 row_shr:1 row_mask:0xf bank_mask:0xf
	v_mov_b32_dpp v13, v15 row_shr:1 row_mask:0xf bank_mask:0xf
	v_add_f64 v[12:13], v[14:15], v[12:13]
	;; [unrolled: 3-line block ×3, first 2 shown]
	v_cmp_eq_u32_e32 vcc, 31, v0
	v_mov_b32_dpp v14, v6 row_shr:2 row_mask:0xf bank_mask:0xf
	v_mov_b32_dpp v15, v7 row_shr:2 row_mask:0xf bank_mask:0xf
	v_add_f64 v[6:7], v[6:7], v[14:15]
	v_mov_b32_dpp v14, v8 row_shr:1 row_mask:0xf bank_mask:0xf
	v_mov_b32_dpp v15, v9 row_shr:1 row_mask:0xf bank_mask:0xf
	v_add_f64 v[8:9], v[8:9], v[14:15]
	;; [unrolled: 3-line block ×4, first 2 shown]
	v_mov_b32_dpp v16, v10 row_shr:2 row_mask:0xf bank_mask:0xf
	v_mov_b32_dpp v17, v11 row_shr:2 row_mask:0xf bank_mask:0xf
	;; [unrolled: 1-line block ×3, first 2 shown]
	v_add_f64 v[10:11], v[10:11], v[16:17]
	v_mov_b32_dpp v15, v9 row_shr:2 row_mask:0xf bank_mask:0xf
	v_add_f64 v[8:9], v[8:9], v[14:15]
	v_mov_b32_dpp v16, v12 row_shr:4 row_mask:0xf bank_mask:0xe
	v_mov_b32_dpp v17, v13 row_shr:4 row_mask:0xf bank_mask:0xe
	v_add_f64 v[12:13], v[12:13], v[16:17]
	v_mov_b32_dpp v14, v6 row_shr:8 row_mask:0xf bank_mask:0xc
	v_mov_b32_dpp v15, v7 row_shr:8 row_mask:0xf bank_mask:0xc
	;; [unrolled: 1-line block ×4, first 2 shown]
	v_add_f64 v[10:11], v[10:11], v[16:17]
	v_mov_b32_dpp v16, v8 row_shr:4 row_mask:0xf bank_mask:0xe
	v_mov_b32_dpp v17, v9 row_shr:4 row_mask:0xf bank_mask:0xe
	v_add_f64 v[16:17], v[8:9], v[16:17]
	v_mov_b32_dpp v8, v12 row_shr:8 row_mask:0xf bank_mask:0xc
	v_mov_b32_dpp v9, v13 row_shr:8 row_mask:0xf bank_mask:0xc
	v_add_f64 v[8:9], v[12:13], v[8:9]
	v_add_f64 v[6:7], v[6:7], v[14:15]
	v_mov_b32_dpp v12, v10 row_shr:8 row_mask:0xf bank_mask:0xc
	v_mov_b32_dpp v13, v11 row_shr:8 row_mask:0xf bank_mask:0xc
	v_add_f64 v[14:15], v[10:11], v[12:13]
	v_mov_b32_dpp v10, v16 row_shr:8 row_mask:0xf bank_mask:0xc
	v_mov_b32_dpp v11, v17 row_shr:8 row_mask:0xf bank_mask:0xc
	v_add_f64 v[16:17], v[16:17], v[10:11]
	v_mov_b32_dpp v10, v8 row_bcast:15 row_mask:0xa bank_mask:0xf
	v_mov_b32_dpp v12, v6 row_bcast:15 row_mask:0xa bank_mask:0xf
	;; [unrolled: 1-line block ×8, first 2 shown]
	s_and_b64 exec, exec, vcc
	s_cbranch_execz .LBB55_23
; %bb.19:
	v_add_f64 v[12:13], v[6:7], v[12:13]
	v_add_f64 v[10:11], v[8:9], v[10:11]
	;; [unrolled: 1-line block ×4, first 2 shown]
	v_cmp_eq_f64_e32 vcc, 0, v[3:4]
	s_load_dwordx2 s[0:1], s[4:5], 0x38
	s_and_saveexec_b64 s[2:3], vcc
	s_xor_b64 s[2:3], exec, s[2:3]
	s_cbranch_execz .LBB55_21
; %bb.20:
	v_mul_f64 v[12:13], v[1:2], v[12:13]
	v_mul_f64 v[14:15], v[1:2], v[10:11]
	v_lshlrev_b32_e32 v16, 2, v5
	v_mul_f64 v[3:4], v[1:2], v[6:7]
	v_mul_f64 v[5:6], v[1:2], v[8:9]
	v_ashrrev_i32_e32 v17, 31, v16
	v_lshlrev_b64 v[0:1], 3, v[16:17]
	s_waitcnt lgkmcnt(0)
	v_mov_b32_e32 v2, s1
	v_add_co_u32_e32 v0, vcc, s0, v0
	v_addc_co_u32_e32 v1, vcc, v2, v1, vcc
	global_store_dwordx4 v[0:1], v[12:15], off
	global_store_dwordx4 v[0:1], v[3:6], off offset:16
                                        ; implicit-def: $vgpr5
                                        ; implicit-def: $vgpr1_vgpr2
                                        ; implicit-def: $vgpr12_vgpr13
                                        ; implicit-def: $vgpr3_vgpr4
                                        ; implicit-def: $vgpr10_vgpr11
                                        ; implicit-def: $vgpr6_vgpr7
                                        ; implicit-def: $vgpr8_vgpr9
.LBB55_21:
	s_andn2_saveexec_b64 s[2:3], s[2:3]
	s_cbranch_execz .LBB55_23
; %bb.22:
	v_lshlrev_b32_e32 v14, 2, v5
	v_ashrrev_i32_e32 v15, 31, v14
	v_lshlrev_b64 v[14:15], 3, v[14:15]
	s_waitcnt lgkmcnt(0)
	v_mov_b32_e32 v0, s1
	v_add_co_u32_e32 v22, vcc, s0, v14
	v_addc_co_u32_e32 v23, vcc, v0, v15, vcc
	global_load_dwordx4 v[14:17], v[22:23], off
	global_load_dwordx4 v[18:21], v[22:23], off offset:16
	v_mul_f64 v[12:13], v[1:2], v[12:13]
	v_mul_f64 v[10:11], v[1:2], v[10:11]
	;; [unrolled: 1-line block ×4, first 2 shown]
	s_waitcnt vmcnt(1)
	v_fma_f64 v[5:6], v[3:4], v[14:15], v[12:13]
	v_fma_f64 v[7:8], v[3:4], v[16:17], v[10:11]
	s_waitcnt vmcnt(0)
	v_fma_f64 v[0:1], v[3:4], v[18:19], v[24:25]
	v_fma_f64 v[2:3], v[3:4], v[20:21], v[26:27]
	global_store_dwordx4 v[22:23], v[5:8], off
	global_store_dwordx4 v[22:23], v[0:3], off offset:16
.LBB55_23:
	s_endpgm
	.section	.rodata,"a",@progbits
	.p2align	6, 0x0
	.amdhsa_kernel _ZN9rocsparseL19gebsrmvn_4xn_kernelILj128ELj5ELj32EdEEvi20rocsparse_direction_NS_24const_host_device_scalarIT2_EEPKiS6_PKS3_S8_S4_PS3_21rocsparse_index_base_b
		.amdhsa_group_segment_fixed_size 0
		.amdhsa_private_segment_fixed_size 0
		.amdhsa_kernarg_size 72
		.amdhsa_user_sgpr_count 6
		.amdhsa_user_sgpr_private_segment_buffer 1
		.amdhsa_user_sgpr_dispatch_ptr 0
		.amdhsa_user_sgpr_queue_ptr 0
		.amdhsa_user_sgpr_kernarg_segment_ptr 1
		.amdhsa_user_sgpr_dispatch_id 0
		.amdhsa_user_sgpr_flat_scratch_init 0
		.amdhsa_user_sgpr_private_segment_size 0
		.amdhsa_uses_dynamic_stack 0
		.amdhsa_system_sgpr_private_segment_wavefront_offset 0
		.amdhsa_system_sgpr_workgroup_id_x 1
		.amdhsa_system_sgpr_workgroup_id_y 0
		.amdhsa_system_sgpr_workgroup_id_z 0
		.amdhsa_system_sgpr_workgroup_info 0
		.amdhsa_system_vgpr_workitem_id 0
		.amdhsa_next_free_vgpr 55
		.amdhsa_next_free_sgpr 16
		.amdhsa_reserve_vcc 1
		.amdhsa_reserve_flat_scratch 0
		.amdhsa_float_round_mode_32 0
		.amdhsa_float_round_mode_16_64 0
		.amdhsa_float_denorm_mode_32 3
		.amdhsa_float_denorm_mode_16_64 3
		.amdhsa_dx10_clamp 1
		.amdhsa_ieee_mode 1
		.amdhsa_fp16_overflow 0
		.amdhsa_exception_fp_ieee_invalid_op 0
		.amdhsa_exception_fp_denorm_src 0
		.amdhsa_exception_fp_ieee_div_zero 0
		.amdhsa_exception_fp_ieee_overflow 0
		.amdhsa_exception_fp_ieee_underflow 0
		.amdhsa_exception_fp_ieee_inexact 0
		.amdhsa_exception_int_div_zero 0
	.end_amdhsa_kernel
	.section	.text._ZN9rocsparseL19gebsrmvn_4xn_kernelILj128ELj5ELj32EdEEvi20rocsparse_direction_NS_24const_host_device_scalarIT2_EEPKiS6_PKS3_S8_S4_PS3_21rocsparse_index_base_b,"axG",@progbits,_ZN9rocsparseL19gebsrmvn_4xn_kernelILj128ELj5ELj32EdEEvi20rocsparse_direction_NS_24const_host_device_scalarIT2_EEPKiS6_PKS3_S8_S4_PS3_21rocsparse_index_base_b,comdat
.Lfunc_end55:
	.size	_ZN9rocsparseL19gebsrmvn_4xn_kernelILj128ELj5ELj32EdEEvi20rocsparse_direction_NS_24const_host_device_scalarIT2_EEPKiS6_PKS3_S8_S4_PS3_21rocsparse_index_base_b, .Lfunc_end55-_ZN9rocsparseL19gebsrmvn_4xn_kernelILj128ELj5ELj32EdEEvi20rocsparse_direction_NS_24const_host_device_scalarIT2_EEPKiS6_PKS3_S8_S4_PS3_21rocsparse_index_base_b
                                        ; -- End function
	.set _ZN9rocsparseL19gebsrmvn_4xn_kernelILj128ELj5ELj32EdEEvi20rocsparse_direction_NS_24const_host_device_scalarIT2_EEPKiS6_PKS3_S8_S4_PS3_21rocsparse_index_base_b.num_vgpr, 55
	.set _ZN9rocsparseL19gebsrmvn_4xn_kernelILj128ELj5ELj32EdEEvi20rocsparse_direction_NS_24const_host_device_scalarIT2_EEPKiS6_PKS3_S8_S4_PS3_21rocsparse_index_base_b.num_agpr, 0
	.set _ZN9rocsparseL19gebsrmvn_4xn_kernelILj128ELj5ELj32EdEEvi20rocsparse_direction_NS_24const_host_device_scalarIT2_EEPKiS6_PKS3_S8_S4_PS3_21rocsparse_index_base_b.numbered_sgpr, 16
	.set _ZN9rocsparseL19gebsrmvn_4xn_kernelILj128ELj5ELj32EdEEvi20rocsparse_direction_NS_24const_host_device_scalarIT2_EEPKiS6_PKS3_S8_S4_PS3_21rocsparse_index_base_b.num_named_barrier, 0
	.set _ZN9rocsparseL19gebsrmvn_4xn_kernelILj128ELj5ELj32EdEEvi20rocsparse_direction_NS_24const_host_device_scalarIT2_EEPKiS6_PKS3_S8_S4_PS3_21rocsparse_index_base_b.private_seg_size, 0
	.set _ZN9rocsparseL19gebsrmvn_4xn_kernelILj128ELj5ELj32EdEEvi20rocsparse_direction_NS_24const_host_device_scalarIT2_EEPKiS6_PKS3_S8_S4_PS3_21rocsparse_index_base_b.uses_vcc, 1
	.set _ZN9rocsparseL19gebsrmvn_4xn_kernelILj128ELj5ELj32EdEEvi20rocsparse_direction_NS_24const_host_device_scalarIT2_EEPKiS6_PKS3_S8_S4_PS3_21rocsparse_index_base_b.uses_flat_scratch, 0
	.set _ZN9rocsparseL19gebsrmvn_4xn_kernelILj128ELj5ELj32EdEEvi20rocsparse_direction_NS_24const_host_device_scalarIT2_EEPKiS6_PKS3_S8_S4_PS3_21rocsparse_index_base_b.has_dyn_sized_stack, 0
	.set _ZN9rocsparseL19gebsrmvn_4xn_kernelILj128ELj5ELj32EdEEvi20rocsparse_direction_NS_24const_host_device_scalarIT2_EEPKiS6_PKS3_S8_S4_PS3_21rocsparse_index_base_b.has_recursion, 0
	.set _ZN9rocsparseL19gebsrmvn_4xn_kernelILj128ELj5ELj32EdEEvi20rocsparse_direction_NS_24const_host_device_scalarIT2_EEPKiS6_PKS3_S8_S4_PS3_21rocsparse_index_base_b.has_indirect_call, 0
	.section	.AMDGPU.csdata,"",@progbits
; Kernel info:
; codeLenInByte = 2736
; TotalNumSgprs: 20
; NumVgprs: 55
; ScratchSize: 0
; MemoryBound: 1
; FloatMode: 240
; IeeeMode: 1
; LDSByteSize: 0 bytes/workgroup (compile time only)
; SGPRBlocks: 2
; VGPRBlocks: 13
; NumSGPRsForWavesPerEU: 20
; NumVGPRsForWavesPerEU: 55
; Occupancy: 4
; WaveLimiterHint : 1
; COMPUTE_PGM_RSRC2:SCRATCH_EN: 0
; COMPUTE_PGM_RSRC2:USER_SGPR: 6
; COMPUTE_PGM_RSRC2:TRAP_HANDLER: 0
; COMPUTE_PGM_RSRC2:TGID_X_EN: 1
; COMPUTE_PGM_RSRC2:TGID_Y_EN: 0
; COMPUTE_PGM_RSRC2:TGID_Z_EN: 0
; COMPUTE_PGM_RSRC2:TIDIG_COMP_CNT: 0
	.section	.text._ZN9rocsparseL19gebsrmvn_4xn_kernelILj128ELj5ELj64EdEEvi20rocsparse_direction_NS_24const_host_device_scalarIT2_EEPKiS6_PKS3_S8_S4_PS3_21rocsparse_index_base_b,"axG",@progbits,_ZN9rocsparseL19gebsrmvn_4xn_kernelILj128ELj5ELj64EdEEvi20rocsparse_direction_NS_24const_host_device_scalarIT2_EEPKiS6_PKS3_S8_S4_PS3_21rocsparse_index_base_b,comdat
	.globl	_ZN9rocsparseL19gebsrmvn_4xn_kernelILj128ELj5ELj64EdEEvi20rocsparse_direction_NS_24const_host_device_scalarIT2_EEPKiS6_PKS3_S8_S4_PS3_21rocsparse_index_base_b ; -- Begin function _ZN9rocsparseL19gebsrmvn_4xn_kernelILj128ELj5ELj64EdEEvi20rocsparse_direction_NS_24const_host_device_scalarIT2_EEPKiS6_PKS3_S8_S4_PS3_21rocsparse_index_base_b
	.p2align	8
	.type	_ZN9rocsparseL19gebsrmvn_4xn_kernelILj128ELj5ELj64EdEEvi20rocsparse_direction_NS_24const_host_device_scalarIT2_EEPKiS6_PKS3_S8_S4_PS3_21rocsparse_index_base_b,@function
_ZN9rocsparseL19gebsrmvn_4xn_kernelILj128ELj5ELj64EdEEvi20rocsparse_direction_NS_24const_host_device_scalarIT2_EEPKiS6_PKS3_S8_S4_PS3_21rocsparse_index_base_b: ; @_ZN9rocsparseL19gebsrmvn_4xn_kernelILj128ELj5ELj64EdEEvi20rocsparse_direction_NS_24const_host_device_scalarIT2_EEPKiS6_PKS3_S8_S4_PS3_21rocsparse_index_base_b
; %bb.0:
	s_load_dwordx2 s[2:3], s[4:5], 0x40
	s_load_dwordx2 s[10:11], s[4:5], 0x8
	;; [unrolled: 1-line block ×3, first 2 shown]
	s_waitcnt lgkmcnt(0)
	s_bitcmp1_b32 s3, 0
	s_cselect_b64 s[12:13], -1, 0
	v_mov_b32_e32 v1, s10
	s_xor_b64 s[8:9], s[12:13], -1
	s_and_b64 vcc, exec, s[12:13]
	v_mov_b32_e32 v2, s11
	s_cbranch_vccnz .LBB56_2
; %bb.1:
	v_mov_b32_e32 v1, s10
	v_mov_b32_e32 v2, s11
	flat_load_dwordx2 v[1:2], v[1:2]
.LBB56_2:
	v_mov_b32_e32 v4, s1
	s_andn2_b64 vcc, exec, s[8:9]
	v_mov_b32_e32 v3, s0
	s_cbranch_vccnz .LBB56_4
; %bb.3:
	v_mov_b32_e32 v4, s1
	v_mov_b32_e32 v3, s0
	flat_load_dwordx2 v[3:4], v[3:4]
.LBB56_4:
	s_waitcnt vmcnt(0) lgkmcnt(0)
	v_cmp_neq_f64_e32 vcc, 0, v[1:2]
	v_cmp_neq_f64_e64 s[0:1], 1.0, v[3:4]
	s_or_b64 s[0:1], vcc, s[0:1]
	s_and_saveexec_b64 s[8:9], s[0:1]
	s_cbranch_execz .LBB56_23
; %bb.5:
	s_load_dwordx2 s[0:1], s[4:5], 0x0
	v_lshrrev_b32_e32 v5, 6, v0
	v_lshl_or_b32 v5, s6, 1, v5
	s_waitcnt lgkmcnt(0)
	v_cmp_gt_i32_e32 vcc, s0, v5
	s_and_b64 exec, exec, vcc
	s_cbranch_execz .LBB56_23
; %bb.6:
	s_load_dwordx8 s[8:15], s[4:5], 0x10
	v_ashrrev_i32_e32 v6, 31, v5
	v_lshlrev_b64 v[6:7], 2, v[5:6]
	v_and_b32_e32 v0, 63, v0
	s_cmp_lg_u32 s1, 0
	s_waitcnt lgkmcnt(0)
	v_mov_b32_e32 v8, s9
	v_add_co_u32_e32 v6, vcc, s8, v6
	v_addc_co_u32_e32 v7, vcc, v8, v7, vcc
	global_load_dwordx2 v[6:7], v[6:7], off
	s_waitcnt vmcnt(0)
	v_subrev_u32_e32 v6, s2, v6
	v_subrev_u32_e32 v22, s2, v7
	v_add_u32_e32 v6, v6, v0
	v_cmp_lt_i32_e64 s[0:1], v6, v22
	s_cbranch_scc0 .LBB56_12
; %bb.7:
	v_mov_b32_e32 v12, 0
	v_mov_b32_e32 v8, 0
	;; [unrolled: 1-line block ×8, first 2 shown]
	s_and_saveexec_b64 s[6:7], s[0:1]
	s_cbranch_execz .LBB56_11
; %bb.8:
	v_mad_u64_u32 v[16:17], s[8:9], v6, 20, 16
	v_mov_b32_e32 v12, 0
	v_mov_b32_e32 v8, 0
	;; [unrolled: 1-line block ×5, first 2 shown]
	s_mov_b64 s[8:9], 0
	v_mov_b32_e32 v7, s11
	v_mov_b32_e32 v19, 0
	;; [unrolled: 1-line block ×8, first 2 shown]
.LBB56_9:                               ; =>This Inner Loop Header: Depth=1
	v_ashrrev_i32_e32 v21, 31, v20
	v_lshlrev_b64 v[25:26], 2, v[20:21]
	v_add_u32_e32 v18, -16, v16
	v_lshlrev_b64 v[27:28], 3, v[18:19]
	v_add_co_u32_e32 v33, vcc, s10, v25
	v_mov_b32_e32 v17, v19
	v_addc_co_u32_e32 v34, vcc, v7, v26, vcc
	v_lshlrev_b64 v[29:30], 3, v[16:17]
	v_add_co_u32_e32 v35, vcc, s12, v27
	v_addc_co_u32_e32 v36, vcc, v23, v28, vcc
	v_add_co_u32_e32 v47, vcc, s12, v29
	v_addc_co_u32_e32 v48, vcc, v23, v30, vcc
	global_load_dword v21, v[33:34], off
	global_load_dwordx4 v[25:28], v[35:36], off
	global_load_dwordx4 v[29:32], v[35:36], off offset:16
	v_add_u32_e32 v18, -12, v16
	v_lshlrev_b64 v[17:18], 3, v[18:19]
	v_mov_b32_e32 v46, v19
	v_add_co_u32_e32 v17, vcc, s12, v17
	v_addc_co_u32_e32 v18, vcc, v23, v18, vcc
	global_load_dwordx4 v[33:36], v[47:48], off
	global_load_dwordx4 v[37:40], v[17:18], off
	v_add_u32_e32 v20, 64, v20
	s_waitcnt vmcnt(4)
	v_subrev_u32_e32 v21, s2, v21
	v_lshl_add_u32 v45, v21, 2, v21
	v_lshlrev_b64 v[41:42], 3, v[45:46]
	v_add_co_u32_e32 v49, vcc, s14, v41
	v_addc_co_u32_e32 v50, vcc, v24, v42, vcc
	global_load_dwordx2 v[49:50], v[49:50], off
	s_waitcnt vmcnt(0)
	v_fma_f64 v[12:13], v[25:26], v[49:50], v[12:13]
	global_load_dwordx4 v[41:44], v[17:18], off offset:16
	v_add_u32_e32 v18, 1, v45
	v_lshlrev_b64 v[25:26], 3, v[18:19]
	v_fma_f64 v[14:15], v[27:28], v[49:50], v[14:15]
	v_add_co_u32_e32 v25, vcc, s14, v25
	v_addc_co_u32_e32 v26, vcc, v24, v26, vcc
	global_load_dwordx2 v[25:26], v[25:26], off
	v_add_u32_e32 v18, -8, v16
	v_lshlrev_b64 v[27:28], 3, v[18:19]
	v_add_u32_e32 v18, 2, v45
	v_fma_f64 v[31:32], v[31:32], v[49:50], v[8:9]
	v_lshlrev_b64 v[8:9], 3, v[18:19]
	v_add_co_u32_e32 v27, vcc, s12, v27
	v_add_u32_e32 v18, -4, v16
	v_addc_co_u32_e32 v28, vcc, v23, v28, vcc
	v_fma_f64 v[29:30], v[29:30], v[49:50], v[10:11]
	v_lshlrev_b64 v[49:50], 3, v[18:19]
	v_add_co_u32_e32 v51, vcc, s14, v8
	v_add_u32_e32 v18, 3, v45
	v_addc_co_u32_e32 v52, vcc, v24, v9, vcc
	v_lshlrev_b64 v[53:54], 3, v[18:19]
	v_add_u32_e32 v18, 4, v45
	v_add_co_u32_e32 v45, vcc, s12, v49
	global_load_dwordx4 v[8:11], v[27:28], off
	v_addc_co_u32_e32 v46, vcc, v23, v50, vcc
	v_lshlrev_b64 v[17:18], 3, v[18:19]
	v_add_u32_e32 v16, 0x500, v16
	s_waitcnt vmcnt(1)
	v_fma_f64 v[37:38], v[37:38], v[25:26], v[12:13]
	v_fma_f64 v[39:40], v[39:40], v[25:26], v[14:15]
	global_load_dwordx4 v[12:15], v[27:28], off offset:16
	global_load_dwordx2 v[49:50], v[51:52], off
	v_fma_f64 v[41:42], v[41:42], v[25:26], v[29:30]
	v_add_co_u32_e32 v29, vcc, s14, v53
	v_fma_f64 v[43:44], v[43:44], v[25:26], v[31:32]
	v_addc_co_u32_e32 v30, vcc, v24, v54, vcc
	global_load_dwordx4 v[25:28], v[45:46], off
	v_add_co_u32_e32 v17, vcc, s14, v17
	v_addc_co_u32_e32 v18, vcc, v24, v18, vcc
	v_cmp_ge_i32_e32 vcc, v20, v22
	s_or_b64 s[8:9], vcc, s[8:9]
	s_waitcnt vmcnt(1)
	v_fma_f64 v[37:38], v[8:9], v[49:50], v[37:38]
	v_fma_f64 v[39:40], v[10:11], v[49:50], v[39:40]
	global_load_dwordx4 v[8:11], v[45:46], off offset:16
	global_load_dwordx2 v[51:52], v[29:30], off
	s_nop 0
	global_load_dwordx4 v[29:32], v[47:48], off offset:16
	global_load_dwordx2 v[45:46], v[17:18], off
	v_fma_f64 v[12:13], v[12:13], v[49:50], v[41:42]
	v_fma_f64 v[14:15], v[14:15], v[49:50], v[43:44]
	s_waitcnt vmcnt(2)
	v_fma_f64 v[17:18], v[25:26], v[51:52], v[37:38]
	v_fma_f64 v[25:26], v[27:28], v[51:52], v[39:40]
	;; [unrolled: 1-line block ×4, first 2 shown]
	s_waitcnt vmcnt(0)
	v_fma_f64 v[12:13], v[33:34], v[45:46], v[17:18]
	v_fma_f64 v[14:15], v[35:36], v[45:46], v[25:26]
	;; [unrolled: 1-line block ×4, first 2 shown]
	s_andn2_b64 exec, exec, s[8:9]
	s_cbranch_execnz .LBB56_9
; %bb.10:
	s_or_b64 exec, exec, s[8:9]
.LBB56_11:
	s_or_b64 exec, exec, s[6:7]
	s_cbranch_execz .LBB56_13
	s_branch .LBB56_18
.LBB56_12:
                                        ; implicit-def: $vgpr12_vgpr13
                                        ; implicit-def: $vgpr8_vgpr9
                                        ; implicit-def: $vgpr10_vgpr11
                                        ; implicit-def: $vgpr14_vgpr15
.LBB56_13:
	v_mov_b32_e32 v12, 0
	v_mov_b32_e32 v8, 0
	;; [unrolled: 1-line block ×8, first 2 shown]
	s_and_saveexec_b64 s[6:7], s[0:1]
	s_cbranch_execz .LBB56_17
; %bb.14:
	v_mad_u64_u32 v[16:17], s[0:1], v6, 20, 19
	v_mov_b32_e32 v12, 0
	v_mov_b32_e32 v8, 0
	;; [unrolled: 1-line block ×5, first 2 shown]
	s_mov_b64 s[0:1], 0
	v_mov_b32_e32 v20, s11
	v_mov_b32_e32 v19, 0
	;; [unrolled: 1-line block ×7, first 2 shown]
.LBB56_15:                              ; =>This Inner Loop Header: Depth=1
	v_ashrrev_i32_e32 v7, 31, v6
	v_lshlrev_b64 v[30:31], 2, v[6:7]
	v_subrev_u32_e32 v18, 19, v16
	v_add_co_u32_e32 v30, vcc, s10, v30
	v_addc_co_u32_e32 v31, vcc, v20, v31, vcc
	global_load_dword v7, v[30:31], off
	v_lshlrev_b64 v[32:33], 3, v[18:19]
	v_add_u32_e32 v24, -14, v16
	v_mov_b32_e32 v25, v19
	v_lshlrev_b64 v[24:25], 3, v[24:25]
	v_add_co_u32_e32 v32, vcc, s12, v32
	v_add_u32_e32 v26, -9, v16
	v_mov_b32_e32 v27, v19
	v_addc_co_u32_e32 v33, vcc, v21, v33, vcc
	v_lshlrev_b64 v[26:27], 3, v[26:27]
	v_add_co_u32_e32 v24, vcc, s12, v24
	v_add_u32_e32 v28, -4, v16
	v_mov_b32_e32 v29, v19
	v_addc_co_u32_e32 v25, vcc, v21, v25, vcc
	v_lshlrev_b64 v[28:29], 3, v[28:29]
	v_add_co_u32_e32 v26, vcc, s12, v26
	v_mov_b32_e32 v17, v19
	v_addc_co_u32_e32 v27, vcc, v21, v27, vcc
	v_lshlrev_b64 v[17:18], 3, v[16:17]
	v_add_co_u32_e32 v28, vcc, s12, v28
	v_addc_co_u32_e32 v29, vcc, v21, v29, vcc
	v_add_co_u32_e32 v34, vcc, s12, v17
	v_addc_co_u32_e32 v35, vcc, v21, v18, vcc
	v_mov_b32_e32 v18, v19
	v_add_u32_e32 v6, 64, v6
	s_waitcnt vmcnt(0)
	v_subrev_u32_e32 v7, s2, v7
	v_lshl_add_u32 v17, v7, 2, v7
	v_lshlrev_b64 v[30:31], 3, v[17:18]
	v_add_u32_e32 v18, 1, v17
	v_add_co_u32_e32 v30, vcc, s14, v30
	v_addc_co_u32_e32 v31, vcc, v23, v31, vcc
	global_load_dwordx2 v[38:39], v[24:25], off
	global_load_dwordx2 v[40:41], v[26:27], off
	;; [unrolled: 1-line block ×4, first 2 shown]
	v_lshlrev_b64 v[36:37], 3, v[18:19]
	v_add_u32_e32 v18, -13, v16
	v_add_co_u32_e32 v36, vcc, s14, v36
	v_addc_co_u32_e32 v37, vcc, v23, v37, vcc
	s_waitcnt vmcnt(0)
	v_fma_f64 v[28:29], v[40:41], v[44:45], v[10:11]
	v_fma_f64 v[30:31], v[42:43], v[44:45], v[8:9]
	global_load_dwordx4 v[7:10], v[32:33], off
	global_load_dwordx4 v[24:27], v[32:33], off offset:16
	v_fma_f64 v[14:15], v[38:39], v[44:45], v[14:15]
	s_waitcnt vmcnt(1)
	v_fma_f64 v[7:8], v[7:8], v[44:45], v[12:13]
	global_load_dwordx2 v[11:12], v[36:37], off
	s_waitcnt vmcnt(0)
	v_fma_f64 v[7:8], v[9:10], v[11:12], v[7:8]
	v_lshlrev_b64 v[9:10], 3, v[18:19]
	v_add_u32_e32 v18, -8, v16
	v_add_co_u32_e32 v9, vcc, s12, v9
	v_lshlrev_b64 v[32:33], 3, v[18:19]
	v_addc_co_u32_e32 v10, vcc, v21, v10, vcc
	v_add_u32_e32 v18, -3, v16
	v_add_co_u32_e32 v32, vcc, s12, v32
	v_lshlrev_b64 v[36:37], 3, v[18:19]
	v_addc_co_u32_e32 v33, vcc, v21, v33, vcc
	v_add_co_u32_e32 v36, vcc, s12, v36
	v_addc_co_u32_e32 v37, vcc, v21, v37, vcc
	global_load_dwordx2 v[38:39], v[9:10], off
	global_load_dwordx2 v[40:41], v[32:33], off
	;; [unrolled: 1-line block ×3, first 2 shown]
	v_add_u32_e32 v18, 2, v17
	s_waitcnt vmcnt(2)
	v_fma_f64 v[9:10], v[38:39], v[11:12], v[14:15]
	s_waitcnt vmcnt(1)
	v_fma_f64 v[13:14], v[40:41], v[11:12], v[28:29]
	v_lshlrev_b64 v[28:29], 3, v[18:19]
	v_add_u32_e32 v18, -12, v16
	s_waitcnt vmcnt(0)
	v_fma_f64 v[11:12], v[42:43], v[11:12], v[30:31]
	v_lshlrev_b64 v[30:31], 3, v[18:19]
	v_add_co_u32_e32 v28, vcc, s14, v28
	v_add_u32_e32 v18, -7, v16
	v_addc_co_u32_e32 v29, vcc, v23, v29, vcc
	v_add_co_u32_e32 v30, vcc, s12, v30
	v_lshlrev_b64 v[32:33], 3, v[18:19]
	v_addc_co_u32_e32 v31, vcc, v21, v31, vcc
	v_add_u32_e32 v18, -2, v16
	v_add_co_u32_e32 v32, vcc, s12, v32
	v_lshlrev_b64 v[36:37], 3, v[18:19]
	v_addc_co_u32_e32 v33, vcc, v21, v33, vcc
	v_add_co_u32_e32 v36, vcc, s12, v36
	v_addc_co_u32_e32 v37, vcc, v21, v37, vcc
	v_add_u32_e32 v18, 3, v17
	global_load_dwordx2 v[42:43], v[28:29], off
	global_load_dwordx2 v[44:45], v[30:31], off
	;; [unrolled: 1-line block ×4, first 2 shown]
	v_lshlrev_b64 v[38:39], 3, v[18:19]
	v_add_u32_e32 v18, -11, v16
	v_add_co_u32_e32 v38, vcc, s14, v38
	v_addc_co_u32_e32 v39, vcc, v23, v39, vcc
	global_load_dwordx2 v[28:29], v[38:39], off
	v_lshlrev_b64 v[40:41], 3, v[18:19]
	v_add_u32_e32 v18, -6, v16
	v_add_co_u32_e32 v40, vcc, s12, v40
	v_addc_co_u32_e32 v41, vcc, v21, v41, vcc
	s_waitcnt vmcnt(4)
	v_fma_f64 v[7:8], v[24:25], v[42:43], v[7:8]
	v_lshlrev_b64 v[24:25], 3, v[18:19]
	v_add_u32_e32 v18, -1, v16
	v_add_co_u32_e32 v24, vcc, s12, v24
	v_addc_co_u32_e32 v25, vcc, v21, v25, vcc
	s_waitcnt vmcnt(3)
	v_fma_f64 v[9:10], v[44:45], v[42:43], v[9:10]
	s_waitcnt vmcnt(2)
	v_fma_f64 v[13:14], v[46:47], v[42:43], v[13:14]
	;; [unrolled: 2-line block ×4, first 2 shown]
	v_lshlrev_b64 v[26:27], 3, v[18:19]
	v_add_u32_e32 v18, -15, v16
	v_lshlrev_b64 v[30:31], 3, v[18:19]
	v_add_co_u32_e32 v26, vcc, s12, v26
	v_addc_co_u32_e32 v27, vcc, v21, v27, vcc
	v_add_co_u32_e32 v30, vcc, s12, v30
	v_addc_co_u32_e32 v31, vcc, v21, v31, vcc
	global_load_dwordx2 v[38:39], v[40:41], off
	global_load_dwordx2 v[42:43], v[24:25], off
	;; [unrolled: 1-line block ×4, first 2 shown]
	v_add_u32_e32 v18, 4, v17
	v_lshlrev_b64 v[17:18], 3, v[18:19]
	v_add_co_u32_e32 v32, vcc, s14, v17
	v_addc_co_u32_e32 v33, vcc, v23, v18, vcc
	v_add_u32_e32 v18, -10, v16
	v_lshlrev_b64 v[17:18], 3, v[18:19]
	v_add_co_u32_e32 v36, vcc, s12, v17
	v_addc_co_u32_e32 v37, vcc, v21, v18, vcc
	v_add_u32_e32 v18, -5, v16
	v_lshlrev_b64 v[17:18], 3, v[18:19]
	v_add_u32_e32 v16, 0x500, v16
	v_add_co_u32_e32 v17, vcc, s12, v17
	v_addc_co_u32_e32 v18, vcc, v21, v18, vcc
	v_cmp_ge_i32_e32 vcc, v6, v22
	s_or_b64 s[0:1], vcc, s[0:1]
	s_waitcnt vmcnt(3)
	v_fma_f64 v[9:10], v[38:39], v[28:29], v[9:10]
	s_waitcnt vmcnt(2)
	v_fma_f64 v[24:25], v[42:43], v[28:29], v[13:14]
	global_load_dwordx2 v[26:27], v[32:33], off
	global_load_dwordx2 v[14:15], v[36:37], off
	global_load_dwordx2 v[30:31], v[17:18], off
	global_load_dwordx2 v[38:39], v[34:35], off
	s_waitcnt vmcnt(5)
	v_fma_f64 v[17:18], v[44:45], v[28:29], v[11:12]
	s_waitcnt vmcnt(3)
	v_fma_f64 v[12:13], v[46:47], v[26:27], v[7:8]
	;; [unrolled: 2-line block ×5, first 2 shown]
	s_andn2_b64 exec, exec, s[0:1]
	s_cbranch_execnz .LBB56_15
; %bb.16:
	s_or_b64 exec, exec, s[0:1]
.LBB56_17:
	s_or_b64 exec, exec, s[6:7]
.LBB56_18:
	v_mov_b32_dpp v6, v12 row_shr:1 row_mask:0xf bank_mask:0xf
	v_mov_b32_dpp v7, v13 row_shr:1 row_mask:0xf bank_mask:0xf
	v_add_f64 v[6:7], v[12:13], v[6:7]
	v_mov_b32_dpp v12, v14 row_shr:1 row_mask:0xf bank_mask:0xf
	v_mov_b32_dpp v13, v15 row_shr:1 row_mask:0xf bank_mask:0xf
	v_add_f64 v[12:13], v[14:15], v[12:13]
	;; [unrolled: 3-line block ×3, first 2 shown]
	v_cmp_eq_u32_e32 vcc, 63, v0
	v_mov_b32_dpp v14, v6 row_shr:2 row_mask:0xf bank_mask:0xf
	v_mov_b32_dpp v15, v7 row_shr:2 row_mask:0xf bank_mask:0xf
	v_add_f64 v[6:7], v[6:7], v[14:15]
	v_mov_b32_dpp v14, v10 row_shr:1 row_mask:0xf bank_mask:0xf
	v_mov_b32_dpp v15, v11 row_shr:1 row_mask:0xf bank_mask:0xf
	v_add_f64 v[10:11], v[10:11], v[14:15]
	v_mov_b32_dpp v14, v12 row_shr:2 row_mask:0xf bank_mask:0xf
	v_mov_b32_dpp v15, v6 row_shr:4 row_mask:0xf bank_mask:0xe
	v_mov_b32_dpp v16, v7 row_shr:4 row_mask:0xf bank_mask:0xe
	v_add_f64 v[6:7], v[6:7], v[15:16]
	v_mov_b32_dpp v15, v13 row_shr:2 row_mask:0xf bank_mask:0xf
	;; [unrolled: 4-line block ×3, first 2 shown]
	v_add_f64 v[10:11], v[10:11], v[16:17]
	v_mov_b32_dpp v15, v9 row_shr:2 row_mask:0xf bank_mask:0xf
	v_add_f64 v[8:9], v[8:9], v[14:15]
	v_mov_b32_dpp v16, v6 row_shr:8 row_mask:0xf bank_mask:0xc
	v_mov_b32_dpp v17, v7 row_shr:8 row_mask:0xf bank_mask:0xc
	v_add_f64 v[6:7], v[6:7], v[16:17]
	v_mov_b32_dpp v14, v12 row_shr:4 row_mask:0xf bank_mask:0xe
	v_mov_b32_dpp v15, v13 row_shr:4 row_mask:0xf bank_mask:0xe
	;; [unrolled: 1-line block ×3, first 2 shown]
	v_add_f64 v[12:13], v[12:13], v[14:15]
	v_mov_b32_dpp v17, v11 row_shr:4 row_mask:0xf bank_mask:0xe
	v_add_f64 v[10:11], v[10:11], v[16:17]
	v_mov_b32_dpp v15, v8 row_shr:4 row_mask:0xf bank_mask:0xe
	v_mov_b32_dpp v16, v9 row_shr:4 row_mask:0xf bank_mask:0xe
	v_add_f64 v[8:9], v[8:9], v[15:16]
	v_mov_b32_dpp v14, v6 row_bcast:15 row_mask:0xa bank_mask:0xf
	v_mov_b32_dpp v15, v7 row_bcast:15 row_mask:0xa bank_mask:0xf
	v_mov_b32_dpp v16, v12 row_shr:8 row_mask:0xf bank_mask:0xc
	v_mov_b32_dpp v17, v13 row_shr:8 row_mask:0xf bank_mask:0xc
	v_add_f64 v[12:13], v[12:13], v[16:17]
	v_mov_b32_dpp v16, v10 row_shr:8 row_mask:0xf bank_mask:0xc
	v_mov_b32_dpp v17, v11 row_shr:8 row_mask:0xf bank_mask:0xc
	v_add_f64 v[10:11], v[10:11], v[16:17]
	;; [unrolled: 3-line block ×3, first 2 shown]
	v_add_f64 v[6:7], v[6:7], v[14:15]
	v_mov_b32_dpp v8, v12 row_bcast:15 row_mask:0xa bank_mask:0xf
	v_mov_b32_dpp v9, v13 row_bcast:15 row_mask:0xa bank_mask:0xf
	v_add_f64 v[8:9], v[12:13], v[8:9]
	v_mov_b32_dpp v12, v10 row_bcast:15 row_mask:0xa bank_mask:0xf
	v_mov_b32_dpp v13, v11 row_bcast:15 row_mask:0xa bank_mask:0xf
	;; [unrolled: 3-line block ×4, first 2 shown]
	v_mov_b32_dpp v10, v8 row_bcast:31 row_mask:0xc bank_mask:0xf
	v_mov_b32_dpp v11, v9 row_bcast:31 row_mask:0xc bank_mask:0xf
	;; [unrolled: 1-line block ×6, first 2 shown]
	s_and_b64 exec, exec, vcc
	s_cbranch_execz .LBB56_23
; %bb.19:
	v_add_f64 v[12:13], v[6:7], v[12:13]
	v_add_f64 v[10:11], v[8:9], v[10:11]
	;; [unrolled: 1-line block ×4, first 2 shown]
	v_cmp_eq_f64_e32 vcc, 0, v[3:4]
	s_load_dwordx2 s[0:1], s[4:5], 0x38
	s_and_saveexec_b64 s[2:3], vcc
	s_xor_b64 s[2:3], exec, s[2:3]
	s_cbranch_execz .LBB56_21
; %bb.20:
	v_mul_f64 v[12:13], v[1:2], v[12:13]
	v_mul_f64 v[14:15], v[1:2], v[10:11]
	v_lshlrev_b32_e32 v16, 2, v5
	v_mul_f64 v[3:4], v[1:2], v[6:7]
	v_mul_f64 v[5:6], v[1:2], v[8:9]
	v_ashrrev_i32_e32 v17, 31, v16
	v_lshlrev_b64 v[0:1], 3, v[16:17]
	s_waitcnt lgkmcnt(0)
	v_mov_b32_e32 v2, s1
	v_add_co_u32_e32 v0, vcc, s0, v0
	v_addc_co_u32_e32 v1, vcc, v2, v1, vcc
	global_store_dwordx4 v[0:1], v[12:15], off
	global_store_dwordx4 v[0:1], v[3:6], off offset:16
                                        ; implicit-def: $vgpr5
                                        ; implicit-def: $vgpr1_vgpr2
                                        ; implicit-def: $vgpr12_vgpr13
                                        ; implicit-def: $vgpr3_vgpr4
                                        ; implicit-def: $vgpr10_vgpr11
                                        ; implicit-def: $vgpr6_vgpr7
                                        ; implicit-def: $vgpr8_vgpr9
.LBB56_21:
	s_andn2_saveexec_b64 s[2:3], s[2:3]
	s_cbranch_execz .LBB56_23
; %bb.22:
	v_lshlrev_b32_e32 v14, 2, v5
	v_ashrrev_i32_e32 v15, 31, v14
	v_lshlrev_b64 v[14:15], 3, v[14:15]
	s_waitcnt lgkmcnt(0)
	v_mov_b32_e32 v0, s1
	v_add_co_u32_e32 v22, vcc, s0, v14
	v_addc_co_u32_e32 v23, vcc, v0, v15, vcc
	global_load_dwordx4 v[14:17], v[22:23], off
	global_load_dwordx4 v[18:21], v[22:23], off offset:16
	v_mul_f64 v[12:13], v[1:2], v[12:13]
	v_mul_f64 v[10:11], v[1:2], v[10:11]
	;; [unrolled: 1-line block ×4, first 2 shown]
	s_waitcnt vmcnt(1)
	v_fma_f64 v[5:6], v[3:4], v[14:15], v[12:13]
	v_fma_f64 v[7:8], v[3:4], v[16:17], v[10:11]
	s_waitcnt vmcnt(0)
	v_fma_f64 v[0:1], v[3:4], v[18:19], v[24:25]
	v_fma_f64 v[2:3], v[3:4], v[20:21], v[26:27]
	global_store_dwordx4 v[22:23], v[5:8], off
	global_store_dwordx4 v[22:23], v[0:3], off offset:16
.LBB56_23:
	s_endpgm
	.section	.rodata,"a",@progbits
	.p2align	6, 0x0
	.amdhsa_kernel _ZN9rocsparseL19gebsrmvn_4xn_kernelILj128ELj5ELj64EdEEvi20rocsparse_direction_NS_24const_host_device_scalarIT2_EEPKiS6_PKS3_S8_S4_PS3_21rocsparse_index_base_b
		.amdhsa_group_segment_fixed_size 0
		.amdhsa_private_segment_fixed_size 0
		.amdhsa_kernarg_size 72
		.amdhsa_user_sgpr_count 6
		.amdhsa_user_sgpr_private_segment_buffer 1
		.amdhsa_user_sgpr_dispatch_ptr 0
		.amdhsa_user_sgpr_queue_ptr 0
		.amdhsa_user_sgpr_kernarg_segment_ptr 1
		.amdhsa_user_sgpr_dispatch_id 0
		.amdhsa_user_sgpr_flat_scratch_init 0
		.amdhsa_user_sgpr_private_segment_size 0
		.amdhsa_uses_dynamic_stack 0
		.amdhsa_system_sgpr_private_segment_wavefront_offset 0
		.amdhsa_system_sgpr_workgroup_id_x 1
		.amdhsa_system_sgpr_workgroup_id_y 0
		.amdhsa_system_sgpr_workgroup_id_z 0
		.amdhsa_system_sgpr_workgroup_info 0
		.amdhsa_system_vgpr_workitem_id 0
		.amdhsa_next_free_vgpr 55
		.amdhsa_next_free_sgpr 16
		.amdhsa_reserve_vcc 1
		.amdhsa_reserve_flat_scratch 0
		.amdhsa_float_round_mode_32 0
		.amdhsa_float_round_mode_16_64 0
		.amdhsa_float_denorm_mode_32 3
		.amdhsa_float_denorm_mode_16_64 3
		.amdhsa_dx10_clamp 1
		.amdhsa_ieee_mode 1
		.amdhsa_fp16_overflow 0
		.amdhsa_exception_fp_ieee_invalid_op 0
		.amdhsa_exception_fp_denorm_src 0
		.amdhsa_exception_fp_ieee_div_zero 0
		.amdhsa_exception_fp_ieee_overflow 0
		.amdhsa_exception_fp_ieee_underflow 0
		.amdhsa_exception_fp_ieee_inexact 0
		.amdhsa_exception_int_div_zero 0
	.end_amdhsa_kernel
	.section	.text._ZN9rocsparseL19gebsrmvn_4xn_kernelILj128ELj5ELj64EdEEvi20rocsparse_direction_NS_24const_host_device_scalarIT2_EEPKiS6_PKS3_S8_S4_PS3_21rocsparse_index_base_b,"axG",@progbits,_ZN9rocsparseL19gebsrmvn_4xn_kernelILj128ELj5ELj64EdEEvi20rocsparse_direction_NS_24const_host_device_scalarIT2_EEPKiS6_PKS3_S8_S4_PS3_21rocsparse_index_base_b,comdat
.Lfunc_end56:
	.size	_ZN9rocsparseL19gebsrmvn_4xn_kernelILj128ELj5ELj64EdEEvi20rocsparse_direction_NS_24const_host_device_scalarIT2_EEPKiS6_PKS3_S8_S4_PS3_21rocsparse_index_base_b, .Lfunc_end56-_ZN9rocsparseL19gebsrmvn_4xn_kernelILj128ELj5ELj64EdEEvi20rocsparse_direction_NS_24const_host_device_scalarIT2_EEPKiS6_PKS3_S8_S4_PS3_21rocsparse_index_base_b
                                        ; -- End function
	.set _ZN9rocsparseL19gebsrmvn_4xn_kernelILj128ELj5ELj64EdEEvi20rocsparse_direction_NS_24const_host_device_scalarIT2_EEPKiS6_PKS3_S8_S4_PS3_21rocsparse_index_base_b.num_vgpr, 55
	.set _ZN9rocsparseL19gebsrmvn_4xn_kernelILj128ELj5ELj64EdEEvi20rocsparse_direction_NS_24const_host_device_scalarIT2_EEPKiS6_PKS3_S8_S4_PS3_21rocsparse_index_base_b.num_agpr, 0
	.set _ZN9rocsparseL19gebsrmvn_4xn_kernelILj128ELj5ELj64EdEEvi20rocsparse_direction_NS_24const_host_device_scalarIT2_EEPKiS6_PKS3_S8_S4_PS3_21rocsparse_index_base_b.numbered_sgpr, 16
	.set _ZN9rocsparseL19gebsrmvn_4xn_kernelILj128ELj5ELj64EdEEvi20rocsparse_direction_NS_24const_host_device_scalarIT2_EEPKiS6_PKS3_S8_S4_PS3_21rocsparse_index_base_b.num_named_barrier, 0
	.set _ZN9rocsparseL19gebsrmvn_4xn_kernelILj128ELj5ELj64EdEEvi20rocsparse_direction_NS_24const_host_device_scalarIT2_EEPKiS6_PKS3_S8_S4_PS3_21rocsparse_index_base_b.private_seg_size, 0
	.set _ZN9rocsparseL19gebsrmvn_4xn_kernelILj128ELj5ELj64EdEEvi20rocsparse_direction_NS_24const_host_device_scalarIT2_EEPKiS6_PKS3_S8_S4_PS3_21rocsparse_index_base_b.uses_vcc, 1
	.set _ZN9rocsparseL19gebsrmvn_4xn_kernelILj128ELj5ELj64EdEEvi20rocsparse_direction_NS_24const_host_device_scalarIT2_EEPKiS6_PKS3_S8_S4_PS3_21rocsparse_index_base_b.uses_flat_scratch, 0
	.set _ZN9rocsparseL19gebsrmvn_4xn_kernelILj128ELj5ELj64EdEEvi20rocsparse_direction_NS_24const_host_device_scalarIT2_EEPKiS6_PKS3_S8_S4_PS3_21rocsparse_index_base_b.has_dyn_sized_stack, 0
	.set _ZN9rocsparseL19gebsrmvn_4xn_kernelILj128ELj5ELj64EdEEvi20rocsparse_direction_NS_24const_host_device_scalarIT2_EEPKiS6_PKS3_S8_S4_PS3_21rocsparse_index_base_b.has_recursion, 0
	.set _ZN9rocsparseL19gebsrmvn_4xn_kernelILj128ELj5ELj64EdEEvi20rocsparse_direction_NS_24const_host_device_scalarIT2_EEPKiS6_PKS3_S8_S4_PS3_21rocsparse_index_base_b.has_indirect_call, 0
	.section	.AMDGPU.csdata,"",@progbits
; Kernel info:
; codeLenInByte = 2832
; TotalNumSgprs: 20
; NumVgprs: 55
; ScratchSize: 0
; MemoryBound: 1
; FloatMode: 240
; IeeeMode: 1
; LDSByteSize: 0 bytes/workgroup (compile time only)
; SGPRBlocks: 2
; VGPRBlocks: 13
; NumSGPRsForWavesPerEU: 20
; NumVGPRsForWavesPerEU: 55
; Occupancy: 4
; WaveLimiterHint : 1
; COMPUTE_PGM_RSRC2:SCRATCH_EN: 0
; COMPUTE_PGM_RSRC2:USER_SGPR: 6
; COMPUTE_PGM_RSRC2:TRAP_HANDLER: 0
; COMPUTE_PGM_RSRC2:TGID_X_EN: 1
; COMPUTE_PGM_RSRC2:TGID_Y_EN: 0
; COMPUTE_PGM_RSRC2:TGID_Z_EN: 0
; COMPUTE_PGM_RSRC2:TIDIG_COMP_CNT: 0
	.section	.text._ZN9rocsparseL19gebsrmvn_4xn_kernelILj128ELj6ELj4EdEEvi20rocsparse_direction_NS_24const_host_device_scalarIT2_EEPKiS6_PKS3_S8_S4_PS3_21rocsparse_index_base_b,"axG",@progbits,_ZN9rocsparseL19gebsrmvn_4xn_kernelILj128ELj6ELj4EdEEvi20rocsparse_direction_NS_24const_host_device_scalarIT2_EEPKiS6_PKS3_S8_S4_PS3_21rocsparse_index_base_b,comdat
	.globl	_ZN9rocsparseL19gebsrmvn_4xn_kernelILj128ELj6ELj4EdEEvi20rocsparse_direction_NS_24const_host_device_scalarIT2_EEPKiS6_PKS3_S8_S4_PS3_21rocsparse_index_base_b ; -- Begin function _ZN9rocsparseL19gebsrmvn_4xn_kernelILj128ELj6ELj4EdEEvi20rocsparse_direction_NS_24const_host_device_scalarIT2_EEPKiS6_PKS3_S8_S4_PS3_21rocsparse_index_base_b
	.p2align	8
	.type	_ZN9rocsparseL19gebsrmvn_4xn_kernelILj128ELj6ELj4EdEEvi20rocsparse_direction_NS_24const_host_device_scalarIT2_EEPKiS6_PKS3_S8_S4_PS3_21rocsparse_index_base_b,@function
_ZN9rocsparseL19gebsrmvn_4xn_kernelILj128ELj6ELj4EdEEvi20rocsparse_direction_NS_24const_host_device_scalarIT2_EEPKiS6_PKS3_S8_S4_PS3_21rocsparse_index_base_b: ; @_ZN9rocsparseL19gebsrmvn_4xn_kernelILj128ELj6ELj4EdEEvi20rocsparse_direction_NS_24const_host_device_scalarIT2_EEPKiS6_PKS3_S8_S4_PS3_21rocsparse_index_base_b
; %bb.0:
	s_load_dwordx2 s[16:17], s[4:5], 0x40
	s_load_dwordx2 s[8:9], s[4:5], 0x8
	;; [unrolled: 1-line block ×3, first 2 shown]
	s_waitcnt lgkmcnt(0)
	s_bitcmp1_b32 s17, 0
	s_cselect_b64 s[10:11], -1, 0
	v_mov_b32_e32 v1, s8
	s_xor_b64 s[2:3], s[10:11], -1
	s_and_b64 vcc, exec, s[10:11]
	v_mov_b32_e32 v2, s9
	s_cbranch_vccnz .LBB57_2
; %bb.1:
	v_mov_b32_e32 v1, s8
	v_mov_b32_e32 v2, s9
	flat_load_dwordx2 v[1:2], v[1:2]
.LBB57_2:
	v_mov_b32_e32 v4, s1
	s_andn2_b64 vcc, exec, s[2:3]
	v_mov_b32_e32 v3, s0
	s_cbranch_vccnz .LBB57_4
; %bb.3:
	v_mov_b32_e32 v4, s1
	v_mov_b32_e32 v3, s0
	flat_load_dwordx2 v[3:4], v[3:4]
.LBB57_4:
	s_waitcnt vmcnt(0) lgkmcnt(0)
	v_cmp_neq_f64_e32 vcc, 0, v[1:2]
	v_cmp_neq_f64_e64 s[0:1], 1.0, v[3:4]
	s_or_b64 s[0:1], vcc, s[0:1]
	s_and_saveexec_b64 s[2:3], s[0:1]
	s_cbranch_execz .LBB57_23
; %bb.5:
	s_load_dwordx2 s[0:1], s[4:5], 0x0
	v_lshrrev_b32_e32 v5, 2, v0
	v_lshl_or_b32 v5, s6, 5, v5
	s_waitcnt lgkmcnt(0)
	v_cmp_gt_i32_e32 vcc, s0, v5
	s_and_b64 exec, exec, vcc
	s_cbranch_execz .LBB57_23
; %bb.6:
	s_load_dwordx8 s[8:15], s[4:5], 0x10
	v_ashrrev_i32_e32 v6, 31, v5
	v_lshlrev_b64 v[6:7], 2, v[5:6]
	v_and_b32_e32 v0, 3, v0
	s_cmp_lg_u32 s1, 0
	s_waitcnt lgkmcnt(0)
	v_mov_b32_e32 v8, s9
	v_add_co_u32_e32 v6, vcc, s8, v6
	v_addc_co_u32_e32 v7, vcc, v8, v7, vcc
	global_load_dwordx2 v[6:7], v[6:7], off
	s_waitcnt vmcnt(0)
	v_subrev_u32_e32 v6, s16, v6
	v_subrev_u32_e32 v22, s16, v7
	v_add_u32_e32 v6, v6, v0
	v_cmp_lt_i32_e64 s[0:1], v6, v22
	s_cbranch_scc0 .LBB57_12
; %bb.7:
	v_mov_b32_e32 v12, 0
	v_mov_b32_e32 v8, 0
	;; [unrolled: 1-line block ×8, first 2 shown]
	s_and_saveexec_b64 s[6:7], s[0:1]
	s_cbranch_execz .LBB57_11
; %bb.8:
	v_mad_u64_u32 v[16:17], s[2:3], v6, 24, 20
	v_mov_b32_e32 v12, 0
	v_mov_b32_e32 v8, 0
	;; [unrolled: 1-line block ×5, first 2 shown]
	s_mov_b64 s[8:9], 0
	v_mov_b32_e32 v7, s11
	v_mov_b32_e32 v19, 0
	;; [unrolled: 1-line block ×8, first 2 shown]
.LBB57_9:                               ; =>This Inner Loop Header: Depth=1
	v_ashrrev_i32_e32 v21, 31, v20
	v_subrev_u32_e32 v18, 20, v16
	v_lshlrev_b64 v[25:26], 2, v[20:21]
	v_lshlrev_b64 v[27:28], 3, v[18:19]
	v_add_co_u32_e32 v29, vcc, s10, v25
	v_add_co_u32_e64 v37, s[2:3], s12, v27
	v_addc_co_u32_e32 v30, vcc, v7, v26, vcc
	v_addc_co_u32_e64 v38, vcc, v23, v28, s[2:3]
	global_load_dword v21, v[29:30], off
	global_load_dwordx4 v[25:28], v[37:38], off
	v_mov_b32_e32 v34, v19
	v_mov_b32_e32 v17, v19
	v_add_u32_e32 v18, -12, v16
	v_lshlrev_b64 v[35:36], 3, v[16:17]
	v_lshlrev_b64 v[17:18], 3, v[18:19]
	v_add_u32_e32 v20, 4, v20
	v_add_co_u32_e32 v17, vcc, s12, v17
	v_addc_co_u32_e32 v18, vcc, v23, v18, vcc
	s_waitcnt vmcnt(1)
	v_subrev_u32_e32 v21, s16, v21
	v_mul_lo_u32 v33, v21, 6
	v_lshlrev_b64 v[29:30], 3, v[33:34]
	v_add_co_u32_e64 v29, s[2:3], s14, v29
	v_addc_co_u32_e64 v30, s[2:3], v24, v30, s[2:3]
	global_load_dwordx4 v[29:32], v[29:30], off
	s_waitcnt vmcnt(0)
	v_fma_f64 v[25:26], v[25:26], v[29:30], v[12:13]
	v_fma_f64 v[27:28], v[27:28], v[29:30], v[14:15]
	global_load_dwordx4 v[12:15], v[37:38], off offset:16
	s_waitcnt vmcnt(0)
	v_fma_f64 v[39:40], v[12:13], v[29:30], v[10:11]
	v_fma_f64 v[29:30], v[14:15], v[29:30], v[8:9]
	global_load_dwordx4 v[8:11], v[37:38], off offset:32
	global_load_dwordx4 v[12:15], v[37:38], off offset:48
	s_waitcnt vmcnt(1)
	v_fma_f64 v[37:38], v[8:9], v[31:32], v[25:26]
	v_fma_f64 v[41:42], v[10:11], v[31:32], v[27:28]
	global_load_dwordx4 v[8:11], v[17:18], off offset:16
	s_waitcnt vmcnt(1)
	v_fma_f64 v[39:40], v[12:13], v[31:32], v[39:40]
	v_fma_f64 v[29:30], v[14:15], v[31:32], v[29:30]
	global_load_dwordx4 v[12:15], v[17:18], off
	v_add_u32_e32 v18, 2, v33
	v_lshlrev_b64 v[25:26], 3, v[18:19]
	v_add_u32_e32 v18, -8, v16
	v_add_co_u32_e32 v25, vcc, s14, v25
	v_addc_co_u32_e32 v26, vcc, v24, v26, vcc
	global_load_dwordx4 v[25:28], v[25:26], off
	v_lshlrev_b64 v[31:32], 3, v[18:19]
	v_add_u32_e32 v18, -4, v16
	v_lshlrev_b64 v[43:44], 3, v[18:19]
	v_add_u32_e32 v18, 4, v33
	v_lshlrev_b64 v[17:18], 3, v[18:19]
	v_add_u32_e32 v16, 0x60, v16
	s_waitcnt vmcnt(0)
	v_fma_f64 v[33:34], v[12:13], v[25:26], v[37:38]
	v_add_co_u32_e32 v12, vcc, s12, v31
	v_addc_co_u32_e32 v13, vcc, v23, v32, vcc
	v_fma_f64 v[37:38], v[14:15], v[25:26], v[41:42]
	v_fma_f64 v[39:40], v[8:9], v[25:26], v[39:40]
	;; [unrolled: 1-line block ×3, first 2 shown]
	global_load_dwordx4 v[8:11], v[12:13], off
	v_add_co_u32_e32 v31, vcc, s12, v43
	global_load_dwordx4 v[12:15], v[12:13], off offset:16
	v_addc_co_u32_e32 v32, vcc, v23, v44, vcc
	v_add_co_u32_e32 v17, vcc, s14, v17
	v_addc_co_u32_e32 v18, vcc, v24, v18, vcc
	s_waitcnt vmcnt(1)
	v_fma_f64 v[33:34], v[8:9], v[27:28], v[33:34]
	v_fma_f64 v[37:38], v[10:11], v[27:28], v[37:38]
	s_waitcnt vmcnt(0)
	v_fma_f64 v[39:40], v[12:13], v[27:28], v[39:40]
	v_fma_f64 v[41:42], v[14:15], v[27:28], v[25:26]
	global_load_dwordx4 v[8:11], v[31:32], off offset:16
	global_load_dwordx4 v[12:15], v[31:32], off
	global_load_dwordx4 v[25:28], v[17:18], off
	v_add_co_u32_e32 v17, vcc, s12, v35
	v_addc_co_u32_e32 v18, vcc, v23, v36, vcc
	global_load_dwordx4 v[29:32], v[17:18], off
	v_cmp_ge_i32_e32 vcc, v20, v22
	s_or_b64 s[8:9], vcc, s[8:9]
	s_waitcnt vmcnt(1)
	v_fma_f64 v[12:13], v[12:13], v[25:26], v[33:34]
	global_load_dwordx4 v[33:36], v[17:18], off offset:16
	v_fma_f64 v[14:15], v[14:15], v[25:26], v[37:38]
	v_fma_f64 v[8:9], v[8:9], v[25:26], v[39:40]
	;; [unrolled: 1-line block ×3, first 2 shown]
	s_waitcnt vmcnt(1)
	v_fma_f64 v[12:13], v[29:30], v[27:28], v[12:13]
	v_fma_f64 v[14:15], v[31:32], v[27:28], v[14:15]
	s_waitcnt vmcnt(0)
	v_fma_f64 v[10:11], v[33:34], v[27:28], v[8:9]
	v_fma_f64 v[8:9], v[35:36], v[27:28], v[17:18]
	s_andn2_b64 exec, exec, s[8:9]
	s_cbranch_execnz .LBB57_9
; %bb.10:
	s_or_b64 exec, exec, s[8:9]
.LBB57_11:
	s_or_b64 exec, exec, s[6:7]
	s_cbranch_execz .LBB57_13
	s_branch .LBB57_18
.LBB57_12:
                                        ; implicit-def: $vgpr12_vgpr13
                                        ; implicit-def: $vgpr8_vgpr9
                                        ; implicit-def: $vgpr10_vgpr11
                                        ; implicit-def: $vgpr14_vgpr15
.LBB57_13:
	v_mov_b32_e32 v12, 0
	v_mov_b32_e32 v8, 0
	;; [unrolled: 1-line block ×8, first 2 shown]
	s_and_saveexec_b64 s[2:3], s[0:1]
	s_cbranch_execz .LBB57_17
; %bb.14:
	v_mad_u64_u32 v[16:17], s[0:1], v6, 24, 23
	v_mov_b32_e32 v12, 0
	v_mov_b32_e32 v8, 0
	;; [unrolled: 1-line block ×5, first 2 shown]
	s_mov_b64 s[0:1], 0
	v_mov_b32_e32 v20, s11
	v_mov_b32_e32 v19, 0
	;; [unrolled: 1-line block ×7, first 2 shown]
.LBB57_15:                              ; =>This Inner Loop Header: Depth=1
	v_ashrrev_i32_e32 v7, 31, v6
	v_lshlrev_b64 v[28:29], 2, v[6:7]
	v_subrev_u32_e32 v18, 23, v16
	v_lshlrev_b64 v[30:31], 3, v[18:19]
	v_add_co_u32_e32 v32, vcc, s10, v28
	v_add_u32_e32 v24, -11, v16
	v_mov_b32_e32 v25, v19
	v_addc_co_u32_e32 v33, vcc, v20, v29, vcc
	v_lshlrev_b64 v[24:25], 3, v[24:25]
	v_add_co_u32_e32 v46, vcc, s12, v30
	v_add_u32_e32 v26, -5, v16
	v_mov_b32_e32 v27, v19
	v_addc_co_u32_e32 v47, vcc, v21, v31, vcc
	v_lshlrev_b64 v[26:27], 3, v[26:27]
	v_add_co_u32_e32 v48, vcc, s12, v24
	v_addc_co_u32_e32 v49, vcc, v21, v25, vcc
	v_add_co_u32_e32 v50, vcc, s12, v26
	v_addc_co_u32_e32 v51, vcc, v21, v27, vcc
	global_load_dword v7, v[32:33], off
	global_load_dwordx4 v[24:27], v[46:47], off
	global_load_dwordx4 v[28:31], v[46:47], off offset:16
	v_mov_b32_e32 v41, v19
	v_mov_b32_e32 v17, v19
	v_lshlrev_b64 v[42:43], 3, v[16:17]
	v_add_u32_e32 v18, -10, v16
	v_lshlrev_b64 v[44:45], 3, v[18:19]
	v_add_u32_e32 v18, -4, v16
	v_lshlrev_b64 v[17:18], 3, v[18:19]
	v_add_u32_e32 v6, 4, v6
	s_waitcnt vmcnt(2)
	v_subrev_u32_e32 v7, s16, v7
	v_mul_lo_u32 v40, v7, 6
	v_lshlrev_b64 v[32:33], 3, v[40:41]
	v_add_co_u32_e32 v32, vcc, s14, v32
	v_addc_co_u32_e32 v33, vcc, v23, v33, vcc
	global_load_dwordx4 v[32:35], v[32:33], off
	v_add_co_u32_e32 v41, vcc, s12, v42
	v_addc_co_u32_e32 v42, vcc, v21, v43, vcc
	s_waitcnt vmcnt(0)
	v_fma_f64 v[12:13], v[24:25], v[32:33], v[12:13]
	v_fma_f64 v[12:13], v[26:27], v[34:35], v[12:13]
	global_load_dwordx4 v[24:27], v[46:47], off offset:48
	global_load_dwordx4 v[36:39], v[46:47], off offset:32
	s_waitcnt vmcnt(1)
	v_fma_f64 v[14:15], v[24:25], v[32:33], v[14:15]
	v_add_co_u32_e32 v24, vcc, s12, v44
	v_addc_co_u32_e32 v25, vcc, v21, v45, vcc
	v_fma_f64 v[14:15], v[26:27], v[34:35], v[14:15]
	v_add_co_u32_e32 v26, vcc, s12, v17
	v_addc_co_u32_e32 v27, vcc, v21, v18, vcc
	v_add_u32_e32 v18, 2, v40
	v_lshlrev_b64 v[17:18], 3, v[18:19]
	v_add_co_u32_e32 v43, vcc, s14, v17
	v_addc_co_u32_e32 v44, vcc, v23, v18, vcc
	v_add_u32_e32 v18, -15, v16
	v_lshlrev_b64 v[17:18], 3, v[18:19]
	v_add_co_u32_e32 v45, vcc, s12, v17
	v_addc_co_u32_e32 v46, vcc, v21, v18, vcc
	v_add_u32_e32 v18, -9, v16
	v_lshlrev_b64 v[17:18], 3, v[18:19]
	v_add_co_u32_e32 v52, vcc, s12, v17
	v_addc_co_u32_e32 v53, vcc, v21, v18, vcc
	global_load_dwordx2 v[17:18], v[48:49], off
	global_load_dwordx2 v[54:55], v[50:51], off
	;; [unrolled: 1-line block ×4, first 2 shown]
	s_waitcnt vmcnt(3)
	v_fma_f64 v[10:11], v[17:18], v[32:33], v[10:11]
	s_waitcnt vmcnt(2)
	v_fma_f64 v[7:8], v[54:55], v[32:33], v[8:9]
	v_add_u32_e32 v18, -3, v16
	s_waitcnt vmcnt(1)
	v_fma_f64 v[24:25], v[56:57], v[34:35], v[10:11]
	v_lshlrev_b64 v[9:10], 3, v[18:19]
	v_add_u32_e32 v18, -14, v16
	s_waitcnt vmcnt(0)
	v_fma_f64 v[26:27], v[58:59], v[34:35], v[7:8]
	v_lshlrev_b64 v[7:8], 3, v[18:19]
	v_add_co_u32_e32 v32, vcc, s12, v9
	v_add_u32_e32 v18, -8, v16
	v_addc_co_u32_e32 v33, vcc, v21, v10, vcc
	v_lshlrev_b64 v[9:10], 3, v[18:19]
	v_add_co_u32_e32 v34, vcc, s12, v7
	v_addc_co_u32_e32 v35, vcc, v21, v8, vcc
	v_add_co_u32_e32 v49, vcc, s12, v9
	v_addc_co_u32_e32 v50, vcc, v21, v10, vcc
	global_load_dwordx4 v[7:10], v[43:44], off
	global_load_dwordx2 v[58:59], v[45:46], off
	global_load_dwordx2 v[60:61], v[52:53], off
	;; [unrolled: 1-line block ×4, first 2 shown]
	v_add_u32_e32 v18, -2, v16
	v_lshlrev_b64 v[47:48], 3, v[18:19]
	v_add_u32_e32 v18, 4, v40
	s_waitcnt vmcnt(4)
	v_fma_f64 v[11:12], v[28:29], v[7:8], v[12:13]
	s_waitcnt vmcnt(3)
	v_fma_f64 v[13:14], v[58:59], v[7:8], v[14:15]
	;; [unrolled: 2-line block ×4, first 2 shown]
	v_lshlrev_b64 v[28:29], 3, v[18:19]
	v_add_u32_e32 v18, -13, v16
	v_lshlrev_b64 v[17:18], 3, v[18:19]
	v_fma_f64 v[11:12], v[30:31], v[9:10], v[11:12]
	v_add_co_u32_e32 v30, vcc, s12, v47
	v_addc_co_u32_e32 v31, vcc, v21, v48, vcc
	global_load_dwordx2 v[26:27], v[49:50], off
	global_load_dwordx2 v[32:33], v[30:31], off
	v_add_co_u32_e32 v28, vcc, s14, v28
	v_addc_co_u32_e32 v29, vcc, v23, v29, vcc
	v_add_co_u32_e32 v43, vcc, s12, v17
	v_addc_co_u32_e32 v44, vcc, v21, v18, vcc
	v_add_u32_e32 v18, -7, v16
	v_lshlrev_b64 v[17:18], 3, v[18:19]
	s_waitcnt vmcnt(2)
	v_fma_f64 v[13:14], v[64:65], v[9:10], v[13:14]
	v_add_co_u32_e32 v47, vcc, s12, v17
	v_addc_co_u32_e32 v48, vcc, v21, v18, vcc
	v_add_u32_e32 v18, -1, v16
	v_lshlrev_b64 v[17:18], 3, v[18:19]
	v_add_co_u32_e32 v54, vcc, s12, v17
	v_addc_co_u32_e32 v55, vcc, v21, v18, vcc
	v_add_u32_e32 v18, -12, v16
	v_lshlrev_b64 v[17:18], 3, v[18:19]
	;; [unrolled: 4-line block ×3, first 2 shown]
	v_add_u32_e32 v16, 0x60, v16
	v_add_co_u32_e32 v17, vcc, s12, v17
	v_addc_co_u32_e32 v18, vcc, v21, v18, vcc
	v_cmp_ge_i32_e32 vcc, v6, v22
	s_or_b64 s[0:1], vcc, s[0:1]
	s_waitcnt vmcnt(1)
	v_fma_f64 v[30:31], v[26:27], v[9:10], v[24:25]
	global_load_dwordx4 v[24:27], v[28:29], off
	global_load_dwordx2 v[34:35], v[43:44], off
	global_load_dwordx2 v[45:46], v[47:48], off
	;; [unrolled: 1-line block ×6, first 2 shown]
	s_waitcnt vmcnt(7)
	v_fma_f64 v[7:8], v[32:33], v[9:10], v[7:8]
	s_waitcnt vmcnt(6)
	v_fma_f64 v[9:10], v[36:37], v[24:25], v[11:12]
	;; [unrolled: 2-line block ×5, first 2 shown]
	v_fma_f64 v[12:13], v[38:39], v[26:27], v[9:10]
	s_waitcnt vmcnt(2)
	v_fma_f64 v[14:15], v[51:52], v[26:27], v[14:15]
	s_waitcnt vmcnt(1)
	;; [unrolled: 2-line block ×3, first 2 shown]
	v_fma_f64 v[8:9], v[60:61], v[26:27], v[7:8]
	s_andn2_b64 exec, exec, s[0:1]
	s_cbranch_execnz .LBB57_15
; %bb.16:
	s_or_b64 exec, exec, s[0:1]
.LBB57_17:
	s_or_b64 exec, exec, s[2:3]
.LBB57_18:
	v_mov_b32_dpp v6, v12 row_shr:1 row_mask:0xf bank_mask:0xf
	v_mov_b32_dpp v7, v13 row_shr:1 row_mask:0xf bank_mask:0xf
	v_add_f64 v[6:7], v[12:13], v[6:7]
	v_mov_b32_dpp v12, v14 row_shr:1 row_mask:0xf bank_mask:0xf
	v_mov_b32_dpp v13, v15 row_shr:1 row_mask:0xf bank_mask:0xf
	v_add_f64 v[14:15], v[14:15], v[12:13]
	v_mov_b32_dpp v12, v10 row_shr:1 row_mask:0xf bank_mask:0xf
	v_mov_b32_dpp v13, v11 row_shr:1 row_mask:0xf bank_mask:0xf
	v_add_f64 v[16:17], v[10:11], v[12:13]
	v_mov_b32_dpp v10, v8 row_shr:1 row_mask:0xf bank_mask:0xf
	v_mov_b32_dpp v11, v9 row_shr:1 row_mask:0xf bank_mask:0xf
	v_add_f64 v[8:9], v[8:9], v[10:11]
	v_mov_b32_dpp v12, v6 row_shr:2 row_mask:0xf bank_mask:0xf
	v_mov_b32_dpp v13, v7 row_shr:2 row_mask:0xf bank_mask:0xf
	;; [unrolled: 1-line block ×6, first 2 shown]
	v_cmp_eq_u32_e32 vcc, 3, v0
	v_mov_b32_dpp v18, v8 row_shr:2 row_mask:0xf bank_mask:0xf
	v_mov_b32_dpp v19, v9 row_shr:2 row_mask:0xf bank_mask:0xf
	s_and_b64 exec, exec, vcc
	s_cbranch_execz .LBB57_23
; %bb.19:
	v_add_f64 v[12:13], v[6:7], v[12:13]
	v_add_f64 v[10:11], v[14:15], v[10:11]
	;; [unrolled: 1-line block ×4, first 2 shown]
	v_cmp_eq_f64_e32 vcc, 0, v[3:4]
	s_load_dwordx2 s[0:1], s[4:5], 0x38
	s_and_saveexec_b64 s[2:3], vcc
	s_xor_b64 s[2:3], exec, s[2:3]
	s_cbranch_execz .LBB57_21
; %bb.20:
	v_mul_f64 v[12:13], v[1:2], v[12:13]
	v_mul_f64 v[14:15], v[1:2], v[10:11]
	v_lshlrev_b32_e32 v16, 2, v5
	v_mul_f64 v[3:4], v[1:2], v[6:7]
	v_mul_f64 v[5:6], v[1:2], v[8:9]
	v_ashrrev_i32_e32 v17, 31, v16
	v_lshlrev_b64 v[0:1], 3, v[16:17]
	s_waitcnt lgkmcnt(0)
	v_mov_b32_e32 v2, s1
	v_add_co_u32_e32 v0, vcc, s0, v0
	v_addc_co_u32_e32 v1, vcc, v2, v1, vcc
	global_store_dwordx4 v[0:1], v[12:15], off
	global_store_dwordx4 v[0:1], v[3:6], off offset:16
                                        ; implicit-def: $vgpr5
                                        ; implicit-def: $vgpr1_vgpr2
                                        ; implicit-def: $vgpr12_vgpr13
                                        ; implicit-def: $vgpr3_vgpr4
                                        ; implicit-def: $vgpr10_vgpr11
                                        ; implicit-def: $vgpr6_vgpr7
                                        ; implicit-def: $vgpr8_vgpr9
.LBB57_21:
	s_andn2_saveexec_b64 s[2:3], s[2:3]
	s_cbranch_execz .LBB57_23
; %bb.22:
	v_lshlrev_b32_e32 v14, 2, v5
	v_ashrrev_i32_e32 v15, 31, v14
	v_lshlrev_b64 v[14:15], 3, v[14:15]
	s_waitcnt lgkmcnt(0)
	v_mov_b32_e32 v0, s1
	v_add_co_u32_e32 v22, vcc, s0, v14
	v_addc_co_u32_e32 v23, vcc, v0, v15, vcc
	global_load_dwordx4 v[14:17], v[22:23], off
	global_load_dwordx4 v[18:21], v[22:23], off offset:16
	v_mul_f64 v[12:13], v[1:2], v[12:13]
	v_mul_f64 v[10:11], v[1:2], v[10:11]
	;; [unrolled: 1-line block ×4, first 2 shown]
	s_waitcnt vmcnt(1)
	v_fma_f64 v[5:6], v[3:4], v[14:15], v[12:13]
	v_fma_f64 v[7:8], v[3:4], v[16:17], v[10:11]
	s_waitcnt vmcnt(0)
	v_fma_f64 v[0:1], v[3:4], v[18:19], v[24:25]
	v_fma_f64 v[2:3], v[3:4], v[20:21], v[26:27]
	global_store_dwordx4 v[22:23], v[5:8], off
	global_store_dwordx4 v[22:23], v[0:3], off offset:16
.LBB57_23:
	s_endpgm
	.section	.rodata,"a",@progbits
	.p2align	6, 0x0
	.amdhsa_kernel _ZN9rocsparseL19gebsrmvn_4xn_kernelILj128ELj6ELj4EdEEvi20rocsparse_direction_NS_24const_host_device_scalarIT2_EEPKiS6_PKS3_S8_S4_PS3_21rocsparse_index_base_b
		.amdhsa_group_segment_fixed_size 0
		.amdhsa_private_segment_fixed_size 0
		.amdhsa_kernarg_size 72
		.amdhsa_user_sgpr_count 6
		.amdhsa_user_sgpr_private_segment_buffer 1
		.amdhsa_user_sgpr_dispatch_ptr 0
		.amdhsa_user_sgpr_queue_ptr 0
		.amdhsa_user_sgpr_kernarg_segment_ptr 1
		.amdhsa_user_sgpr_dispatch_id 0
		.amdhsa_user_sgpr_flat_scratch_init 0
		.amdhsa_user_sgpr_private_segment_size 0
		.amdhsa_uses_dynamic_stack 0
		.amdhsa_system_sgpr_private_segment_wavefront_offset 0
		.amdhsa_system_sgpr_workgroup_id_x 1
		.amdhsa_system_sgpr_workgroup_id_y 0
		.amdhsa_system_sgpr_workgroup_id_z 0
		.amdhsa_system_sgpr_workgroup_info 0
		.amdhsa_system_vgpr_workitem_id 0
		.amdhsa_next_free_vgpr 66
		.amdhsa_next_free_sgpr 18
		.amdhsa_reserve_vcc 1
		.amdhsa_reserve_flat_scratch 0
		.amdhsa_float_round_mode_32 0
		.amdhsa_float_round_mode_16_64 0
		.amdhsa_float_denorm_mode_32 3
		.amdhsa_float_denorm_mode_16_64 3
		.amdhsa_dx10_clamp 1
		.amdhsa_ieee_mode 1
		.amdhsa_fp16_overflow 0
		.amdhsa_exception_fp_ieee_invalid_op 0
		.amdhsa_exception_fp_denorm_src 0
		.amdhsa_exception_fp_ieee_div_zero 0
		.amdhsa_exception_fp_ieee_overflow 0
		.amdhsa_exception_fp_ieee_underflow 0
		.amdhsa_exception_fp_ieee_inexact 0
		.amdhsa_exception_int_div_zero 0
	.end_amdhsa_kernel
	.section	.text._ZN9rocsparseL19gebsrmvn_4xn_kernelILj128ELj6ELj4EdEEvi20rocsparse_direction_NS_24const_host_device_scalarIT2_EEPKiS6_PKS3_S8_S4_PS3_21rocsparse_index_base_b,"axG",@progbits,_ZN9rocsparseL19gebsrmvn_4xn_kernelILj128ELj6ELj4EdEEvi20rocsparse_direction_NS_24const_host_device_scalarIT2_EEPKiS6_PKS3_S8_S4_PS3_21rocsparse_index_base_b,comdat
.Lfunc_end57:
	.size	_ZN9rocsparseL19gebsrmvn_4xn_kernelILj128ELj6ELj4EdEEvi20rocsparse_direction_NS_24const_host_device_scalarIT2_EEPKiS6_PKS3_S8_S4_PS3_21rocsparse_index_base_b, .Lfunc_end57-_ZN9rocsparseL19gebsrmvn_4xn_kernelILj128ELj6ELj4EdEEvi20rocsparse_direction_NS_24const_host_device_scalarIT2_EEPKiS6_PKS3_S8_S4_PS3_21rocsparse_index_base_b
                                        ; -- End function
	.set _ZN9rocsparseL19gebsrmvn_4xn_kernelILj128ELj6ELj4EdEEvi20rocsparse_direction_NS_24const_host_device_scalarIT2_EEPKiS6_PKS3_S8_S4_PS3_21rocsparse_index_base_b.num_vgpr, 66
	.set _ZN9rocsparseL19gebsrmvn_4xn_kernelILj128ELj6ELj4EdEEvi20rocsparse_direction_NS_24const_host_device_scalarIT2_EEPKiS6_PKS3_S8_S4_PS3_21rocsparse_index_base_b.num_agpr, 0
	.set _ZN9rocsparseL19gebsrmvn_4xn_kernelILj128ELj6ELj4EdEEvi20rocsparse_direction_NS_24const_host_device_scalarIT2_EEPKiS6_PKS3_S8_S4_PS3_21rocsparse_index_base_b.numbered_sgpr, 18
	.set _ZN9rocsparseL19gebsrmvn_4xn_kernelILj128ELj6ELj4EdEEvi20rocsparse_direction_NS_24const_host_device_scalarIT2_EEPKiS6_PKS3_S8_S4_PS3_21rocsparse_index_base_b.num_named_barrier, 0
	.set _ZN9rocsparseL19gebsrmvn_4xn_kernelILj128ELj6ELj4EdEEvi20rocsparse_direction_NS_24const_host_device_scalarIT2_EEPKiS6_PKS3_S8_S4_PS3_21rocsparse_index_base_b.private_seg_size, 0
	.set _ZN9rocsparseL19gebsrmvn_4xn_kernelILj128ELj6ELj4EdEEvi20rocsparse_direction_NS_24const_host_device_scalarIT2_EEPKiS6_PKS3_S8_S4_PS3_21rocsparse_index_base_b.uses_vcc, 1
	.set _ZN9rocsparseL19gebsrmvn_4xn_kernelILj128ELj6ELj4EdEEvi20rocsparse_direction_NS_24const_host_device_scalarIT2_EEPKiS6_PKS3_S8_S4_PS3_21rocsparse_index_base_b.uses_flat_scratch, 0
	.set _ZN9rocsparseL19gebsrmvn_4xn_kernelILj128ELj6ELj4EdEEvi20rocsparse_direction_NS_24const_host_device_scalarIT2_EEPKiS6_PKS3_S8_S4_PS3_21rocsparse_index_base_b.has_dyn_sized_stack, 0
	.set _ZN9rocsparseL19gebsrmvn_4xn_kernelILj128ELj6ELj4EdEEvi20rocsparse_direction_NS_24const_host_device_scalarIT2_EEPKiS6_PKS3_S8_S4_PS3_21rocsparse_index_base_b.has_recursion, 0
	.set _ZN9rocsparseL19gebsrmvn_4xn_kernelILj128ELj6ELj4EdEEvi20rocsparse_direction_NS_24const_host_device_scalarIT2_EEPKiS6_PKS3_S8_S4_PS3_21rocsparse_index_base_b.has_indirect_call, 0
	.section	.AMDGPU.csdata,"",@progbits
; Kernel info:
; codeLenInByte = 2468
; TotalNumSgprs: 22
; NumVgprs: 66
; ScratchSize: 0
; MemoryBound: 1
; FloatMode: 240
; IeeeMode: 1
; LDSByteSize: 0 bytes/workgroup (compile time only)
; SGPRBlocks: 2
; VGPRBlocks: 16
; NumSGPRsForWavesPerEU: 22
; NumVGPRsForWavesPerEU: 66
; Occupancy: 3
; WaveLimiterHint : 1
; COMPUTE_PGM_RSRC2:SCRATCH_EN: 0
; COMPUTE_PGM_RSRC2:USER_SGPR: 6
; COMPUTE_PGM_RSRC2:TRAP_HANDLER: 0
; COMPUTE_PGM_RSRC2:TGID_X_EN: 1
; COMPUTE_PGM_RSRC2:TGID_Y_EN: 0
; COMPUTE_PGM_RSRC2:TGID_Z_EN: 0
; COMPUTE_PGM_RSRC2:TIDIG_COMP_CNT: 0
	.section	.text._ZN9rocsparseL19gebsrmvn_4xn_kernelILj128ELj6ELj8EdEEvi20rocsparse_direction_NS_24const_host_device_scalarIT2_EEPKiS6_PKS3_S8_S4_PS3_21rocsparse_index_base_b,"axG",@progbits,_ZN9rocsparseL19gebsrmvn_4xn_kernelILj128ELj6ELj8EdEEvi20rocsparse_direction_NS_24const_host_device_scalarIT2_EEPKiS6_PKS3_S8_S4_PS3_21rocsparse_index_base_b,comdat
	.globl	_ZN9rocsparseL19gebsrmvn_4xn_kernelILj128ELj6ELj8EdEEvi20rocsparse_direction_NS_24const_host_device_scalarIT2_EEPKiS6_PKS3_S8_S4_PS3_21rocsparse_index_base_b ; -- Begin function _ZN9rocsparseL19gebsrmvn_4xn_kernelILj128ELj6ELj8EdEEvi20rocsparse_direction_NS_24const_host_device_scalarIT2_EEPKiS6_PKS3_S8_S4_PS3_21rocsparse_index_base_b
	.p2align	8
	.type	_ZN9rocsparseL19gebsrmvn_4xn_kernelILj128ELj6ELj8EdEEvi20rocsparse_direction_NS_24const_host_device_scalarIT2_EEPKiS6_PKS3_S8_S4_PS3_21rocsparse_index_base_b,@function
_ZN9rocsparseL19gebsrmvn_4xn_kernelILj128ELj6ELj8EdEEvi20rocsparse_direction_NS_24const_host_device_scalarIT2_EEPKiS6_PKS3_S8_S4_PS3_21rocsparse_index_base_b: ; @_ZN9rocsparseL19gebsrmvn_4xn_kernelILj128ELj6ELj8EdEEvi20rocsparse_direction_NS_24const_host_device_scalarIT2_EEPKiS6_PKS3_S8_S4_PS3_21rocsparse_index_base_b
; %bb.0:
	s_load_dwordx2 s[16:17], s[4:5], 0x40
	s_load_dwordx2 s[8:9], s[4:5], 0x8
	;; [unrolled: 1-line block ×3, first 2 shown]
	s_waitcnt lgkmcnt(0)
	s_bitcmp1_b32 s17, 0
	s_cselect_b64 s[10:11], -1, 0
	v_mov_b32_e32 v1, s8
	s_xor_b64 s[2:3], s[10:11], -1
	s_and_b64 vcc, exec, s[10:11]
	v_mov_b32_e32 v2, s9
	s_cbranch_vccnz .LBB58_2
; %bb.1:
	v_mov_b32_e32 v1, s8
	v_mov_b32_e32 v2, s9
	flat_load_dwordx2 v[1:2], v[1:2]
.LBB58_2:
	v_mov_b32_e32 v4, s1
	s_andn2_b64 vcc, exec, s[2:3]
	v_mov_b32_e32 v3, s0
	s_cbranch_vccnz .LBB58_4
; %bb.3:
	v_mov_b32_e32 v4, s1
	v_mov_b32_e32 v3, s0
	flat_load_dwordx2 v[3:4], v[3:4]
.LBB58_4:
	s_waitcnt vmcnt(0) lgkmcnt(0)
	v_cmp_neq_f64_e32 vcc, 0, v[1:2]
	v_cmp_neq_f64_e64 s[0:1], 1.0, v[3:4]
	s_or_b64 s[0:1], vcc, s[0:1]
	s_and_saveexec_b64 s[2:3], s[0:1]
	s_cbranch_execz .LBB58_23
; %bb.5:
	s_load_dwordx2 s[0:1], s[4:5], 0x0
	v_lshrrev_b32_e32 v5, 3, v0
	v_lshl_or_b32 v5, s6, 4, v5
	s_waitcnt lgkmcnt(0)
	v_cmp_gt_i32_e32 vcc, s0, v5
	s_and_b64 exec, exec, vcc
	s_cbranch_execz .LBB58_23
; %bb.6:
	s_load_dwordx8 s[8:15], s[4:5], 0x10
	v_ashrrev_i32_e32 v6, 31, v5
	v_lshlrev_b64 v[6:7], 2, v[5:6]
	v_and_b32_e32 v0, 7, v0
	s_cmp_lg_u32 s1, 0
	s_waitcnt lgkmcnt(0)
	v_mov_b32_e32 v8, s9
	v_add_co_u32_e32 v6, vcc, s8, v6
	v_addc_co_u32_e32 v7, vcc, v8, v7, vcc
	global_load_dwordx2 v[6:7], v[6:7], off
	s_waitcnt vmcnt(0)
	v_subrev_u32_e32 v6, s16, v6
	v_subrev_u32_e32 v22, s16, v7
	v_add_u32_e32 v6, v6, v0
	v_cmp_lt_i32_e64 s[0:1], v6, v22
	s_cbranch_scc0 .LBB58_12
; %bb.7:
	v_mov_b32_e32 v12, 0
	v_mov_b32_e32 v8, 0
	;; [unrolled: 1-line block ×8, first 2 shown]
	s_and_saveexec_b64 s[6:7], s[0:1]
	s_cbranch_execz .LBB58_11
; %bb.8:
	v_mad_u64_u32 v[16:17], s[2:3], v6, 24, 20
	v_mov_b32_e32 v12, 0
	v_mov_b32_e32 v8, 0
	;; [unrolled: 1-line block ×5, first 2 shown]
	s_mov_b64 s[8:9], 0
	v_mov_b32_e32 v7, s11
	v_mov_b32_e32 v19, 0
	;; [unrolled: 1-line block ×8, first 2 shown]
.LBB58_9:                               ; =>This Inner Loop Header: Depth=1
	v_ashrrev_i32_e32 v21, 31, v20
	v_subrev_u32_e32 v18, 20, v16
	v_lshlrev_b64 v[25:26], 2, v[20:21]
	v_lshlrev_b64 v[27:28], 3, v[18:19]
	v_add_co_u32_e32 v29, vcc, s10, v25
	v_add_co_u32_e64 v37, s[2:3], s12, v27
	v_addc_co_u32_e32 v30, vcc, v7, v26, vcc
	v_addc_co_u32_e64 v38, vcc, v23, v28, s[2:3]
	global_load_dword v21, v[29:30], off
	global_load_dwordx4 v[25:28], v[37:38], off
	v_mov_b32_e32 v34, v19
	v_mov_b32_e32 v17, v19
	v_add_u32_e32 v18, -12, v16
	v_lshlrev_b64 v[35:36], 3, v[16:17]
	v_lshlrev_b64 v[17:18], 3, v[18:19]
	v_add_u32_e32 v20, 8, v20
	v_add_co_u32_e32 v17, vcc, s12, v17
	v_addc_co_u32_e32 v18, vcc, v23, v18, vcc
	s_waitcnt vmcnt(1)
	v_subrev_u32_e32 v21, s16, v21
	v_mul_lo_u32 v33, v21, 6
	v_lshlrev_b64 v[29:30], 3, v[33:34]
	v_add_co_u32_e64 v29, s[2:3], s14, v29
	v_addc_co_u32_e64 v30, s[2:3], v24, v30, s[2:3]
	global_load_dwordx4 v[29:32], v[29:30], off
	s_waitcnt vmcnt(0)
	v_fma_f64 v[25:26], v[25:26], v[29:30], v[12:13]
	v_fma_f64 v[27:28], v[27:28], v[29:30], v[14:15]
	global_load_dwordx4 v[12:15], v[37:38], off offset:16
	s_waitcnt vmcnt(0)
	v_fma_f64 v[39:40], v[12:13], v[29:30], v[10:11]
	v_fma_f64 v[29:30], v[14:15], v[29:30], v[8:9]
	global_load_dwordx4 v[8:11], v[37:38], off offset:32
	global_load_dwordx4 v[12:15], v[37:38], off offset:48
	s_waitcnt vmcnt(1)
	v_fma_f64 v[37:38], v[8:9], v[31:32], v[25:26]
	v_fma_f64 v[41:42], v[10:11], v[31:32], v[27:28]
	global_load_dwordx4 v[8:11], v[17:18], off offset:16
	s_waitcnt vmcnt(1)
	v_fma_f64 v[39:40], v[12:13], v[31:32], v[39:40]
	v_fma_f64 v[29:30], v[14:15], v[31:32], v[29:30]
	global_load_dwordx4 v[12:15], v[17:18], off
	v_add_u32_e32 v18, 2, v33
	v_lshlrev_b64 v[25:26], 3, v[18:19]
	v_add_u32_e32 v18, -8, v16
	v_add_co_u32_e32 v25, vcc, s14, v25
	v_addc_co_u32_e32 v26, vcc, v24, v26, vcc
	global_load_dwordx4 v[25:28], v[25:26], off
	v_lshlrev_b64 v[31:32], 3, v[18:19]
	v_add_u32_e32 v18, -4, v16
	v_lshlrev_b64 v[43:44], 3, v[18:19]
	v_add_u32_e32 v18, 4, v33
	v_lshlrev_b64 v[17:18], 3, v[18:19]
	v_add_u32_e32 v16, 0xc0, v16
	s_waitcnt vmcnt(0)
	v_fma_f64 v[33:34], v[12:13], v[25:26], v[37:38]
	v_add_co_u32_e32 v12, vcc, s12, v31
	v_addc_co_u32_e32 v13, vcc, v23, v32, vcc
	v_fma_f64 v[37:38], v[14:15], v[25:26], v[41:42]
	v_fma_f64 v[39:40], v[8:9], v[25:26], v[39:40]
	v_fma_f64 v[25:26], v[10:11], v[25:26], v[29:30]
	global_load_dwordx4 v[8:11], v[12:13], off
	v_add_co_u32_e32 v31, vcc, s12, v43
	global_load_dwordx4 v[12:15], v[12:13], off offset:16
	v_addc_co_u32_e32 v32, vcc, v23, v44, vcc
	v_add_co_u32_e32 v17, vcc, s14, v17
	v_addc_co_u32_e32 v18, vcc, v24, v18, vcc
	s_waitcnt vmcnt(1)
	v_fma_f64 v[33:34], v[8:9], v[27:28], v[33:34]
	v_fma_f64 v[37:38], v[10:11], v[27:28], v[37:38]
	s_waitcnt vmcnt(0)
	v_fma_f64 v[39:40], v[12:13], v[27:28], v[39:40]
	v_fma_f64 v[41:42], v[14:15], v[27:28], v[25:26]
	global_load_dwordx4 v[8:11], v[31:32], off offset:16
	global_load_dwordx4 v[12:15], v[31:32], off
	global_load_dwordx4 v[25:28], v[17:18], off
	v_add_co_u32_e32 v17, vcc, s12, v35
	v_addc_co_u32_e32 v18, vcc, v23, v36, vcc
	global_load_dwordx4 v[29:32], v[17:18], off
	v_cmp_ge_i32_e32 vcc, v20, v22
	s_or_b64 s[8:9], vcc, s[8:9]
	s_waitcnt vmcnt(1)
	v_fma_f64 v[12:13], v[12:13], v[25:26], v[33:34]
	global_load_dwordx4 v[33:36], v[17:18], off offset:16
	v_fma_f64 v[14:15], v[14:15], v[25:26], v[37:38]
	v_fma_f64 v[8:9], v[8:9], v[25:26], v[39:40]
	;; [unrolled: 1-line block ×3, first 2 shown]
	s_waitcnt vmcnt(1)
	v_fma_f64 v[12:13], v[29:30], v[27:28], v[12:13]
	v_fma_f64 v[14:15], v[31:32], v[27:28], v[14:15]
	s_waitcnt vmcnt(0)
	v_fma_f64 v[10:11], v[33:34], v[27:28], v[8:9]
	v_fma_f64 v[8:9], v[35:36], v[27:28], v[17:18]
	s_andn2_b64 exec, exec, s[8:9]
	s_cbranch_execnz .LBB58_9
; %bb.10:
	s_or_b64 exec, exec, s[8:9]
.LBB58_11:
	s_or_b64 exec, exec, s[6:7]
	s_cbranch_execz .LBB58_13
	s_branch .LBB58_18
.LBB58_12:
                                        ; implicit-def: $vgpr12_vgpr13
                                        ; implicit-def: $vgpr8_vgpr9
                                        ; implicit-def: $vgpr10_vgpr11
                                        ; implicit-def: $vgpr14_vgpr15
.LBB58_13:
	v_mov_b32_e32 v12, 0
	v_mov_b32_e32 v8, 0
	;; [unrolled: 1-line block ×8, first 2 shown]
	s_and_saveexec_b64 s[2:3], s[0:1]
	s_cbranch_execz .LBB58_17
; %bb.14:
	v_mad_u64_u32 v[16:17], s[0:1], v6, 24, 23
	v_mov_b32_e32 v12, 0
	v_mov_b32_e32 v8, 0
	;; [unrolled: 1-line block ×5, first 2 shown]
	s_mov_b64 s[0:1], 0
	v_mov_b32_e32 v20, s11
	v_mov_b32_e32 v19, 0
	;; [unrolled: 1-line block ×7, first 2 shown]
.LBB58_15:                              ; =>This Inner Loop Header: Depth=1
	v_ashrrev_i32_e32 v7, 31, v6
	v_lshlrev_b64 v[28:29], 2, v[6:7]
	v_subrev_u32_e32 v18, 23, v16
	v_lshlrev_b64 v[30:31], 3, v[18:19]
	v_add_co_u32_e32 v32, vcc, s10, v28
	v_add_u32_e32 v24, -11, v16
	v_mov_b32_e32 v25, v19
	v_addc_co_u32_e32 v33, vcc, v20, v29, vcc
	v_lshlrev_b64 v[24:25], 3, v[24:25]
	v_add_co_u32_e32 v46, vcc, s12, v30
	v_add_u32_e32 v26, -5, v16
	v_mov_b32_e32 v27, v19
	v_addc_co_u32_e32 v47, vcc, v21, v31, vcc
	v_lshlrev_b64 v[26:27], 3, v[26:27]
	v_add_co_u32_e32 v48, vcc, s12, v24
	v_addc_co_u32_e32 v49, vcc, v21, v25, vcc
	v_add_co_u32_e32 v50, vcc, s12, v26
	v_addc_co_u32_e32 v51, vcc, v21, v27, vcc
	global_load_dword v7, v[32:33], off
	global_load_dwordx4 v[24:27], v[46:47], off
	global_load_dwordx4 v[28:31], v[46:47], off offset:16
	v_mov_b32_e32 v41, v19
	v_mov_b32_e32 v17, v19
	v_lshlrev_b64 v[42:43], 3, v[16:17]
	v_add_u32_e32 v18, -10, v16
	v_lshlrev_b64 v[44:45], 3, v[18:19]
	v_add_u32_e32 v18, -4, v16
	v_lshlrev_b64 v[17:18], 3, v[18:19]
	v_add_u32_e32 v6, 8, v6
	s_waitcnt vmcnt(2)
	v_subrev_u32_e32 v7, s16, v7
	v_mul_lo_u32 v40, v7, 6
	v_lshlrev_b64 v[32:33], 3, v[40:41]
	v_add_co_u32_e32 v32, vcc, s14, v32
	v_addc_co_u32_e32 v33, vcc, v23, v33, vcc
	global_load_dwordx4 v[32:35], v[32:33], off
	v_add_co_u32_e32 v41, vcc, s12, v42
	v_addc_co_u32_e32 v42, vcc, v21, v43, vcc
	s_waitcnt vmcnt(0)
	v_fma_f64 v[12:13], v[24:25], v[32:33], v[12:13]
	v_fma_f64 v[12:13], v[26:27], v[34:35], v[12:13]
	global_load_dwordx4 v[24:27], v[46:47], off offset:48
	global_load_dwordx4 v[36:39], v[46:47], off offset:32
	s_waitcnt vmcnt(1)
	v_fma_f64 v[14:15], v[24:25], v[32:33], v[14:15]
	v_add_co_u32_e32 v24, vcc, s12, v44
	v_addc_co_u32_e32 v25, vcc, v21, v45, vcc
	v_fma_f64 v[14:15], v[26:27], v[34:35], v[14:15]
	v_add_co_u32_e32 v26, vcc, s12, v17
	v_addc_co_u32_e32 v27, vcc, v21, v18, vcc
	v_add_u32_e32 v18, 2, v40
	v_lshlrev_b64 v[17:18], 3, v[18:19]
	v_add_co_u32_e32 v43, vcc, s14, v17
	v_addc_co_u32_e32 v44, vcc, v23, v18, vcc
	v_add_u32_e32 v18, -15, v16
	v_lshlrev_b64 v[17:18], 3, v[18:19]
	v_add_co_u32_e32 v45, vcc, s12, v17
	v_addc_co_u32_e32 v46, vcc, v21, v18, vcc
	v_add_u32_e32 v18, -9, v16
	v_lshlrev_b64 v[17:18], 3, v[18:19]
	v_add_co_u32_e32 v52, vcc, s12, v17
	v_addc_co_u32_e32 v53, vcc, v21, v18, vcc
	global_load_dwordx2 v[17:18], v[48:49], off
	global_load_dwordx2 v[54:55], v[50:51], off
	;; [unrolled: 1-line block ×4, first 2 shown]
	s_waitcnt vmcnt(3)
	v_fma_f64 v[10:11], v[17:18], v[32:33], v[10:11]
	s_waitcnt vmcnt(2)
	v_fma_f64 v[7:8], v[54:55], v[32:33], v[8:9]
	v_add_u32_e32 v18, -3, v16
	s_waitcnt vmcnt(1)
	v_fma_f64 v[24:25], v[56:57], v[34:35], v[10:11]
	v_lshlrev_b64 v[9:10], 3, v[18:19]
	v_add_u32_e32 v18, -14, v16
	s_waitcnt vmcnt(0)
	v_fma_f64 v[26:27], v[58:59], v[34:35], v[7:8]
	v_lshlrev_b64 v[7:8], 3, v[18:19]
	v_add_co_u32_e32 v32, vcc, s12, v9
	v_add_u32_e32 v18, -8, v16
	v_addc_co_u32_e32 v33, vcc, v21, v10, vcc
	v_lshlrev_b64 v[9:10], 3, v[18:19]
	v_add_co_u32_e32 v34, vcc, s12, v7
	v_addc_co_u32_e32 v35, vcc, v21, v8, vcc
	v_add_co_u32_e32 v49, vcc, s12, v9
	v_addc_co_u32_e32 v50, vcc, v21, v10, vcc
	global_load_dwordx4 v[7:10], v[43:44], off
	global_load_dwordx2 v[58:59], v[45:46], off
	global_load_dwordx2 v[60:61], v[52:53], off
	;; [unrolled: 1-line block ×4, first 2 shown]
	v_add_u32_e32 v18, -2, v16
	v_lshlrev_b64 v[47:48], 3, v[18:19]
	v_add_u32_e32 v18, 4, v40
	s_waitcnt vmcnt(4)
	v_fma_f64 v[11:12], v[28:29], v[7:8], v[12:13]
	s_waitcnt vmcnt(3)
	v_fma_f64 v[13:14], v[58:59], v[7:8], v[14:15]
	s_waitcnt vmcnt(2)
	v_fma_f64 v[24:25], v[60:61], v[7:8], v[24:25]
	s_waitcnt vmcnt(1)
	v_fma_f64 v[7:8], v[62:63], v[7:8], v[26:27]
	v_lshlrev_b64 v[28:29], 3, v[18:19]
	v_add_u32_e32 v18, -13, v16
	v_lshlrev_b64 v[17:18], 3, v[18:19]
	v_fma_f64 v[11:12], v[30:31], v[9:10], v[11:12]
	v_add_co_u32_e32 v30, vcc, s12, v47
	v_addc_co_u32_e32 v31, vcc, v21, v48, vcc
	global_load_dwordx2 v[26:27], v[49:50], off
	global_load_dwordx2 v[32:33], v[30:31], off
	v_add_co_u32_e32 v28, vcc, s14, v28
	v_addc_co_u32_e32 v29, vcc, v23, v29, vcc
	v_add_co_u32_e32 v43, vcc, s12, v17
	v_addc_co_u32_e32 v44, vcc, v21, v18, vcc
	v_add_u32_e32 v18, -7, v16
	v_lshlrev_b64 v[17:18], 3, v[18:19]
	s_waitcnt vmcnt(2)
	v_fma_f64 v[13:14], v[64:65], v[9:10], v[13:14]
	v_add_co_u32_e32 v47, vcc, s12, v17
	v_addc_co_u32_e32 v48, vcc, v21, v18, vcc
	v_add_u32_e32 v18, -1, v16
	v_lshlrev_b64 v[17:18], 3, v[18:19]
	v_add_co_u32_e32 v54, vcc, s12, v17
	v_addc_co_u32_e32 v55, vcc, v21, v18, vcc
	v_add_u32_e32 v18, -12, v16
	v_lshlrev_b64 v[17:18], 3, v[18:19]
	v_add_co_u32_e32 v56, vcc, s12, v17
	v_addc_co_u32_e32 v57, vcc, v21, v18, vcc
	v_add_u32_e32 v18, -6, v16
	v_lshlrev_b64 v[17:18], 3, v[18:19]
	v_add_u32_e32 v16, 0xc0, v16
	v_add_co_u32_e32 v17, vcc, s12, v17
	v_addc_co_u32_e32 v18, vcc, v21, v18, vcc
	v_cmp_ge_i32_e32 vcc, v6, v22
	s_or_b64 s[0:1], vcc, s[0:1]
	s_waitcnt vmcnt(1)
	v_fma_f64 v[30:31], v[26:27], v[9:10], v[24:25]
	global_load_dwordx4 v[24:27], v[28:29], off
	global_load_dwordx2 v[34:35], v[43:44], off
	global_load_dwordx2 v[45:46], v[47:48], off
	;; [unrolled: 1-line block ×6, first 2 shown]
	s_waitcnt vmcnt(7)
	v_fma_f64 v[7:8], v[32:33], v[9:10], v[7:8]
	s_waitcnt vmcnt(6)
	v_fma_f64 v[9:10], v[36:37], v[24:25], v[11:12]
	;; [unrolled: 2-line block ×5, first 2 shown]
	v_fma_f64 v[12:13], v[38:39], v[26:27], v[9:10]
	s_waitcnt vmcnt(2)
	v_fma_f64 v[14:15], v[51:52], v[26:27], v[14:15]
	s_waitcnt vmcnt(1)
	;; [unrolled: 2-line block ×3, first 2 shown]
	v_fma_f64 v[8:9], v[60:61], v[26:27], v[7:8]
	s_andn2_b64 exec, exec, s[0:1]
	s_cbranch_execnz .LBB58_15
; %bb.16:
	s_or_b64 exec, exec, s[0:1]
.LBB58_17:
	s_or_b64 exec, exec, s[2:3]
.LBB58_18:
	v_mov_b32_dpp v6, v12 row_shr:1 row_mask:0xf bank_mask:0xf
	v_mov_b32_dpp v7, v13 row_shr:1 row_mask:0xf bank_mask:0xf
	v_add_f64 v[6:7], v[12:13], v[6:7]
	v_mov_b32_dpp v12, v14 row_shr:1 row_mask:0xf bank_mask:0xf
	v_mov_b32_dpp v13, v15 row_shr:1 row_mask:0xf bank_mask:0xf
	;; [unrolled: 1-line block ×4, first 2 shown]
	v_add_f64 v[12:13], v[14:15], v[12:13]
	v_add_f64 v[10:11], v[10:11], v[16:17]
	v_mov_b32_dpp v16, v8 row_shr:1 row_mask:0xf bank_mask:0xf
	v_mov_b32_dpp v17, v9 row_shr:1 row_mask:0xf bank_mask:0xf
	v_add_f64 v[16:17], v[8:9], v[16:17]
	v_mov_b32_dpp v14, v6 row_shr:2 row_mask:0xf bank_mask:0xf
	v_mov_b32_dpp v15, v7 row_shr:2 row_mask:0xf bank_mask:0xf
	;; [unrolled: 3-line block ×6, first 2 shown]
	v_mov_b32_dpp v10, v8 row_shr:4 row_mask:0xf bank_mask:0xe
	v_mov_b32_dpp v11, v9 row_shr:4 row_mask:0xf bank_mask:0xe
	;; [unrolled: 1-line block ×4, first 2 shown]
	v_cmp_eq_u32_e32 vcc, 7, v0
	v_mov_b32_dpp v18, v16 row_shr:4 row_mask:0xf bank_mask:0xe
	v_mov_b32_dpp v19, v17 row_shr:4 row_mask:0xf bank_mask:0xe
	s_and_b64 exec, exec, vcc
	s_cbranch_execz .LBB58_23
; %bb.19:
	v_add_f64 v[12:13], v[6:7], v[12:13]
	v_add_f64 v[10:11], v[8:9], v[10:11]
	;; [unrolled: 1-line block ×4, first 2 shown]
	v_cmp_eq_f64_e32 vcc, 0, v[3:4]
	s_load_dwordx2 s[0:1], s[4:5], 0x38
	s_and_saveexec_b64 s[2:3], vcc
	s_xor_b64 s[2:3], exec, s[2:3]
	s_cbranch_execz .LBB58_21
; %bb.20:
	v_mul_f64 v[12:13], v[1:2], v[12:13]
	v_mul_f64 v[14:15], v[1:2], v[10:11]
	v_lshlrev_b32_e32 v16, 2, v5
	v_mul_f64 v[3:4], v[1:2], v[6:7]
	v_mul_f64 v[5:6], v[1:2], v[8:9]
	v_ashrrev_i32_e32 v17, 31, v16
	v_lshlrev_b64 v[0:1], 3, v[16:17]
	s_waitcnt lgkmcnt(0)
	v_mov_b32_e32 v2, s1
	v_add_co_u32_e32 v0, vcc, s0, v0
	v_addc_co_u32_e32 v1, vcc, v2, v1, vcc
	global_store_dwordx4 v[0:1], v[12:15], off
	global_store_dwordx4 v[0:1], v[3:6], off offset:16
                                        ; implicit-def: $vgpr5
                                        ; implicit-def: $vgpr1_vgpr2
                                        ; implicit-def: $vgpr12_vgpr13
                                        ; implicit-def: $vgpr3_vgpr4
                                        ; implicit-def: $vgpr10_vgpr11
                                        ; implicit-def: $vgpr6_vgpr7
                                        ; implicit-def: $vgpr8_vgpr9
.LBB58_21:
	s_andn2_saveexec_b64 s[2:3], s[2:3]
	s_cbranch_execz .LBB58_23
; %bb.22:
	v_lshlrev_b32_e32 v14, 2, v5
	v_ashrrev_i32_e32 v15, 31, v14
	v_lshlrev_b64 v[14:15], 3, v[14:15]
	s_waitcnt lgkmcnt(0)
	v_mov_b32_e32 v0, s1
	v_add_co_u32_e32 v22, vcc, s0, v14
	v_addc_co_u32_e32 v23, vcc, v0, v15, vcc
	global_load_dwordx4 v[14:17], v[22:23], off
	global_load_dwordx4 v[18:21], v[22:23], off offset:16
	v_mul_f64 v[12:13], v[1:2], v[12:13]
	v_mul_f64 v[10:11], v[1:2], v[10:11]
	;; [unrolled: 1-line block ×4, first 2 shown]
	s_waitcnt vmcnt(1)
	v_fma_f64 v[5:6], v[3:4], v[14:15], v[12:13]
	v_fma_f64 v[7:8], v[3:4], v[16:17], v[10:11]
	s_waitcnt vmcnt(0)
	v_fma_f64 v[0:1], v[3:4], v[18:19], v[24:25]
	v_fma_f64 v[2:3], v[3:4], v[20:21], v[26:27]
	global_store_dwordx4 v[22:23], v[5:8], off
	global_store_dwordx4 v[22:23], v[0:3], off offset:16
.LBB58_23:
	s_endpgm
	.section	.rodata,"a",@progbits
	.p2align	6, 0x0
	.amdhsa_kernel _ZN9rocsparseL19gebsrmvn_4xn_kernelILj128ELj6ELj8EdEEvi20rocsparse_direction_NS_24const_host_device_scalarIT2_EEPKiS6_PKS3_S8_S4_PS3_21rocsparse_index_base_b
		.amdhsa_group_segment_fixed_size 0
		.amdhsa_private_segment_fixed_size 0
		.amdhsa_kernarg_size 72
		.amdhsa_user_sgpr_count 6
		.amdhsa_user_sgpr_private_segment_buffer 1
		.amdhsa_user_sgpr_dispatch_ptr 0
		.amdhsa_user_sgpr_queue_ptr 0
		.amdhsa_user_sgpr_kernarg_segment_ptr 1
		.amdhsa_user_sgpr_dispatch_id 0
		.amdhsa_user_sgpr_flat_scratch_init 0
		.amdhsa_user_sgpr_private_segment_size 0
		.amdhsa_uses_dynamic_stack 0
		.amdhsa_system_sgpr_private_segment_wavefront_offset 0
		.amdhsa_system_sgpr_workgroup_id_x 1
		.amdhsa_system_sgpr_workgroup_id_y 0
		.amdhsa_system_sgpr_workgroup_id_z 0
		.amdhsa_system_sgpr_workgroup_info 0
		.amdhsa_system_vgpr_workitem_id 0
		.amdhsa_next_free_vgpr 66
		.amdhsa_next_free_sgpr 18
		.amdhsa_reserve_vcc 1
		.amdhsa_reserve_flat_scratch 0
		.amdhsa_float_round_mode_32 0
		.amdhsa_float_round_mode_16_64 0
		.amdhsa_float_denorm_mode_32 3
		.amdhsa_float_denorm_mode_16_64 3
		.amdhsa_dx10_clamp 1
		.amdhsa_ieee_mode 1
		.amdhsa_fp16_overflow 0
		.amdhsa_exception_fp_ieee_invalid_op 0
		.amdhsa_exception_fp_denorm_src 0
		.amdhsa_exception_fp_ieee_div_zero 0
		.amdhsa_exception_fp_ieee_overflow 0
		.amdhsa_exception_fp_ieee_underflow 0
		.amdhsa_exception_fp_ieee_inexact 0
		.amdhsa_exception_int_div_zero 0
	.end_amdhsa_kernel
	.section	.text._ZN9rocsparseL19gebsrmvn_4xn_kernelILj128ELj6ELj8EdEEvi20rocsparse_direction_NS_24const_host_device_scalarIT2_EEPKiS6_PKS3_S8_S4_PS3_21rocsparse_index_base_b,"axG",@progbits,_ZN9rocsparseL19gebsrmvn_4xn_kernelILj128ELj6ELj8EdEEvi20rocsparse_direction_NS_24const_host_device_scalarIT2_EEPKiS6_PKS3_S8_S4_PS3_21rocsparse_index_base_b,comdat
.Lfunc_end58:
	.size	_ZN9rocsparseL19gebsrmvn_4xn_kernelILj128ELj6ELj8EdEEvi20rocsparse_direction_NS_24const_host_device_scalarIT2_EEPKiS6_PKS3_S8_S4_PS3_21rocsparse_index_base_b, .Lfunc_end58-_ZN9rocsparseL19gebsrmvn_4xn_kernelILj128ELj6ELj8EdEEvi20rocsparse_direction_NS_24const_host_device_scalarIT2_EEPKiS6_PKS3_S8_S4_PS3_21rocsparse_index_base_b
                                        ; -- End function
	.set _ZN9rocsparseL19gebsrmvn_4xn_kernelILj128ELj6ELj8EdEEvi20rocsparse_direction_NS_24const_host_device_scalarIT2_EEPKiS6_PKS3_S8_S4_PS3_21rocsparse_index_base_b.num_vgpr, 66
	.set _ZN9rocsparseL19gebsrmvn_4xn_kernelILj128ELj6ELj8EdEEvi20rocsparse_direction_NS_24const_host_device_scalarIT2_EEPKiS6_PKS3_S8_S4_PS3_21rocsparse_index_base_b.num_agpr, 0
	.set _ZN9rocsparseL19gebsrmvn_4xn_kernelILj128ELj6ELj8EdEEvi20rocsparse_direction_NS_24const_host_device_scalarIT2_EEPKiS6_PKS3_S8_S4_PS3_21rocsparse_index_base_b.numbered_sgpr, 18
	.set _ZN9rocsparseL19gebsrmvn_4xn_kernelILj128ELj6ELj8EdEEvi20rocsparse_direction_NS_24const_host_device_scalarIT2_EEPKiS6_PKS3_S8_S4_PS3_21rocsparse_index_base_b.num_named_barrier, 0
	.set _ZN9rocsparseL19gebsrmvn_4xn_kernelILj128ELj6ELj8EdEEvi20rocsparse_direction_NS_24const_host_device_scalarIT2_EEPKiS6_PKS3_S8_S4_PS3_21rocsparse_index_base_b.private_seg_size, 0
	.set _ZN9rocsparseL19gebsrmvn_4xn_kernelILj128ELj6ELj8EdEEvi20rocsparse_direction_NS_24const_host_device_scalarIT2_EEPKiS6_PKS3_S8_S4_PS3_21rocsparse_index_base_b.uses_vcc, 1
	.set _ZN9rocsparseL19gebsrmvn_4xn_kernelILj128ELj6ELj8EdEEvi20rocsparse_direction_NS_24const_host_device_scalarIT2_EEPKiS6_PKS3_S8_S4_PS3_21rocsparse_index_base_b.uses_flat_scratch, 0
	.set _ZN9rocsparseL19gebsrmvn_4xn_kernelILj128ELj6ELj8EdEEvi20rocsparse_direction_NS_24const_host_device_scalarIT2_EEPKiS6_PKS3_S8_S4_PS3_21rocsparse_index_base_b.has_dyn_sized_stack, 0
	.set _ZN9rocsparseL19gebsrmvn_4xn_kernelILj128ELj6ELj8EdEEvi20rocsparse_direction_NS_24const_host_device_scalarIT2_EEPKiS6_PKS3_S8_S4_PS3_21rocsparse_index_base_b.has_recursion, 0
	.set _ZN9rocsparseL19gebsrmvn_4xn_kernelILj128ELj6ELj8EdEEvi20rocsparse_direction_NS_24const_host_device_scalarIT2_EEPKiS6_PKS3_S8_S4_PS3_21rocsparse_index_base_b.has_indirect_call, 0
	.section	.AMDGPU.csdata,"",@progbits
; Kernel info:
; codeLenInByte = 2564
; TotalNumSgprs: 22
; NumVgprs: 66
; ScratchSize: 0
; MemoryBound: 1
; FloatMode: 240
; IeeeMode: 1
; LDSByteSize: 0 bytes/workgroup (compile time only)
; SGPRBlocks: 2
; VGPRBlocks: 16
; NumSGPRsForWavesPerEU: 22
; NumVGPRsForWavesPerEU: 66
; Occupancy: 3
; WaveLimiterHint : 1
; COMPUTE_PGM_RSRC2:SCRATCH_EN: 0
; COMPUTE_PGM_RSRC2:USER_SGPR: 6
; COMPUTE_PGM_RSRC2:TRAP_HANDLER: 0
; COMPUTE_PGM_RSRC2:TGID_X_EN: 1
; COMPUTE_PGM_RSRC2:TGID_Y_EN: 0
; COMPUTE_PGM_RSRC2:TGID_Z_EN: 0
; COMPUTE_PGM_RSRC2:TIDIG_COMP_CNT: 0
	.section	.text._ZN9rocsparseL19gebsrmvn_4xn_kernelILj128ELj6ELj16EdEEvi20rocsparse_direction_NS_24const_host_device_scalarIT2_EEPKiS6_PKS3_S8_S4_PS3_21rocsparse_index_base_b,"axG",@progbits,_ZN9rocsparseL19gebsrmvn_4xn_kernelILj128ELj6ELj16EdEEvi20rocsparse_direction_NS_24const_host_device_scalarIT2_EEPKiS6_PKS3_S8_S4_PS3_21rocsparse_index_base_b,comdat
	.globl	_ZN9rocsparseL19gebsrmvn_4xn_kernelILj128ELj6ELj16EdEEvi20rocsparse_direction_NS_24const_host_device_scalarIT2_EEPKiS6_PKS3_S8_S4_PS3_21rocsparse_index_base_b ; -- Begin function _ZN9rocsparseL19gebsrmvn_4xn_kernelILj128ELj6ELj16EdEEvi20rocsparse_direction_NS_24const_host_device_scalarIT2_EEPKiS6_PKS3_S8_S4_PS3_21rocsparse_index_base_b
	.p2align	8
	.type	_ZN9rocsparseL19gebsrmvn_4xn_kernelILj128ELj6ELj16EdEEvi20rocsparse_direction_NS_24const_host_device_scalarIT2_EEPKiS6_PKS3_S8_S4_PS3_21rocsparse_index_base_b,@function
_ZN9rocsparseL19gebsrmvn_4xn_kernelILj128ELj6ELj16EdEEvi20rocsparse_direction_NS_24const_host_device_scalarIT2_EEPKiS6_PKS3_S8_S4_PS3_21rocsparse_index_base_b: ; @_ZN9rocsparseL19gebsrmvn_4xn_kernelILj128ELj6ELj16EdEEvi20rocsparse_direction_NS_24const_host_device_scalarIT2_EEPKiS6_PKS3_S8_S4_PS3_21rocsparse_index_base_b
; %bb.0:
	s_load_dwordx2 s[16:17], s[4:5], 0x40
	s_load_dwordx2 s[8:9], s[4:5], 0x8
	;; [unrolled: 1-line block ×3, first 2 shown]
	s_waitcnt lgkmcnt(0)
	s_bitcmp1_b32 s17, 0
	s_cselect_b64 s[10:11], -1, 0
	v_mov_b32_e32 v1, s8
	s_xor_b64 s[2:3], s[10:11], -1
	s_and_b64 vcc, exec, s[10:11]
	v_mov_b32_e32 v2, s9
	s_cbranch_vccnz .LBB59_2
; %bb.1:
	v_mov_b32_e32 v1, s8
	v_mov_b32_e32 v2, s9
	flat_load_dwordx2 v[1:2], v[1:2]
.LBB59_2:
	v_mov_b32_e32 v4, s1
	s_andn2_b64 vcc, exec, s[2:3]
	v_mov_b32_e32 v3, s0
	s_cbranch_vccnz .LBB59_4
; %bb.3:
	v_mov_b32_e32 v4, s1
	v_mov_b32_e32 v3, s0
	flat_load_dwordx2 v[3:4], v[3:4]
.LBB59_4:
	s_waitcnt vmcnt(0) lgkmcnt(0)
	v_cmp_neq_f64_e32 vcc, 0, v[1:2]
	v_cmp_neq_f64_e64 s[0:1], 1.0, v[3:4]
	s_or_b64 s[0:1], vcc, s[0:1]
	s_and_saveexec_b64 s[2:3], s[0:1]
	s_cbranch_execz .LBB59_23
; %bb.5:
	s_load_dwordx2 s[0:1], s[4:5], 0x0
	v_lshrrev_b32_e32 v5, 4, v0
	v_lshl_or_b32 v5, s6, 3, v5
	s_waitcnt lgkmcnt(0)
	v_cmp_gt_i32_e32 vcc, s0, v5
	s_and_b64 exec, exec, vcc
	s_cbranch_execz .LBB59_23
; %bb.6:
	s_load_dwordx8 s[8:15], s[4:5], 0x10
	v_ashrrev_i32_e32 v6, 31, v5
	v_lshlrev_b64 v[6:7], 2, v[5:6]
	v_and_b32_e32 v0, 15, v0
	s_cmp_lg_u32 s1, 0
	s_waitcnt lgkmcnt(0)
	v_mov_b32_e32 v8, s9
	v_add_co_u32_e32 v6, vcc, s8, v6
	v_addc_co_u32_e32 v7, vcc, v8, v7, vcc
	global_load_dwordx2 v[6:7], v[6:7], off
	s_waitcnt vmcnt(0)
	v_subrev_u32_e32 v6, s16, v6
	v_subrev_u32_e32 v22, s16, v7
	v_add_u32_e32 v6, v6, v0
	v_cmp_lt_i32_e64 s[0:1], v6, v22
	s_cbranch_scc0 .LBB59_12
; %bb.7:
	v_mov_b32_e32 v12, 0
	v_mov_b32_e32 v8, 0
	;; [unrolled: 1-line block ×8, first 2 shown]
	s_and_saveexec_b64 s[6:7], s[0:1]
	s_cbranch_execz .LBB59_11
; %bb.8:
	v_mad_u64_u32 v[16:17], s[2:3], v6, 24, 20
	v_mov_b32_e32 v12, 0
	v_mov_b32_e32 v8, 0
	;; [unrolled: 1-line block ×5, first 2 shown]
	s_mov_b64 s[8:9], 0
	v_mov_b32_e32 v7, s11
	v_mov_b32_e32 v19, 0
	;; [unrolled: 1-line block ×8, first 2 shown]
.LBB59_9:                               ; =>This Inner Loop Header: Depth=1
	v_ashrrev_i32_e32 v21, 31, v20
	v_subrev_u32_e32 v18, 20, v16
	v_lshlrev_b64 v[25:26], 2, v[20:21]
	v_lshlrev_b64 v[27:28], 3, v[18:19]
	v_add_co_u32_e32 v29, vcc, s10, v25
	v_add_co_u32_e64 v37, s[2:3], s12, v27
	v_addc_co_u32_e32 v30, vcc, v7, v26, vcc
	v_addc_co_u32_e64 v38, vcc, v23, v28, s[2:3]
	global_load_dword v21, v[29:30], off
	global_load_dwordx4 v[25:28], v[37:38], off
	v_mov_b32_e32 v34, v19
	v_mov_b32_e32 v17, v19
	v_add_u32_e32 v18, -12, v16
	v_lshlrev_b64 v[35:36], 3, v[16:17]
	v_lshlrev_b64 v[17:18], 3, v[18:19]
	v_add_u32_e32 v20, 16, v20
	v_add_co_u32_e32 v17, vcc, s12, v17
	v_addc_co_u32_e32 v18, vcc, v23, v18, vcc
	s_waitcnt vmcnt(1)
	v_subrev_u32_e32 v21, s16, v21
	v_mul_lo_u32 v33, v21, 6
	v_lshlrev_b64 v[29:30], 3, v[33:34]
	v_add_co_u32_e64 v29, s[2:3], s14, v29
	v_addc_co_u32_e64 v30, s[2:3], v24, v30, s[2:3]
	global_load_dwordx4 v[29:32], v[29:30], off
	s_waitcnt vmcnt(0)
	v_fma_f64 v[25:26], v[25:26], v[29:30], v[12:13]
	v_fma_f64 v[27:28], v[27:28], v[29:30], v[14:15]
	global_load_dwordx4 v[12:15], v[37:38], off offset:16
	s_waitcnt vmcnt(0)
	v_fma_f64 v[39:40], v[12:13], v[29:30], v[10:11]
	v_fma_f64 v[29:30], v[14:15], v[29:30], v[8:9]
	global_load_dwordx4 v[8:11], v[37:38], off offset:32
	global_load_dwordx4 v[12:15], v[37:38], off offset:48
	s_waitcnt vmcnt(1)
	v_fma_f64 v[37:38], v[8:9], v[31:32], v[25:26]
	v_fma_f64 v[41:42], v[10:11], v[31:32], v[27:28]
	global_load_dwordx4 v[8:11], v[17:18], off offset:16
	s_waitcnt vmcnt(1)
	v_fma_f64 v[39:40], v[12:13], v[31:32], v[39:40]
	v_fma_f64 v[29:30], v[14:15], v[31:32], v[29:30]
	global_load_dwordx4 v[12:15], v[17:18], off
	v_add_u32_e32 v18, 2, v33
	v_lshlrev_b64 v[25:26], 3, v[18:19]
	v_add_u32_e32 v18, -8, v16
	v_add_co_u32_e32 v25, vcc, s14, v25
	v_addc_co_u32_e32 v26, vcc, v24, v26, vcc
	global_load_dwordx4 v[25:28], v[25:26], off
	v_lshlrev_b64 v[31:32], 3, v[18:19]
	v_add_u32_e32 v18, -4, v16
	v_lshlrev_b64 v[43:44], 3, v[18:19]
	v_add_u32_e32 v18, 4, v33
	v_lshlrev_b64 v[17:18], 3, v[18:19]
	v_add_u32_e32 v16, 0x180, v16
	s_waitcnt vmcnt(0)
	v_fma_f64 v[33:34], v[12:13], v[25:26], v[37:38]
	v_add_co_u32_e32 v12, vcc, s12, v31
	v_addc_co_u32_e32 v13, vcc, v23, v32, vcc
	v_fma_f64 v[37:38], v[14:15], v[25:26], v[41:42]
	v_fma_f64 v[39:40], v[8:9], v[25:26], v[39:40]
	;; [unrolled: 1-line block ×3, first 2 shown]
	global_load_dwordx4 v[8:11], v[12:13], off
	v_add_co_u32_e32 v31, vcc, s12, v43
	global_load_dwordx4 v[12:15], v[12:13], off offset:16
	v_addc_co_u32_e32 v32, vcc, v23, v44, vcc
	v_add_co_u32_e32 v17, vcc, s14, v17
	v_addc_co_u32_e32 v18, vcc, v24, v18, vcc
	s_waitcnt vmcnt(1)
	v_fma_f64 v[33:34], v[8:9], v[27:28], v[33:34]
	v_fma_f64 v[37:38], v[10:11], v[27:28], v[37:38]
	s_waitcnt vmcnt(0)
	v_fma_f64 v[39:40], v[12:13], v[27:28], v[39:40]
	v_fma_f64 v[41:42], v[14:15], v[27:28], v[25:26]
	global_load_dwordx4 v[8:11], v[31:32], off offset:16
	global_load_dwordx4 v[12:15], v[31:32], off
	global_load_dwordx4 v[25:28], v[17:18], off
	v_add_co_u32_e32 v17, vcc, s12, v35
	v_addc_co_u32_e32 v18, vcc, v23, v36, vcc
	global_load_dwordx4 v[29:32], v[17:18], off
	v_cmp_ge_i32_e32 vcc, v20, v22
	s_or_b64 s[8:9], vcc, s[8:9]
	s_waitcnt vmcnt(1)
	v_fma_f64 v[12:13], v[12:13], v[25:26], v[33:34]
	global_load_dwordx4 v[33:36], v[17:18], off offset:16
	v_fma_f64 v[14:15], v[14:15], v[25:26], v[37:38]
	v_fma_f64 v[8:9], v[8:9], v[25:26], v[39:40]
	;; [unrolled: 1-line block ×3, first 2 shown]
	s_waitcnt vmcnt(1)
	v_fma_f64 v[12:13], v[29:30], v[27:28], v[12:13]
	v_fma_f64 v[14:15], v[31:32], v[27:28], v[14:15]
	s_waitcnt vmcnt(0)
	v_fma_f64 v[10:11], v[33:34], v[27:28], v[8:9]
	v_fma_f64 v[8:9], v[35:36], v[27:28], v[17:18]
	s_andn2_b64 exec, exec, s[8:9]
	s_cbranch_execnz .LBB59_9
; %bb.10:
	s_or_b64 exec, exec, s[8:9]
.LBB59_11:
	s_or_b64 exec, exec, s[6:7]
	s_cbranch_execz .LBB59_13
	s_branch .LBB59_18
.LBB59_12:
                                        ; implicit-def: $vgpr12_vgpr13
                                        ; implicit-def: $vgpr8_vgpr9
                                        ; implicit-def: $vgpr10_vgpr11
                                        ; implicit-def: $vgpr14_vgpr15
.LBB59_13:
	v_mov_b32_e32 v12, 0
	v_mov_b32_e32 v8, 0
	;; [unrolled: 1-line block ×8, first 2 shown]
	s_and_saveexec_b64 s[2:3], s[0:1]
	s_cbranch_execz .LBB59_17
; %bb.14:
	v_mad_u64_u32 v[16:17], s[0:1], v6, 24, 23
	v_mov_b32_e32 v12, 0
	v_mov_b32_e32 v8, 0
	;; [unrolled: 1-line block ×5, first 2 shown]
	s_mov_b64 s[0:1], 0
	v_mov_b32_e32 v20, s11
	v_mov_b32_e32 v19, 0
	;; [unrolled: 1-line block ×7, first 2 shown]
.LBB59_15:                              ; =>This Inner Loop Header: Depth=1
	v_ashrrev_i32_e32 v7, 31, v6
	v_lshlrev_b64 v[28:29], 2, v[6:7]
	v_subrev_u32_e32 v18, 23, v16
	v_lshlrev_b64 v[30:31], 3, v[18:19]
	v_add_co_u32_e32 v32, vcc, s10, v28
	v_add_u32_e32 v24, -11, v16
	v_mov_b32_e32 v25, v19
	v_addc_co_u32_e32 v33, vcc, v20, v29, vcc
	v_lshlrev_b64 v[24:25], 3, v[24:25]
	v_add_co_u32_e32 v46, vcc, s12, v30
	v_add_u32_e32 v26, -5, v16
	v_mov_b32_e32 v27, v19
	v_addc_co_u32_e32 v47, vcc, v21, v31, vcc
	v_lshlrev_b64 v[26:27], 3, v[26:27]
	v_add_co_u32_e32 v48, vcc, s12, v24
	v_addc_co_u32_e32 v49, vcc, v21, v25, vcc
	v_add_co_u32_e32 v50, vcc, s12, v26
	v_addc_co_u32_e32 v51, vcc, v21, v27, vcc
	global_load_dword v7, v[32:33], off
	global_load_dwordx4 v[24:27], v[46:47], off
	global_load_dwordx4 v[28:31], v[46:47], off offset:16
	v_mov_b32_e32 v41, v19
	v_mov_b32_e32 v17, v19
	v_lshlrev_b64 v[42:43], 3, v[16:17]
	v_add_u32_e32 v18, -10, v16
	v_lshlrev_b64 v[44:45], 3, v[18:19]
	v_add_u32_e32 v18, -4, v16
	v_lshlrev_b64 v[17:18], 3, v[18:19]
	v_add_u32_e32 v6, 16, v6
	s_waitcnt vmcnt(2)
	v_subrev_u32_e32 v7, s16, v7
	v_mul_lo_u32 v40, v7, 6
	v_lshlrev_b64 v[32:33], 3, v[40:41]
	v_add_co_u32_e32 v32, vcc, s14, v32
	v_addc_co_u32_e32 v33, vcc, v23, v33, vcc
	global_load_dwordx4 v[32:35], v[32:33], off
	v_add_co_u32_e32 v41, vcc, s12, v42
	v_addc_co_u32_e32 v42, vcc, v21, v43, vcc
	s_waitcnt vmcnt(0)
	v_fma_f64 v[12:13], v[24:25], v[32:33], v[12:13]
	v_fma_f64 v[12:13], v[26:27], v[34:35], v[12:13]
	global_load_dwordx4 v[24:27], v[46:47], off offset:48
	global_load_dwordx4 v[36:39], v[46:47], off offset:32
	s_waitcnt vmcnt(1)
	v_fma_f64 v[14:15], v[24:25], v[32:33], v[14:15]
	v_add_co_u32_e32 v24, vcc, s12, v44
	v_addc_co_u32_e32 v25, vcc, v21, v45, vcc
	v_fma_f64 v[14:15], v[26:27], v[34:35], v[14:15]
	v_add_co_u32_e32 v26, vcc, s12, v17
	v_addc_co_u32_e32 v27, vcc, v21, v18, vcc
	v_add_u32_e32 v18, 2, v40
	v_lshlrev_b64 v[17:18], 3, v[18:19]
	v_add_co_u32_e32 v43, vcc, s14, v17
	v_addc_co_u32_e32 v44, vcc, v23, v18, vcc
	v_add_u32_e32 v18, -15, v16
	v_lshlrev_b64 v[17:18], 3, v[18:19]
	v_add_co_u32_e32 v45, vcc, s12, v17
	v_addc_co_u32_e32 v46, vcc, v21, v18, vcc
	v_add_u32_e32 v18, -9, v16
	v_lshlrev_b64 v[17:18], 3, v[18:19]
	v_add_co_u32_e32 v52, vcc, s12, v17
	v_addc_co_u32_e32 v53, vcc, v21, v18, vcc
	global_load_dwordx2 v[17:18], v[48:49], off
	global_load_dwordx2 v[54:55], v[50:51], off
	global_load_dwordx2 v[56:57], v[24:25], off
	global_load_dwordx2 v[58:59], v[26:27], off
	s_waitcnt vmcnt(3)
	v_fma_f64 v[10:11], v[17:18], v[32:33], v[10:11]
	s_waitcnt vmcnt(2)
	v_fma_f64 v[7:8], v[54:55], v[32:33], v[8:9]
	v_add_u32_e32 v18, -3, v16
	s_waitcnt vmcnt(1)
	v_fma_f64 v[24:25], v[56:57], v[34:35], v[10:11]
	v_lshlrev_b64 v[9:10], 3, v[18:19]
	v_add_u32_e32 v18, -14, v16
	s_waitcnt vmcnt(0)
	v_fma_f64 v[26:27], v[58:59], v[34:35], v[7:8]
	v_lshlrev_b64 v[7:8], 3, v[18:19]
	v_add_co_u32_e32 v32, vcc, s12, v9
	v_add_u32_e32 v18, -8, v16
	v_addc_co_u32_e32 v33, vcc, v21, v10, vcc
	v_lshlrev_b64 v[9:10], 3, v[18:19]
	v_add_co_u32_e32 v34, vcc, s12, v7
	v_addc_co_u32_e32 v35, vcc, v21, v8, vcc
	v_add_co_u32_e32 v49, vcc, s12, v9
	v_addc_co_u32_e32 v50, vcc, v21, v10, vcc
	global_load_dwordx4 v[7:10], v[43:44], off
	global_load_dwordx2 v[58:59], v[45:46], off
	global_load_dwordx2 v[60:61], v[52:53], off
	;; [unrolled: 1-line block ×4, first 2 shown]
	v_add_u32_e32 v18, -2, v16
	v_lshlrev_b64 v[47:48], 3, v[18:19]
	v_add_u32_e32 v18, 4, v40
	s_waitcnt vmcnt(4)
	v_fma_f64 v[11:12], v[28:29], v[7:8], v[12:13]
	s_waitcnt vmcnt(3)
	v_fma_f64 v[13:14], v[58:59], v[7:8], v[14:15]
	;; [unrolled: 2-line block ×4, first 2 shown]
	v_lshlrev_b64 v[28:29], 3, v[18:19]
	v_add_u32_e32 v18, -13, v16
	v_lshlrev_b64 v[17:18], 3, v[18:19]
	v_fma_f64 v[11:12], v[30:31], v[9:10], v[11:12]
	v_add_co_u32_e32 v30, vcc, s12, v47
	v_addc_co_u32_e32 v31, vcc, v21, v48, vcc
	global_load_dwordx2 v[26:27], v[49:50], off
	global_load_dwordx2 v[32:33], v[30:31], off
	v_add_co_u32_e32 v28, vcc, s14, v28
	v_addc_co_u32_e32 v29, vcc, v23, v29, vcc
	v_add_co_u32_e32 v43, vcc, s12, v17
	v_addc_co_u32_e32 v44, vcc, v21, v18, vcc
	v_add_u32_e32 v18, -7, v16
	v_lshlrev_b64 v[17:18], 3, v[18:19]
	s_waitcnt vmcnt(2)
	v_fma_f64 v[13:14], v[64:65], v[9:10], v[13:14]
	v_add_co_u32_e32 v47, vcc, s12, v17
	v_addc_co_u32_e32 v48, vcc, v21, v18, vcc
	v_add_u32_e32 v18, -1, v16
	v_lshlrev_b64 v[17:18], 3, v[18:19]
	v_add_co_u32_e32 v54, vcc, s12, v17
	v_addc_co_u32_e32 v55, vcc, v21, v18, vcc
	v_add_u32_e32 v18, -12, v16
	v_lshlrev_b64 v[17:18], 3, v[18:19]
	;; [unrolled: 4-line block ×3, first 2 shown]
	v_add_u32_e32 v16, 0x180, v16
	v_add_co_u32_e32 v17, vcc, s12, v17
	v_addc_co_u32_e32 v18, vcc, v21, v18, vcc
	v_cmp_ge_i32_e32 vcc, v6, v22
	s_or_b64 s[0:1], vcc, s[0:1]
	s_waitcnt vmcnt(1)
	v_fma_f64 v[30:31], v[26:27], v[9:10], v[24:25]
	global_load_dwordx4 v[24:27], v[28:29], off
	global_load_dwordx2 v[34:35], v[43:44], off
	global_load_dwordx2 v[45:46], v[47:48], off
	;; [unrolled: 1-line block ×6, first 2 shown]
	s_waitcnt vmcnt(7)
	v_fma_f64 v[7:8], v[32:33], v[9:10], v[7:8]
	s_waitcnt vmcnt(6)
	v_fma_f64 v[9:10], v[36:37], v[24:25], v[11:12]
	;; [unrolled: 2-line block ×5, first 2 shown]
	v_fma_f64 v[12:13], v[38:39], v[26:27], v[9:10]
	s_waitcnt vmcnt(2)
	v_fma_f64 v[14:15], v[51:52], v[26:27], v[14:15]
	s_waitcnt vmcnt(1)
	;; [unrolled: 2-line block ×3, first 2 shown]
	v_fma_f64 v[8:9], v[60:61], v[26:27], v[7:8]
	s_andn2_b64 exec, exec, s[0:1]
	s_cbranch_execnz .LBB59_15
; %bb.16:
	s_or_b64 exec, exec, s[0:1]
.LBB59_17:
	s_or_b64 exec, exec, s[2:3]
.LBB59_18:
	v_mov_b32_dpp v6, v12 row_shr:1 row_mask:0xf bank_mask:0xf
	v_mov_b32_dpp v7, v13 row_shr:1 row_mask:0xf bank_mask:0xf
	v_add_f64 v[6:7], v[12:13], v[6:7]
	v_mov_b32_dpp v12, v14 row_shr:1 row_mask:0xf bank_mask:0xf
	v_mov_b32_dpp v13, v15 row_shr:1 row_mask:0xf bank_mask:0xf
	;; [unrolled: 1-line block ×3, first 2 shown]
	v_add_f64 v[12:13], v[14:15], v[12:13]
	v_mov_b32_dpp v17, v11 row_shr:1 row_mask:0xf bank_mask:0xf
	v_add_f64 v[10:11], v[10:11], v[16:17]
	v_cmp_eq_u32_e32 vcc, 15, v0
	v_mov_b32_dpp v14, v6 row_shr:2 row_mask:0xf bank_mask:0xf
	v_mov_b32_dpp v15, v7 row_shr:2 row_mask:0xf bank_mask:0xf
	v_add_f64 v[6:7], v[6:7], v[14:15]
	v_mov_b32_dpp v14, v8 row_shr:1 row_mask:0xf bank_mask:0xf
	v_mov_b32_dpp v15, v9 row_shr:1 row_mask:0xf bank_mask:0xf
	v_add_f64 v[8:9], v[8:9], v[14:15]
	;; [unrolled: 3-line block ×4, first 2 shown]
	v_mov_b32_dpp v16, v6 row_shr:4 row_mask:0xf bank_mask:0xe
	v_mov_b32_dpp v14, v8 row_shr:2 row_mask:0xf bank_mask:0xf
	v_mov_b32_dpp v15, v9 row_shr:2 row_mask:0xf bank_mask:0xf
	v_add_f64 v[18:19], v[8:9], v[14:15]
	v_mov_b32_dpp v8, v12 row_shr:4 row_mask:0xf bank_mask:0xe
	v_mov_b32_dpp v9, v13 row_shr:4 row_mask:0xf bank_mask:0xe
	v_add_f64 v[8:9], v[12:13], v[8:9]
	v_mov_b32_dpp v12, v10 row_shr:4 row_mask:0xf bank_mask:0xe
	v_mov_b32_dpp v13, v11 row_shr:4 row_mask:0xf bank_mask:0xe
	v_mov_b32_dpp v17, v7 row_shr:4 row_mask:0xf bank_mask:0xe
	v_add_f64 v[14:15], v[10:11], v[12:13]
	v_mov_b32_dpp v10, v18 row_shr:4 row_mask:0xf bank_mask:0xe
	v_mov_b32_dpp v11, v19 row_shr:4 row_mask:0xf bank_mask:0xe
	v_add_f64 v[6:7], v[6:7], v[16:17]
	v_add_f64 v[16:17], v[18:19], v[10:11]
	v_mov_b32_dpp v10, v8 row_shr:8 row_mask:0xf bank_mask:0xc
	v_mov_b32_dpp v11, v9 row_shr:8 row_mask:0xf bank_mask:0xc
	;; [unrolled: 1-line block ×8, first 2 shown]
	s_and_b64 exec, exec, vcc
	s_cbranch_execz .LBB59_23
; %bb.19:
	v_add_f64 v[12:13], v[6:7], v[12:13]
	v_add_f64 v[10:11], v[8:9], v[10:11]
	;; [unrolled: 1-line block ×4, first 2 shown]
	v_cmp_eq_f64_e32 vcc, 0, v[3:4]
	s_load_dwordx2 s[0:1], s[4:5], 0x38
	s_and_saveexec_b64 s[2:3], vcc
	s_xor_b64 s[2:3], exec, s[2:3]
	s_cbranch_execz .LBB59_21
; %bb.20:
	v_mul_f64 v[12:13], v[1:2], v[12:13]
	v_mul_f64 v[14:15], v[1:2], v[10:11]
	v_lshlrev_b32_e32 v16, 2, v5
	v_mul_f64 v[3:4], v[1:2], v[6:7]
	v_mul_f64 v[5:6], v[1:2], v[8:9]
	v_ashrrev_i32_e32 v17, 31, v16
	v_lshlrev_b64 v[0:1], 3, v[16:17]
	s_waitcnt lgkmcnt(0)
	v_mov_b32_e32 v2, s1
	v_add_co_u32_e32 v0, vcc, s0, v0
	v_addc_co_u32_e32 v1, vcc, v2, v1, vcc
	global_store_dwordx4 v[0:1], v[12:15], off
	global_store_dwordx4 v[0:1], v[3:6], off offset:16
                                        ; implicit-def: $vgpr5
                                        ; implicit-def: $vgpr1_vgpr2
                                        ; implicit-def: $vgpr12_vgpr13
                                        ; implicit-def: $vgpr3_vgpr4
                                        ; implicit-def: $vgpr10_vgpr11
                                        ; implicit-def: $vgpr6_vgpr7
                                        ; implicit-def: $vgpr8_vgpr9
.LBB59_21:
	s_andn2_saveexec_b64 s[2:3], s[2:3]
	s_cbranch_execz .LBB59_23
; %bb.22:
	v_lshlrev_b32_e32 v14, 2, v5
	v_ashrrev_i32_e32 v15, 31, v14
	v_lshlrev_b64 v[14:15], 3, v[14:15]
	s_waitcnt lgkmcnt(0)
	v_mov_b32_e32 v0, s1
	v_add_co_u32_e32 v22, vcc, s0, v14
	v_addc_co_u32_e32 v23, vcc, v0, v15, vcc
	global_load_dwordx4 v[14:17], v[22:23], off
	global_load_dwordx4 v[18:21], v[22:23], off offset:16
	v_mul_f64 v[12:13], v[1:2], v[12:13]
	v_mul_f64 v[10:11], v[1:2], v[10:11]
	;; [unrolled: 1-line block ×4, first 2 shown]
	s_waitcnt vmcnt(1)
	v_fma_f64 v[5:6], v[3:4], v[14:15], v[12:13]
	v_fma_f64 v[7:8], v[3:4], v[16:17], v[10:11]
	s_waitcnt vmcnt(0)
	v_fma_f64 v[0:1], v[3:4], v[18:19], v[24:25]
	v_fma_f64 v[2:3], v[3:4], v[20:21], v[26:27]
	global_store_dwordx4 v[22:23], v[5:8], off
	global_store_dwordx4 v[22:23], v[0:3], off offset:16
.LBB59_23:
	s_endpgm
	.section	.rodata,"a",@progbits
	.p2align	6, 0x0
	.amdhsa_kernel _ZN9rocsparseL19gebsrmvn_4xn_kernelILj128ELj6ELj16EdEEvi20rocsparse_direction_NS_24const_host_device_scalarIT2_EEPKiS6_PKS3_S8_S4_PS3_21rocsparse_index_base_b
		.amdhsa_group_segment_fixed_size 0
		.amdhsa_private_segment_fixed_size 0
		.amdhsa_kernarg_size 72
		.amdhsa_user_sgpr_count 6
		.amdhsa_user_sgpr_private_segment_buffer 1
		.amdhsa_user_sgpr_dispatch_ptr 0
		.amdhsa_user_sgpr_queue_ptr 0
		.amdhsa_user_sgpr_kernarg_segment_ptr 1
		.amdhsa_user_sgpr_dispatch_id 0
		.amdhsa_user_sgpr_flat_scratch_init 0
		.amdhsa_user_sgpr_private_segment_size 0
		.amdhsa_uses_dynamic_stack 0
		.amdhsa_system_sgpr_private_segment_wavefront_offset 0
		.amdhsa_system_sgpr_workgroup_id_x 1
		.amdhsa_system_sgpr_workgroup_id_y 0
		.amdhsa_system_sgpr_workgroup_id_z 0
		.amdhsa_system_sgpr_workgroup_info 0
		.amdhsa_system_vgpr_workitem_id 0
		.amdhsa_next_free_vgpr 66
		.amdhsa_next_free_sgpr 18
		.amdhsa_reserve_vcc 1
		.amdhsa_reserve_flat_scratch 0
		.amdhsa_float_round_mode_32 0
		.amdhsa_float_round_mode_16_64 0
		.amdhsa_float_denorm_mode_32 3
		.amdhsa_float_denorm_mode_16_64 3
		.amdhsa_dx10_clamp 1
		.amdhsa_ieee_mode 1
		.amdhsa_fp16_overflow 0
		.amdhsa_exception_fp_ieee_invalid_op 0
		.amdhsa_exception_fp_denorm_src 0
		.amdhsa_exception_fp_ieee_div_zero 0
		.amdhsa_exception_fp_ieee_overflow 0
		.amdhsa_exception_fp_ieee_underflow 0
		.amdhsa_exception_fp_ieee_inexact 0
		.amdhsa_exception_int_div_zero 0
	.end_amdhsa_kernel
	.section	.text._ZN9rocsparseL19gebsrmvn_4xn_kernelILj128ELj6ELj16EdEEvi20rocsparse_direction_NS_24const_host_device_scalarIT2_EEPKiS6_PKS3_S8_S4_PS3_21rocsparse_index_base_b,"axG",@progbits,_ZN9rocsparseL19gebsrmvn_4xn_kernelILj128ELj6ELj16EdEEvi20rocsparse_direction_NS_24const_host_device_scalarIT2_EEPKiS6_PKS3_S8_S4_PS3_21rocsparse_index_base_b,comdat
.Lfunc_end59:
	.size	_ZN9rocsparseL19gebsrmvn_4xn_kernelILj128ELj6ELj16EdEEvi20rocsparse_direction_NS_24const_host_device_scalarIT2_EEPKiS6_PKS3_S8_S4_PS3_21rocsparse_index_base_b, .Lfunc_end59-_ZN9rocsparseL19gebsrmvn_4xn_kernelILj128ELj6ELj16EdEEvi20rocsparse_direction_NS_24const_host_device_scalarIT2_EEPKiS6_PKS3_S8_S4_PS3_21rocsparse_index_base_b
                                        ; -- End function
	.set _ZN9rocsparseL19gebsrmvn_4xn_kernelILj128ELj6ELj16EdEEvi20rocsparse_direction_NS_24const_host_device_scalarIT2_EEPKiS6_PKS3_S8_S4_PS3_21rocsparse_index_base_b.num_vgpr, 66
	.set _ZN9rocsparseL19gebsrmvn_4xn_kernelILj128ELj6ELj16EdEEvi20rocsparse_direction_NS_24const_host_device_scalarIT2_EEPKiS6_PKS3_S8_S4_PS3_21rocsparse_index_base_b.num_agpr, 0
	.set _ZN9rocsparseL19gebsrmvn_4xn_kernelILj128ELj6ELj16EdEEvi20rocsparse_direction_NS_24const_host_device_scalarIT2_EEPKiS6_PKS3_S8_S4_PS3_21rocsparse_index_base_b.numbered_sgpr, 18
	.set _ZN9rocsparseL19gebsrmvn_4xn_kernelILj128ELj6ELj16EdEEvi20rocsparse_direction_NS_24const_host_device_scalarIT2_EEPKiS6_PKS3_S8_S4_PS3_21rocsparse_index_base_b.num_named_barrier, 0
	.set _ZN9rocsparseL19gebsrmvn_4xn_kernelILj128ELj6ELj16EdEEvi20rocsparse_direction_NS_24const_host_device_scalarIT2_EEPKiS6_PKS3_S8_S4_PS3_21rocsparse_index_base_b.private_seg_size, 0
	.set _ZN9rocsparseL19gebsrmvn_4xn_kernelILj128ELj6ELj16EdEEvi20rocsparse_direction_NS_24const_host_device_scalarIT2_EEPKiS6_PKS3_S8_S4_PS3_21rocsparse_index_base_b.uses_vcc, 1
	.set _ZN9rocsparseL19gebsrmvn_4xn_kernelILj128ELj6ELj16EdEEvi20rocsparse_direction_NS_24const_host_device_scalarIT2_EEPKiS6_PKS3_S8_S4_PS3_21rocsparse_index_base_b.uses_flat_scratch, 0
	.set _ZN9rocsparseL19gebsrmvn_4xn_kernelILj128ELj6ELj16EdEEvi20rocsparse_direction_NS_24const_host_device_scalarIT2_EEPKiS6_PKS3_S8_S4_PS3_21rocsparse_index_base_b.has_dyn_sized_stack, 0
	.set _ZN9rocsparseL19gebsrmvn_4xn_kernelILj128ELj6ELj16EdEEvi20rocsparse_direction_NS_24const_host_device_scalarIT2_EEPKiS6_PKS3_S8_S4_PS3_21rocsparse_index_base_b.has_recursion, 0
	.set _ZN9rocsparseL19gebsrmvn_4xn_kernelILj128ELj6ELj16EdEEvi20rocsparse_direction_NS_24const_host_device_scalarIT2_EEPKiS6_PKS3_S8_S4_PS3_21rocsparse_index_base_b.has_indirect_call, 0
	.section	.AMDGPU.csdata,"",@progbits
; Kernel info:
; codeLenInByte = 2660
; TotalNumSgprs: 22
; NumVgprs: 66
; ScratchSize: 0
; MemoryBound: 1
; FloatMode: 240
; IeeeMode: 1
; LDSByteSize: 0 bytes/workgroup (compile time only)
; SGPRBlocks: 2
; VGPRBlocks: 16
; NumSGPRsForWavesPerEU: 22
; NumVGPRsForWavesPerEU: 66
; Occupancy: 3
; WaveLimiterHint : 1
; COMPUTE_PGM_RSRC2:SCRATCH_EN: 0
; COMPUTE_PGM_RSRC2:USER_SGPR: 6
; COMPUTE_PGM_RSRC2:TRAP_HANDLER: 0
; COMPUTE_PGM_RSRC2:TGID_X_EN: 1
; COMPUTE_PGM_RSRC2:TGID_Y_EN: 0
; COMPUTE_PGM_RSRC2:TGID_Z_EN: 0
; COMPUTE_PGM_RSRC2:TIDIG_COMP_CNT: 0
	.section	.text._ZN9rocsparseL19gebsrmvn_4xn_kernelILj128ELj6ELj32EdEEvi20rocsparse_direction_NS_24const_host_device_scalarIT2_EEPKiS6_PKS3_S8_S4_PS3_21rocsparse_index_base_b,"axG",@progbits,_ZN9rocsparseL19gebsrmvn_4xn_kernelILj128ELj6ELj32EdEEvi20rocsparse_direction_NS_24const_host_device_scalarIT2_EEPKiS6_PKS3_S8_S4_PS3_21rocsparse_index_base_b,comdat
	.globl	_ZN9rocsparseL19gebsrmvn_4xn_kernelILj128ELj6ELj32EdEEvi20rocsparse_direction_NS_24const_host_device_scalarIT2_EEPKiS6_PKS3_S8_S4_PS3_21rocsparse_index_base_b ; -- Begin function _ZN9rocsparseL19gebsrmvn_4xn_kernelILj128ELj6ELj32EdEEvi20rocsparse_direction_NS_24const_host_device_scalarIT2_EEPKiS6_PKS3_S8_S4_PS3_21rocsparse_index_base_b
	.p2align	8
	.type	_ZN9rocsparseL19gebsrmvn_4xn_kernelILj128ELj6ELj32EdEEvi20rocsparse_direction_NS_24const_host_device_scalarIT2_EEPKiS6_PKS3_S8_S4_PS3_21rocsparse_index_base_b,@function
_ZN9rocsparseL19gebsrmvn_4xn_kernelILj128ELj6ELj32EdEEvi20rocsparse_direction_NS_24const_host_device_scalarIT2_EEPKiS6_PKS3_S8_S4_PS3_21rocsparse_index_base_b: ; @_ZN9rocsparseL19gebsrmvn_4xn_kernelILj128ELj6ELj32EdEEvi20rocsparse_direction_NS_24const_host_device_scalarIT2_EEPKiS6_PKS3_S8_S4_PS3_21rocsparse_index_base_b
; %bb.0:
	s_load_dwordx2 s[16:17], s[4:5], 0x40
	s_load_dwordx2 s[8:9], s[4:5], 0x8
	;; [unrolled: 1-line block ×3, first 2 shown]
	s_waitcnt lgkmcnt(0)
	s_bitcmp1_b32 s17, 0
	s_cselect_b64 s[10:11], -1, 0
	v_mov_b32_e32 v1, s8
	s_xor_b64 s[2:3], s[10:11], -1
	s_and_b64 vcc, exec, s[10:11]
	v_mov_b32_e32 v2, s9
	s_cbranch_vccnz .LBB60_2
; %bb.1:
	v_mov_b32_e32 v1, s8
	v_mov_b32_e32 v2, s9
	flat_load_dwordx2 v[1:2], v[1:2]
.LBB60_2:
	v_mov_b32_e32 v4, s1
	s_andn2_b64 vcc, exec, s[2:3]
	v_mov_b32_e32 v3, s0
	s_cbranch_vccnz .LBB60_4
; %bb.3:
	v_mov_b32_e32 v4, s1
	v_mov_b32_e32 v3, s0
	flat_load_dwordx2 v[3:4], v[3:4]
.LBB60_4:
	s_waitcnt vmcnt(0) lgkmcnt(0)
	v_cmp_neq_f64_e32 vcc, 0, v[1:2]
	v_cmp_neq_f64_e64 s[0:1], 1.0, v[3:4]
	s_or_b64 s[0:1], vcc, s[0:1]
	s_and_saveexec_b64 s[2:3], s[0:1]
	s_cbranch_execz .LBB60_23
; %bb.5:
	s_load_dwordx2 s[0:1], s[4:5], 0x0
	v_lshrrev_b32_e32 v5, 5, v0
	v_lshl_or_b32 v5, s6, 2, v5
	s_waitcnt lgkmcnt(0)
	v_cmp_gt_i32_e32 vcc, s0, v5
	s_and_b64 exec, exec, vcc
	s_cbranch_execz .LBB60_23
; %bb.6:
	s_load_dwordx8 s[8:15], s[4:5], 0x10
	v_ashrrev_i32_e32 v6, 31, v5
	v_lshlrev_b64 v[6:7], 2, v[5:6]
	v_and_b32_e32 v0, 31, v0
	s_cmp_lg_u32 s1, 0
	s_waitcnt lgkmcnt(0)
	v_mov_b32_e32 v8, s9
	v_add_co_u32_e32 v6, vcc, s8, v6
	v_addc_co_u32_e32 v7, vcc, v8, v7, vcc
	global_load_dwordx2 v[6:7], v[6:7], off
	s_waitcnt vmcnt(0)
	v_subrev_u32_e32 v6, s16, v6
	v_subrev_u32_e32 v22, s16, v7
	v_add_u32_e32 v6, v6, v0
	v_cmp_lt_i32_e64 s[0:1], v6, v22
	s_cbranch_scc0 .LBB60_12
; %bb.7:
	v_mov_b32_e32 v14, 0
	v_mov_b32_e32 v8, 0
	;; [unrolled: 1-line block ×8, first 2 shown]
	s_and_saveexec_b64 s[6:7], s[0:1]
	s_cbranch_execz .LBB60_11
; %bb.8:
	v_mad_u64_u32 v[16:17], s[2:3], v6, 24, 20
	v_mov_b32_e32 v14, 0
	v_mov_b32_e32 v8, 0
	;; [unrolled: 1-line block ×5, first 2 shown]
	s_mov_b64 s[8:9], 0
	v_mov_b32_e32 v7, s11
	v_mov_b32_e32 v19, 0
	;; [unrolled: 1-line block ×8, first 2 shown]
.LBB60_9:                               ; =>This Inner Loop Header: Depth=1
	v_ashrrev_i32_e32 v21, 31, v20
	v_subrev_u32_e32 v18, 20, v16
	v_lshlrev_b64 v[25:26], 2, v[20:21]
	v_lshlrev_b64 v[27:28], 3, v[18:19]
	v_add_co_u32_e32 v29, vcc, s10, v25
	v_add_co_u32_e64 v37, s[2:3], s12, v27
	v_addc_co_u32_e32 v30, vcc, v7, v26, vcc
	v_addc_co_u32_e64 v38, vcc, v23, v28, s[2:3]
	global_load_dword v21, v[29:30], off
	global_load_dwordx4 v[25:28], v[37:38], off
	v_mov_b32_e32 v34, v19
	v_mov_b32_e32 v17, v19
	v_add_u32_e32 v18, -12, v16
	v_lshlrev_b64 v[35:36], 3, v[16:17]
	v_lshlrev_b64 v[17:18], 3, v[18:19]
	v_add_u32_e32 v20, 32, v20
	v_add_co_u32_e32 v17, vcc, s12, v17
	v_addc_co_u32_e32 v18, vcc, v23, v18, vcc
	s_waitcnt vmcnt(1)
	v_subrev_u32_e32 v21, s16, v21
	v_mul_lo_u32 v33, v21, 6
	v_lshlrev_b64 v[29:30], 3, v[33:34]
	v_add_co_u32_e64 v29, s[2:3], s14, v29
	v_addc_co_u32_e64 v30, s[2:3], v24, v30, s[2:3]
	global_load_dwordx4 v[29:32], v[29:30], off
	s_waitcnt vmcnt(0)
	v_fma_f64 v[25:26], v[25:26], v[29:30], v[14:15]
	v_fma_f64 v[27:28], v[27:28], v[29:30], v[12:13]
	global_load_dwordx4 v[12:15], v[37:38], off offset:16
	s_waitcnt vmcnt(0)
	v_fma_f64 v[39:40], v[12:13], v[29:30], v[10:11]
	v_fma_f64 v[29:30], v[14:15], v[29:30], v[8:9]
	global_load_dwordx4 v[8:11], v[37:38], off offset:32
	global_load_dwordx4 v[12:15], v[37:38], off offset:48
	s_waitcnt vmcnt(1)
	v_fma_f64 v[37:38], v[8:9], v[31:32], v[25:26]
	v_fma_f64 v[41:42], v[10:11], v[31:32], v[27:28]
	global_load_dwordx4 v[8:11], v[17:18], off offset:16
	s_waitcnt vmcnt(1)
	v_fma_f64 v[39:40], v[12:13], v[31:32], v[39:40]
	v_fma_f64 v[29:30], v[14:15], v[31:32], v[29:30]
	global_load_dwordx4 v[12:15], v[17:18], off
	v_add_u32_e32 v18, 2, v33
	v_lshlrev_b64 v[25:26], 3, v[18:19]
	v_add_u32_e32 v18, -8, v16
	v_add_co_u32_e32 v25, vcc, s14, v25
	v_addc_co_u32_e32 v26, vcc, v24, v26, vcc
	global_load_dwordx4 v[25:28], v[25:26], off
	v_lshlrev_b64 v[31:32], 3, v[18:19]
	v_add_u32_e32 v18, -4, v16
	v_lshlrev_b64 v[43:44], 3, v[18:19]
	v_add_u32_e32 v18, 4, v33
	v_lshlrev_b64 v[17:18], 3, v[18:19]
	v_add_u32_e32 v16, 0x300, v16
	s_waitcnt vmcnt(0)
	v_fma_f64 v[33:34], v[12:13], v[25:26], v[37:38]
	v_add_co_u32_e32 v12, vcc, s12, v31
	v_addc_co_u32_e32 v13, vcc, v23, v32, vcc
	v_fma_f64 v[37:38], v[14:15], v[25:26], v[41:42]
	v_fma_f64 v[39:40], v[8:9], v[25:26], v[39:40]
	;; [unrolled: 1-line block ×3, first 2 shown]
	global_load_dwordx4 v[8:11], v[12:13], off
	v_add_co_u32_e32 v31, vcc, s12, v43
	global_load_dwordx4 v[12:15], v[12:13], off offset:16
	v_addc_co_u32_e32 v32, vcc, v23, v44, vcc
	v_add_co_u32_e32 v17, vcc, s14, v17
	v_addc_co_u32_e32 v18, vcc, v24, v18, vcc
	s_waitcnt vmcnt(1)
	v_fma_f64 v[33:34], v[8:9], v[27:28], v[33:34]
	v_fma_f64 v[37:38], v[10:11], v[27:28], v[37:38]
	s_waitcnt vmcnt(0)
	v_fma_f64 v[39:40], v[12:13], v[27:28], v[39:40]
	v_fma_f64 v[41:42], v[14:15], v[27:28], v[25:26]
	global_load_dwordx4 v[8:11], v[31:32], off offset:16
	global_load_dwordx4 v[12:15], v[31:32], off
	global_load_dwordx4 v[25:28], v[17:18], off
	v_add_co_u32_e32 v17, vcc, s12, v35
	v_addc_co_u32_e32 v18, vcc, v23, v36, vcc
	global_load_dwordx4 v[29:32], v[17:18], off
	v_cmp_ge_i32_e32 vcc, v20, v22
	s_or_b64 s[8:9], vcc, s[8:9]
	s_waitcnt vmcnt(1)
	v_fma_f64 v[12:13], v[12:13], v[25:26], v[33:34]
	global_load_dwordx4 v[33:36], v[17:18], off offset:16
	v_fma_f64 v[37:38], v[14:15], v[25:26], v[37:38]
	v_fma_f64 v[8:9], v[8:9], v[25:26], v[39:40]
	;; [unrolled: 1-line block ×3, first 2 shown]
	s_waitcnt vmcnt(1)
	v_fma_f64 v[14:15], v[29:30], v[27:28], v[12:13]
	v_fma_f64 v[12:13], v[31:32], v[27:28], v[37:38]
	s_waitcnt vmcnt(0)
	v_fma_f64 v[10:11], v[33:34], v[27:28], v[8:9]
	v_fma_f64 v[8:9], v[35:36], v[27:28], v[17:18]
	s_andn2_b64 exec, exec, s[8:9]
	s_cbranch_execnz .LBB60_9
; %bb.10:
	s_or_b64 exec, exec, s[8:9]
.LBB60_11:
	s_or_b64 exec, exec, s[6:7]
	s_cbranch_execz .LBB60_13
	s_branch .LBB60_18
.LBB60_12:
                                        ; implicit-def: $vgpr14_vgpr15
                                        ; implicit-def: $vgpr8_vgpr9
                                        ; implicit-def: $vgpr10_vgpr11
                                        ; implicit-def: $vgpr12_vgpr13
.LBB60_13:
	v_mov_b32_e32 v14, 0
	v_mov_b32_e32 v8, 0
	;; [unrolled: 1-line block ×8, first 2 shown]
	s_and_saveexec_b64 s[2:3], s[0:1]
	s_cbranch_execz .LBB60_17
; %bb.14:
	v_mad_u64_u32 v[16:17], s[0:1], v6, 24, 23
	v_mov_b32_e32 v14, 0
	v_mov_b32_e32 v8, 0
	;; [unrolled: 1-line block ×5, first 2 shown]
	s_mov_b64 s[0:1], 0
	v_mov_b32_e32 v20, s11
	v_mov_b32_e32 v19, 0
	;; [unrolled: 1-line block ×7, first 2 shown]
.LBB60_15:                              ; =>This Inner Loop Header: Depth=1
	v_ashrrev_i32_e32 v7, 31, v6
	v_lshlrev_b64 v[28:29], 2, v[6:7]
	v_subrev_u32_e32 v18, 23, v16
	v_lshlrev_b64 v[30:31], 3, v[18:19]
	v_add_co_u32_e32 v32, vcc, s10, v28
	v_add_u32_e32 v24, -11, v16
	v_mov_b32_e32 v25, v19
	v_addc_co_u32_e32 v33, vcc, v20, v29, vcc
	v_lshlrev_b64 v[24:25], 3, v[24:25]
	v_add_co_u32_e32 v46, vcc, s12, v30
	v_add_u32_e32 v26, -5, v16
	v_mov_b32_e32 v27, v19
	v_addc_co_u32_e32 v47, vcc, v21, v31, vcc
	v_lshlrev_b64 v[26:27], 3, v[26:27]
	v_add_co_u32_e32 v48, vcc, s12, v24
	v_addc_co_u32_e32 v49, vcc, v21, v25, vcc
	v_add_co_u32_e32 v50, vcc, s12, v26
	v_addc_co_u32_e32 v51, vcc, v21, v27, vcc
	global_load_dword v7, v[32:33], off
	global_load_dwordx4 v[24:27], v[46:47], off
	global_load_dwordx4 v[28:31], v[46:47], off offset:16
	v_mov_b32_e32 v41, v19
	v_mov_b32_e32 v17, v19
	v_lshlrev_b64 v[42:43], 3, v[16:17]
	v_add_u32_e32 v18, -10, v16
	v_lshlrev_b64 v[44:45], 3, v[18:19]
	v_add_u32_e32 v18, -4, v16
	v_lshlrev_b64 v[17:18], 3, v[18:19]
	v_add_u32_e32 v6, 32, v6
	s_waitcnt vmcnt(2)
	v_subrev_u32_e32 v7, s16, v7
	v_mul_lo_u32 v40, v7, 6
	v_lshlrev_b64 v[32:33], 3, v[40:41]
	v_add_co_u32_e32 v32, vcc, s14, v32
	v_addc_co_u32_e32 v33, vcc, v23, v33, vcc
	global_load_dwordx4 v[32:35], v[32:33], off
	v_add_co_u32_e32 v41, vcc, s12, v42
	v_addc_co_u32_e32 v42, vcc, v21, v43, vcc
	s_waitcnt vmcnt(0)
	v_fma_f64 v[14:15], v[24:25], v[32:33], v[14:15]
	v_fma_f64 v[14:15], v[26:27], v[34:35], v[14:15]
	global_load_dwordx4 v[24:27], v[46:47], off offset:48
	global_load_dwordx4 v[36:39], v[46:47], off offset:32
	s_waitcnt vmcnt(1)
	v_fma_f64 v[12:13], v[24:25], v[32:33], v[12:13]
	v_add_co_u32_e32 v24, vcc, s12, v44
	v_addc_co_u32_e32 v25, vcc, v21, v45, vcc
	v_fma_f64 v[12:13], v[26:27], v[34:35], v[12:13]
	v_add_co_u32_e32 v26, vcc, s12, v17
	v_addc_co_u32_e32 v27, vcc, v21, v18, vcc
	v_add_u32_e32 v18, 2, v40
	v_lshlrev_b64 v[17:18], 3, v[18:19]
	v_add_co_u32_e32 v43, vcc, s14, v17
	v_addc_co_u32_e32 v44, vcc, v23, v18, vcc
	v_add_u32_e32 v18, -15, v16
	v_lshlrev_b64 v[17:18], 3, v[18:19]
	v_add_co_u32_e32 v45, vcc, s12, v17
	v_addc_co_u32_e32 v46, vcc, v21, v18, vcc
	v_add_u32_e32 v18, -9, v16
	v_lshlrev_b64 v[17:18], 3, v[18:19]
	v_add_co_u32_e32 v52, vcc, s12, v17
	v_addc_co_u32_e32 v53, vcc, v21, v18, vcc
	global_load_dwordx2 v[17:18], v[48:49], off
	global_load_dwordx2 v[54:55], v[50:51], off
	;; [unrolled: 1-line block ×4, first 2 shown]
	s_waitcnt vmcnt(3)
	v_fma_f64 v[10:11], v[17:18], v[32:33], v[10:11]
	s_waitcnt vmcnt(2)
	v_fma_f64 v[7:8], v[54:55], v[32:33], v[8:9]
	v_add_u32_e32 v18, -3, v16
	s_waitcnt vmcnt(1)
	v_fma_f64 v[24:25], v[56:57], v[34:35], v[10:11]
	v_lshlrev_b64 v[9:10], 3, v[18:19]
	v_add_u32_e32 v18, -14, v16
	s_waitcnt vmcnt(0)
	v_fma_f64 v[26:27], v[58:59], v[34:35], v[7:8]
	v_lshlrev_b64 v[7:8], 3, v[18:19]
	v_add_co_u32_e32 v32, vcc, s12, v9
	v_add_u32_e32 v18, -8, v16
	v_addc_co_u32_e32 v33, vcc, v21, v10, vcc
	v_lshlrev_b64 v[9:10], 3, v[18:19]
	v_add_co_u32_e32 v34, vcc, s12, v7
	v_addc_co_u32_e32 v35, vcc, v21, v8, vcc
	v_add_co_u32_e32 v49, vcc, s12, v9
	v_addc_co_u32_e32 v50, vcc, v21, v10, vcc
	global_load_dwordx4 v[7:10], v[43:44], off
	global_load_dwordx2 v[58:59], v[45:46], off
	global_load_dwordx2 v[60:61], v[52:53], off
	;; [unrolled: 1-line block ×4, first 2 shown]
	v_add_u32_e32 v18, -2, v16
	v_lshlrev_b64 v[47:48], 3, v[18:19]
	v_add_u32_e32 v18, 4, v40
	s_waitcnt vmcnt(4)
	v_fma_f64 v[14:15], v[28:29], v[7:8], v[14:15]
	s_waitcnt vmcnt(3)
	v_fma_f64 v[11:12], v[58:59], v[7:8], v[12:13]
	;; [unrolled: 2-line block ×4, first 2 shown]
	v_lshlrev_b64 v[28:29], 3, v[18:19]
	v_add_u32_e32 v18, -13, v16
	v_lshlrev_b64 v[17:18], 3, v[18:19]
	v_fma_f64 v[14:15], v[30:31], v[9:10], v[14:15]
	v_add_co_u32_e32 v30, vcc, s12, v47
	v_addc_co_u32_e32 v31, vcc, v21, v48, vcc
	global_load_dwordx2 v[26:27], v[49:50], off
	global_load_dwordx2 v[32:33], v[30:31], off
	v_add_co_u32_e32 v28, vcc, s14, v28
	v_addc_co_u32_e32 v29, vcc, v23, v29, vcc
	v_add_co_u32_e32 v43, vcc, s12, v17
	v_addc_co_u32_e32 v44, vcc, v21, v18, vcc
	v_add_u32_e32 v18, -7, v16
	v_lshlrev_b64 v[17:18], 3, v[18:19]
	s_waitcnt vmcnt(2)
	v_fma_f64 v[11:12], v[64:65], v[9:10], v[11:12]
	v_add_co_u32_e32 v47, vcc, s12, v17
	v_addc_co_u32_e32 v48, vcc, v21, v18, vcc
	v_add_u32_e32 v18, -1, v16
	v_lshlrev_b64 v[17:18], 3, v[18:19]
	v_add_co_u32_e32 v54, vcc, s12, v17
	v_addc_co_u32_e32 v55, vcc, v21, v18, vcc
	v_add_u32_e32 v18, -12, v16
	v_lshlrev_b64 v[17:18], 3, v[18:19]
	;; [unrolled: 4-line block ×3, first 2 shown]
	v_add_u32_e32 v16, 0x300, v16
	v_add_co_u32_e32 v17, vcc, s12, v17
	v_addc_co_u32_e32 v18, vcc, v21, v18, vcc
	v_cmp_ge_i32_e32 vcc, v6, v22
	s_or_b64 s[0:1], vcc, s[0:1]
	s_waitcnt vmcnt(1)
	v_fma_f64 v[30:31], v[26:27], v[9:10], v[24:25]
	global_load_dwordx4 v[24:27], v[28:29], off
	global_load_dwordx2 v[34:35], v[43:44], off
	global_load_dwordx2 v[45:46], v[47:48], off
	;; [unrolled: 1-line block ×6, first 2 shown]
	s_waitcnt vmcnt(7)
	v_fma_f64 v[7:8], v[32:33], v[9:10], v[7:8]
	s_waitcnt vmcnt(6)
	v_fma_f64 v[9:10], v[36:37], v[24:25], v[14:15]
	;; [unrolled: 2-line block ×5, first 2 shown]
	v_fma_f64 v[14:15], v[38:39], v[26:27], v[9:10]
	s_waitcnt vmcnt(2)
	v_fma_f64 v[12:13], v[51:52], v[26:27], v[11:12]
	s_waitcnt vmcnt(1)
	;; [unrolled: 2-line block ×3, first 2 shown]
	v_fma_f64 v[8:9], v[60:61], v[26:27], v[7:8]
	s_andn2_b64 exec, exec, s[0:1]
	s_cbranch_execnz .LBB60_15
; %bb.16:
	s_or_b64 exec, exec, s[0:1]
.LBB60_17:
	s_or_b64 exec, exec, s[2:3]
.LBB60_18:
	v_mov_b32_dpp v6, v14 row_shr:1 row_mask:0xf bank_mask:0xf
	v_mov_b32_dpp v7, v15 row_shr:1 row_mask:0xf bank_mask:0xf
	v_add_f64 v[6:7], v[14:15], v[6:7]
	v_mov_b32_dpp v14, v12 row_shr:1 row_mask:0xf bank_mask:0xf
	v_mov_b32_dpp v15, v13 row_shr:1 row_mask:0xf bank_mask:0xf
	v_add_f64 v[12:13], v[12:13], v[14:15]
	;; [unrolled: 3-line block ×3, first 2 shown]
	v_cmp_eq_u32_e32 vcc, 31, v0
	v_mov_b32_dpp v14, v6 row_shr:2 row_mask:0xf bank_mask:0xf
	v_mov_b32_dpp v15, v7 row_shr:2 row_mask:0xf bank_mask:0xf
	v_add_f64 v[6:7], v[6:7], v[14:15]
	v_mov_b32_dpp v14, v8 row_shr:1 row_mask:0xf bank_mask:0xf
	v_mov_b32_dpp v15, v9 row_shr:1 row_mask:0xf bank_mask:0xf
	v_add_f64 v[8:9], v[8:9], v[14:15]
	;; [unrolled: 3-line block ×4, first 2 shown]
	v_mov_b32_dpp v16, v10 row_shr:2 row_mask:0xf bank_mask:0xf
	v_mov_b32_dpp v17, v11 row_shr:2 row_mask:0xf bank_mask:0xf
	v_mov_b32_dpp v14, v8 row_shr:2 row_mask:0xf bank_mask:0xf
	v_add_f64 v[10:11], v[10:11], v[16:17]
	v_mov_b32_dpp v15, v9 row_shr:2 row_mask:0xf bank_mask:0xf
	v_add_f64 v[8:9], v[8:9], v[14:15]
	v_mov_b32_dpp v16, v12 row_shr:4 row_mask:0xf bank_mask:0xe
	v_mov_b32_dpp v17, v13 row_shr:4 row_mask:0xf bank_mask:0xe
	v_add_f64 v[12:13], v[12:13], v[16:17]
	v_mov_b32_dpp v14, v6 row_shr:8 row_mask:0xf bank_mask:0xc
	v_mov_b32_dpp v15, v7 row_shr:8 row_mask:0xf bank_mask:0xc
	;; [unrolled: 1-line block ×4, first 2 shown]
	v_add_f64 v[10:11], v[10:11], v[16:17]
	v_mov_b32_dpp v16, v8 row_shr:4 row_mask:0xf bank_mask:0xe
	v_mov_b32_dpp v17, v9 row_shr:4 row_mask:0xf bank_mask:0xe
	v_add_f64 v[16:17], v[8:9], v[16:17]
	v_mov_b32_dpp v8, v12 row_shr:8 row_mask:0xf bank_mask:0xc
	v_mov_b32_dpp v9, v13 row_shr:8 row_mask:0xf bank_mask:0xc
	v_add_f64 v[8:9], v[12:13], v[8:9]
	v_add_f64 v[6:7], v[6:7], v[14:15]
	v_mov_b32_dpp v12, v10 row_shr:8 row_mask:0xf bank_mask:0xc
	v_mov_b32_dpp v13, v11 row_shr:8 row_mask:0xf bank_mask:0xc
	v_add_f64 v[14:15], v[10:11], v[12:13]
	v_mov_b32_dpp v10, v16 row_shr:8 row_mask:0xf bank_mask:0xc
	v_mov_b32_dpp v11, v17 row_shr:8 row_mask:0xf bank_mask:0xc
	v_add_f64 v[16:17], v[16:17], v[10:11]
	v_mov_b32_dpp v10, v8 row_bcast:15 row_mask:0xa bank_mask:0xf
	v_mov_b32_dpp v12, v6 row_bcast:15 row_mask:0xa bank_mask:0xf
	v_mov_b32_dpp v13, v7 row_bcast:15 row_mask:0xa bank_mask:0xf
	v_mov_b32_dpp v11, v9 row_bcast:15 row_mask:0xa bank_mask:0xf
	v_mov_b32_dpp v20, v14 row_bcast:15 row_mask:0xa bank_mask:0xf
	v_mov_b32_dpp v21, v15 row_bcast:15 row_mask:0xa bank_mask:0xf
	v_mov_b32_dpp v18, v16 row_bcast:15 row_mask:0xa bank_mask:0xf
	v_mov_b32_dpp v19, v17 row_bcast:15 row_mask:0xa bank_mask:0xf
	s_and_b64 exec, exec, vcc
	s_cbranch_execz .LBB60_23
; %bb.19:
	v_add_f64 v[12:13], v[6:7], v[12:13]
	v_add_f64 v[10:11], v[8:9], v[10:11]
	;; [unrolled: 1-line block ×4, first 2 shown]
	v_cmp_eq_f64_e32 vcc, 0, v[3:4]
	s_load_dwordx2 s[0:1], s[4:5], 0x38
	s_and_saveexec_b64 s[2:3], vcc
	s_xor_b64 s[2:3], exec, s[2:3]
	s_cbranch_execz .LBB60_21
; %bb.20:
	v_mul_f64 v[12:13], v[1:2], v[12:13]
	v_mul_f64 v[14:15], v[1:2], v[10:11]
	v_lshlrev_b32_e32 v16, 2, v5
	v_mul_f64 v[3:4], v[1:2], v[6:7]
	v_mul_f64 v[5:6], v[1:2], v[8:9]
	v_ashrrev_i32_e32 v17, 31, v16
	v_lshlrev_b64 v[0:1], 3, v[16:17]
	s_waitcnt lgkmcnt(0)
	v_mov_b32_e32 v2, s1
	v_add_co_u32_e32 v0, vcc, s0, v0
	v_addc_co_u32_e32 v1, vcc, v2, v1, vcc
	global_store_dwordx4 v[0:1], v[12:15], off
	global_store_dwordx4 v[0:1], v[3:6], off offset:16
                                        ; implicit-def: $vgpr5
                                        ; implicit-def: $vgpr1_vgpr2
                                        ; implicit-def: $vgpr12_vgpr13
                                        ; implicit-def: $vgpr3_vgpr4
                                        ; implicit-def: $vgpr10_vgpr11
                                        ; implicit-def: $vgpr6_vgpr7
                                        ; implicit-def: $vgpr8_vgpr9
.LBB60_21:
	s_andn2_saveexec_b64 s[2:3], s[2:3]
	s_cbranch_execz .LBB60_23
; %bb.22:
	v_lshlrev_b32_e32 v14, 2, v5
	v_ashrrev_i32_e32 v15, 31, v14
	v_lshlrev_b64 v[14:15], 3, v[14:15]
	s_waitcnt lgkmcnt(0)
	v_mov_b32_e32 v0, s1
	v_add_co_u32_e32 v22, vcc, s0, v14
	v_addc_co_u32_e32 v23, vcc, v0, v15, vcc
	global_load_dwordx4 v[14:17], v[22:23], off
	global_load_dwordx4 v[18:21], v[22:23], off offset:16
	v_mul_f64 v[12:13], v[1:2], v[12:13]
	v_mul_f64 v[10:11], v[1:2], v[10:11]
	;; [unrolled: 1-line block ×4, first 2 shown]
	s_waitcnt vmcnt(1)
	v_fma_f64 v[5:6], v[3:4], v[14:15], v[12:13]
	v_fma_f64 v[7:8], v[3:4], v[16:17], v[10:11]
	s_waitcnt vmcnt(0)
	v_fma_f64 v[0:1], v[3:4], v[18:19], v[24:25]
	v_fma_f64 v[2:3], v[3:4], v[20:21], v[26:27]
	global_store_dwordx4 v[22:23], v[5:8], off
	global_store_dwordx4 v[22:23], v[0:3], off offset:16
.LBB60_23:
	s_endpgm
	.section	.rodata,"a",@progbits
	.p2align	6, 0x0
	.amdhsa_kernel _ZN9rocsparseL19gebsrmvn_4xn_kernelILj128ELj6ELj32EdEEvi20rocsparse_direction_NS_24const_host_device_scalarIT2_EEPKiS6_PKS3_S8_S4_PS3_21rocsparse_index_base_b
		.amdhsa_group_segment_fixed_size 0
		.amdhsa_private_segment_fixed_size 0
		.amdhsa_kernarg_size 72
		.amdhsa_user_sgpr_count 6
		.amdhsa_user_sgpr_private_segment_buffer 1
		.amdhsa_user_sgpr_dispatch_ptr 0
		.amdhsa_user_sgpr_queue_ptr 0
		.amdhsa_user_sgpr_kernarg_segment_ptr 1
		.amdhsa_user_sgpr_dispatch_id 0
		.amdhsa_user_sgpr_flat_scratch_init 0
		.amdhsa_user_sgpr_private_segment_size 0
		.amdhsa_uses_dynamic_stack 0
		.amdhsa_system_sgpr_private_segment_wavefront_offset 0
		.amdhsa_system_sgpr_workgroup_id_x 1
		.amdhsa_system_sgpr_workgroup_id_y 0
		.amdhsa_system_sgpr_workgroup_id_z 0
		.amdhsa_system_sgpr_workgroup_info 0
		.amdhsa_system_vgpr_workitem_id 0
		.amdhsa_next_free_vgpr 66
		.amdhsa_next_free_sgpr 18
		.amdhsa_reserve_vcc 1
		.amdhsa_reserve_flat_scratch 0
		.amdhsa_float_round_mode_32 0
		.amdhsa_float_round_mode_16_64 0
		.amdhsa_float_denorm_mode_32 3
		.amdhsa_float_denorm_mode_16_64 3
		.amdhsa_dx10_clamp 1
		.amdhsa_ieee_mode 1
		.amdhsa_fp16_overflow 0
		.amdhsa_exception_fp_ieee_invalid_op 0
		.amdhsa_exception_fp_denorm_src 0
		.amdhsa_exception_fp_ieee_div_zero 0
		.amdhsa_exception_fp_ieee_overflow 0
		.amdhsa_exception_fp_ieee_underflow 0
		.amdhsa_exception_fp_ieee_inexact 0
		.amdhsa_exception_int_div_zero 0
	.end_amdhsa_kernel
	.section	.text._ZN9rocsparseL19gebsrmvn_4xn_kernelILj128ELj6ELj32EdEEvi20rocsparse_direction_NS_24const_host_device_scalarIT2_EEPKiS6_PKS3_S8_S4_PS3_21rocsparse_index_base_b,"axG",@progbits,_ZN9rocsparseL19gebsrmvn_4xn_kernelILj128ELj6ELj32EdEEvi20rocsparse_direction_NS_24const_host_device_scalarIT2_EEPKiS6_PKS3_S8_S4_PS3_21rocsparse_index_base_b,comdat
.Lfunc_end60:
	.size	_ZN9rocsparseL19gebsrmvn_4xn_kernelILj128ELj6ELj32EdEEvi20rocsparse_direction_NS_24const_host_device_scalarIT2_EEPKiS6_PKS3_S8_S4_PS3_21rocsparse_index_base_b, .Lfunc_end60-_ZN9rocsparseL19gebsrmvn_4xn_kernelILj128ELj6ELj32EdEEvi20rocsparse_direction_NS_24const_host_device_scalarIT2_EEPKiS6_PKS3_S8_S4_PS3_21rocsparse_index_base_b
                                        ; -- End function
	.set _ZN9rocsparseL19gebsrmvn_4xn_kernelILj128ELj6ELj32EdEEvi20rocsparse_direction_NS_24const_host_device_scalarIT2_EEPKiS6_PKS3_S8_S4_PS3_21rocsparse_index_base_b.num_vgpr, 66
	.set _ZN9rocsparseL19gebsrmvn_4xn_kernelILj128ELj6ELj32EdEEvi20rocsparse_direction_NS_24const_host_device_scalarIT2_EEPKiS6_PKS3_S8_S4_PS3_21rocsparse_index_base_b.num_agpr, 0
	.set _ZN9rocsparseL19gebsrmvn_4xn_kernelILj128ELj6ELj32EdEEvi20rocsparse_direction_NS_24const_host_device_scalarIT2_EEPKiS6_PKS3_S8_S4_PS3_21rocsparse_index_base_b.numbered_sgpr, 18
	.set _ZN9rocsparseL19gebsrmvn_4xn_kernelILj128ELj6ELj32EdEEvi20rocsparse_direction_NS_24const_host_device_scalarIT2_EEPKiS6_PKS3_S8_S4_PS3_21rocsparse_index_base_b.num_named_barrier, 0
	.set _ZN9rocsparseL19gebsrmvn_4xn_kernelILj128ELj6ELj32EdEEvi20rocsparse_direction_NS_24const_host_device_scalarIT2_EEPKiS6_PKS3_S8_S4_PS3_21rocsparse_index_base_b.private_seg_size, 0
	.set _ZN9rocsparseL19gebsrmvn_4xn_kernelILj128ELj6ELj32EdEEvi20rocsparse_direction_NS_24const_host_device_scalarIT2_EEPKiS6_PKS3_S8_S4_PS3_21rocsparse_index_base_b.uses_vcc, 1
	.set _ZN9rocsparseL19gebsrmvn_4xn_kernelILj128ELj6ELj32EdEEvi20rocsparse_direction_NS_24const_host_device_scalarIT2_EEPKiS6_PKS3_S8_S4_PS3_21rocsparse_index_base_b.uses_flat_scratch, 0
	.set _ZN9rocsparseL19gebsrmvn_4xn_kernelILj128ELj6ELj32EdEEvi20rocsparse_direction_NS_24const_host_device_scalarIT2_EEPKiS6_PKS3_S8_S4_PS3_21rocsparse_index_base_b.has_dyn_sized_stack, 0
	.set _ZN9rocsparseL19gebsrmvn_4xn_kernelILj128ELj6ELj32EdEEvi20rocsparse_direction_NS_24const_host_device_scalarIT2_EEPKiS6_PKS3_S8_S4_PS3_21rocsparse_index_base_b.has_recursion, 0
	.set _ZN9rocsparseL19gebsrmvn_4xn_kernelILj128ELj6ELj32EdEEvi20rocsparse_direction_NS_24const_host_device_scalarIT2_EEPKiS6_PKS3_S8_S4_PS3_21rocsparse_index_base_b.has_indirect_call, 0
	.section	.AMDGPU.csdata,"",@progbits
; Kernel info:
; codeLenInByte = 2756
; TotalNumSgprs: 22
; NumVgprs: 66
; ScratchSize: 0
; MemoryBound: 1
; FloatMode: 240
; IeeeMode: 1
; LDSByteSize: 0 bytes/workgroup (compile time only)
; SGPRBlocks: 2
; VGPRBlocks: 16
; NumSGPRsForWavesPerEU: 22
; NumVGPRsForWavesPerEU: 66
; Occupancy: 3
; WaveLimiterHint : 1
; COMPUTE_PGM_RSRC2:SCRATCH_EN: 0
; COMPUTE_PGM_RSRC2:USER_SGPR: 6
; COMPUTE_PGM_RSRC2:TRAP_HANDLER: 0
; COMPUTE_PGM_RSRC2:TGID_X_EN: 1
; COMPUTE_PGM_RSRC2:TGID_Y_EN: 0
; COMPUTE_PGM_RSRC2:TGID_Z_EN: 0
; COMPUTE_PGM_RSRC2:TIDIG_COMP_CNT: 0
	.section	.text._ZN9rocsparseL19gebsrmvn_4xn_kernelILj128ELj6ELj64EdEEvi20rocsparse_direction_NS_24const_host_device_scalarIT2_EEPKiS6_PKS3_S8_S4_PS3_21rocsparse_index_base_b,"axG",@progbits,_ZN9rocsparseL19gebsrmvn_4xn_kernelILj128ELj6ELj64EdEEvi20rocsparse_direction_NS_24const_host_device_scalarIT2_EEPKiS6_PKS3_S8_S4_PS3_21rocsparse_index_base_b,comdat
	.globl	_ZN9rocsparseL19gebsrmvn_4xn_kernelILj128ELj6ELj64EdEEvi20rocsparse_direction_NS_24const_host_device_scalarIT2_EEPKiS6_PKS3_S8_S4_PS3_21rocsparse_index_base_b ; -- Begin function _ZN9rocsparseL19gebsrmvn_4xn_kernelILj128ELj6ELj64EdEEvi20rocsparse_direction_NS_24const_host_device_scalarIT2_EEPKiS6_PKS3_S8_S4_PS3_21rocsparse_index_base_b
	.p2align	8
	.type	_ZN9rocsparseL19gebsrmvn_4xn_kernelILj128ELj6ELj64EdEEvi20rocsparse_direction_NS_24const_host_device_scalarIT2_EEPKiS6_PKS3_S8_S4_PS3_21rocsparse_index_base_b,@function
_ZN9rocsparseL19gebsrmvn_4xn_kernelILj128ELj6ELj64EdEEvi20rocsparse_direction_NS_24const_host_device_scalarIT2_EEPKiS6_PKS3_S8_S4_PS3_21rocsparse_index_base_b: ; @_ZN9rocsparseL19gebsrmvn_4xn_kernelILj128ELj6ELj64EdEEvi20rocsparse_direction_NS_24const_host_device_scalarIT2_EEPKiS6_PKS3_S8_S4_PS3_21rocsparse_index_base_b
; %bb.0:
	s_load_dwordx2 s[16:17], s[4:5], 0x40
	s_load_dwordx2 s[8:9], s[4:5], 0x8
	;; [unrolled: 1-line block ×3, first 2 shown]
	s_waitcnt lgkmcnt(0)
	s_bitcmp1_b32 s17, 0
	s_cselect_b64 s[10:11], -1, 0
	v_mov_b32_e32 v1, s8
	s_xor_b64 s[2:3], s[10:11], -1
	s_and_b64 vcc, exec, s[10:11]
	v_mov_b32_e32 v2, s9
	s_cbranch_vccnz .LBB61_2
; %bb.1:
	v_mov_b32_e32 v1, s8
	v_mov_b32_e32 v2, s9
	flat_load_dwordx2 v[1:2], v[1:2]
.LBB61_2:
	v_mov_b32_e32 v4, s1
	s_andn2_b64 vcc, exec, s[2:3]
	v_mov_b32_e32 v3, s0
	s_cbranch_vccnz .LBB61_4
; %bb.3:
	v_mov_b32_e32 v4, s1
	v_mov_b32_e32 v3, s0
	flat_load_dwordx2 v[3:4], v[3:4]
.LBB61_4:
	s_waitcnt vmcnt(0) lgkmcnt(0)
	v_cmp_neq_f64_e32 vcc, 0, v[1:2]
	v_cmp_neq_f64_e64 s[0:1], 1.0, v[3:4]
	s_or_b64 s[0:1], vcc, s[0:1]
	s_and_saveexec_b64 s[2:3], s[0:1]
	s_cbranch_execz .LBB61_23
; %bb.5:
	s_load_dwordx2 s[0:1], s[4:5], 0x0
	v_lshrrev_b32_e32 v5, 6, v0
	v_lshl_or_b32 v5, s6, 1, v5
	s_waitcnt lgkmcnt(0)
	v_cmp_gt_i32_e32 vcc, s0, v5
	s_and_b64 exec, exec, vcc
	s_cbranch_execz .LBB61_23
; %bb.6:
	s_load_dwordx8 s[8:15], s[4:5], 0x10
	v_ashrrev_i32_e32 v6, 31, v5
	v_lshlrev_b64 v[6:7], 2, v[5:6]
	v_and_b32_e32 v0, 63, v0
	s_cmp_lg_u32 s1, 0
	s_waitcnt lgkmcnt(0)
	v_mov_b32_e32 v8, s9
	v_add_co_u32_e32 v6, vcc, s8, v6
	v_addc_co_u32_e32 v7, vcc, v8, v7, vcc
	global_load_dwordx2 v[6:7], v[6:7], off
	s_waitcnt vmcnt(0)
	v_subrev_u32_e32 v6, s16, v6
	v_subrev_u32_e32 v22, s16, v7
	v_add_u32_e32 v6, v6, v0
	v_cmp_lt_i32_e64 s[0:1], v6, v22
	s_cbranch_scc0 .LBB61_12
; %bb.7:
	v_mov_b32_e32 v12, 0
	v_mov_b32_e32 v8, 0
	;; [unrolled: 1-line block ×8, first 2 shown]
	s_and_saveexec_b64 s[6:7], s[0:1]
	s_cbranch_execz .LBB61_11
; %bb.8:
	v_mad_u64_u32 v[16:17], s[2:3], v6, 24, 20
	v_mov_b32_e32 v12, 0
	v_mov_b32_e32 v8, 0
	v_mov_b32_e32 v10, 0
	v_mov_b32_e32 v14, 0
	v_mov_b32_e32 v13, 0
	s_mov_b64 s[8:9], 0
	v_mov_b32_e32 v7, s11
	v_mov_b32_e32 v19, 0
	;; [unrolled: 1-line block ×8, first 2 shown]
.LBB61_9:                               ; =>This Inner Loop Header: Depth=1
	v_ashrrev_i32_e32 v21, 31, v20
	v_subrev_u32_e32 v18, 20, v16
	v_lshlrev_b64 v[25:26], 2, v[20:21]
	v_lshlrev_b64 v[27:28], 3, v[18:19]
	v_add_co_u32_e32 v29, vcc, s10, v25
	v_add_co_u32_e64 v37, s[2:3], s12, v27
	v_addc_co_u32_e32 v30, vcc, v7, v26, vcc
	v_addc_co_u32_e64 v38, vcc, v23, v28, s[2:3]
	global_load_dword v21, v[29:30], off
	global_load_dwordx4 v[25:28], v[37:38], off
	v_mov_b32_e32 v34, v19
	v_mov_b32_e32 v17, v19
	v_add_u32_e32 v18, -12, v16
	v_lshlrev_b64 v[35:36], 3, v[16:17]
	v_lshlrev_b64 v[17:18], 3, v[18:19]
	v_add_u32_e32 v20, 64, v20
	v_add_co_u32_e32 v17, vcc, s12, v17
	v_addc_co_u32_e32 v18, vcc, v23, v18, vcc
	s_waitcnt vmcnt(1)
	v_subrev_u32_e32 v21, s16, v21
	v_mul_lo_u32 v33, v21, 6
	v_lshlrev_b64 v[29:30], 3, v[33:34]
	v_add_co_u32_e64 v29, s[2:3], s14, v29
	v_addc_co_u32_e64 v30, s[2:3], v24, v30, s[2:3]
	global_load_dwordx4 v[29:32], v[29:30], off
	s_waitcnt vmcnt(0)
	v_fma_f64 v[25:26], v[25:26], v[29:30], v[12:13]
	v_fma_f64 v[27:28], v[27:28], v[29:30], v[14:15]
	global_load_dwordx4 v[12:15], v[37:38], off offset:16
	s_waitcnt vmcnt(0)
	v_fma_f64 v[39:40], v[12:13], v[29:30], v[10:11]
	v_fma_f64 v[29:30], v[14:15], v[29:30], v[8:9]
	global_load_dwordx4 v[8:11], v[37:38], off offset:32
	global_load_dwordx4 v[12:15], v[37:38], off offset:48
	s_waitcnt vmcnt(1)
	v_fma_f64 v[37:38], v[8:9], v[31:32], v[25:26]
	v_fma_f64 v[41:42], v[10:11], v[31:32], v[27:28]
	global_load_dwordx4 v[8:11], v[17:18], off offset:16
	s_waitcnt vmcnt(1)
	v_fma_f64 v[39:40], v[12:13], v[31:32], v[39:40]
	v_fma_f64 v[29:30], v[14:15], v[31:32], v[29:30]
	global_load_dwordx4 v[12:15], v[17:18], off
	v_add_u32_e32 v18, 2, v33
	v_lshlrev_b64 v[25:26], 3, v[18:19]
	v_add_u32_e32 v18, -8, v16
	v_add_co_u32_e32 v25, vcc, s14, v25
	v_addc_co_u32_e32 v26, vcc, v24, v26, vcc
	global_load_dwordx4 v[25:28], v[25:26], off
	v_lshlrev_b64 v[31:32], 3, v[18:19]
	v_add_u32_e32 v18, -4, v16
	v_lshlrev_b64 v[43:44], 3, v[18:19]
	v_add_u32_e32 v18, 4, v33
	v_lshlrev_b64 v[17:18], 3, v[18:19]
	v_add_u32_e32 v16, 0x600, v16
	s_waitcnt vmcnt(0)
	v_fma_f64 v[33:34], v[12:13], v[25:26], v[37:38]
	v_add_co_u32_e32 v12, vcc, s12, v31
	v_addc_co_u32_e32 v13, vcc, v23, v32, vcc
	v_fma_f64 v[37:38], v[14:15], v[25:26], v[41:42]
	v_fma_f64 v[39:40], v[8:9], v[25:26], v[39:40]
	;; [unrolled: 1-line block ×3, first 2 shown]
	global_load_dwordx4 v[8:11], v[12:13], off
	v_add_co_u32_e32 v31, vcc, s12, v43
	global_load_dwordx4 v[12:15], v[12:13], off offset:16
	v_addc_co_u32_e32 v32, vcc, v23, v44, vcc
	v_add_co_u32_e32 v17, vcc, s14, v17
	v_addc_co_u32_e32 v18, vcc, v24, v18, vcc
	s_waitcnt vmcnt(1)
	v_fma_f64 v[33:34], v[8:9], v[27:28], v[33:34]
	v_fma_f64 v[37:38], v[10:11], v[27:28], v[37:38]
	s_waitcnt vmcnt(0)
	v_fma_f64 v[39:40], v[12:13], v[27:28], v[39:40]
	v_fma_f64 v[41:42], v[14:15], v[27:28], v[25:26]
	global_load_dwordx4 v[8:11], v[31:32], off offset:16
	global_load_dwordx4 v[12:15], v[31:32], off
	global_load_dwordx4 v[25:28], v[17:18], off
	v_add_co_u32_e32 v17, vcc, s12, v35
	v_addc_co_u32_e32 v18, vcc, v23, v36, vcc
	global_load_dwordx4 v[29:32], v[17:18], off
	v_cmp_ge_i32_e32 vcc, v20, v22
	s_or_b64 s[8:9], vcc, s[8:9]
	s_waitcnt vmcnt(1)
	v_fma_f64 v[12:13], v[12:13], v[25:26], v[33:34]
	global_load_dwordx4 v[33:36], v[17:18], off offset:16
	v_fma_f64 v[14:15], v[14:15], v[25:26], v[37:38]
	v_fma_f64 v[8:9], v[8:9], v[25:26], v[39:40]
	;; [unrolled: 1-line block ×3, first 2 shown]
	s_waitcnt vmcnt(1)
	v_fma_f64 v[12:13], v[29:30], v[27:28], v[12:13]
	v_fma_f64 v[14:15], v[31:32], v[27:28], v[14:15]
	s_waitcnt vmcnt(0)
	v_fma_f64 v[10:11], v[33:34], v[27:28], v[8:9]
	v_fma_f64 v[8:9], v[35:36], v[27:28], v[17:18]
	s_andn2_b64 exec, exec, s[8:9]
	s_cbranch_execnz .LBB61_9
; %bb.10:
	s_or_b64 exec, exec, s[8:9]
.LBB61_11:
	s_or_b64 exec, exec, s[6:7]
	s_cbranch_execz .LBB61_13
	s_branch .LBB61_18
.LBB61_12:
                                        ; implicit-def: $vgpr12_vgpr13
                                        ; implicit-def: $vgpr8_vgpr9
                                        ; implicit-def: $vgpr10_vgpr11
                                        ; implicit-def: $vgpr14_vgpr15
.LBB61_13:
	v_mov_b32_e32 v12, 0
	v_mov_b32_e32 v8, 0
	;; [unrolled: 1-line block ×8, first 2 shown]
	s_and_saveexec_b64 s[2:3], s[0:1]
	s_cbranch_execz .LBB61_17
; %bb.14:
	v_mad_u64_u32 v[16:17], s[0:1], v6, 24, 23
	v_mov_b32_e32 v12, 0
	v_mov_b32_e32 v8, 0
	;; [unrolled: 1-line block ×5, first 2 shown]
	s_mov_b64 s[0:1], 0
	v_mov_b32_e32 v20, s11
	v_mov_b32_e32 v19, 0
	;; [unrolled: 1-line block ×7, first 2 shown]
.LBB61_15:                              ; =>This Inner Loop Header: Depth=1
	v_ashrrev_i32_e32 v7, 31, v6
	v_lshlrev_b64 v[28:29], 2, v[6:7]
	v_subrev_u32_e32 v18, 23, v16
	v_lshlrev_b64 v[30:31], 3, v[18:19]
	v_add_co_u32_e32 v32, vcc, s10, v28
	v_add_u32_e32 v24, -11, v16
	v_mov_b32_e32 v25, v19
	v_addc_co_u32_e32 v33, vcc, v20, v29, vcc
	v_lshlrev_b64 v[24:25], 3, v[24:25]
	v_add_co_u32_e32 v46, vcc, s12, v30
	v_add_u32_e32 v26, -5, v16
	v_mov_b32_e32 v27, v19
	v_addc_co_u32_e32 v47, vcc, v21, v31, vcc
	v_lshlrev_b64 v[26:27], 3, v[26:27]
	v_add_co_u32_e32 v48, vcc, s12, v24
	v_addc_co_u32_e32 v49, vcc, v21, v25, vcc
	v_add_co_u32_e32 v50, vcc, s12, v26
	v_addc_co_u32_e32 v51, vcc, v21, v27, vcc
	global_load_dword v7, v[32:33], off
	global_load_dwordx4 v[24:27], v[46:47], off
	global_load_dwordx4 v[28:31], v[46:47], off offset:16
	v_mov_b32_e32 v41, v19
	v_mov_b32_e32 v17, v19
	v_lshlrev_b64 v[42:43], 3, v[16:17]
	v_add_u32_e32 v18, -10, v16
	v_lshlrev_b64 v[44:45], 3, v[18:19]
	v_add_u32_e32 v18, -4, v16
	v_lshlrev_b64 v[17:18], 3, v[18:19]
	v_add_u32_e32 v6, 64, v6
	s_waitcnt vmcnt(2)
	v_subrev_u32_e32 v7, s16, v7
	v_mul_lo_u32 v40, v7, 6
	v_lshlrev_b64 v[32:33], 3, v[40:41]
	v_add_co_u32_e32 v32, vcc, s14, v32
	v_addc_co_u32_e32 v33, vcc, v23, v33, vcc
	global_load_dwordx4 v[32:35], v[32:33], off
	v_add_co_u32_e32 v41, vcc, s12, v42
	v_addc_co_u32_e32 v42, vcc, v21, v43, vcc
	s_waitcnt vmcnt(0)
	v_fma_f64 v[12:13], v[24:25], v[32:33], v[12:13]
	v_fma_f64 v[12:13], v[26:27], v[34:35], v[12:13]
	global_load_dwordx4 v[24:27], v[46:47], off offset:48
	global_load_dwordx4 v[36:39], v[46:47], off offset:32
	s_waitcnt vmcnt(1)
	v_fma_f64 v[14:15], v[24:25], v[32:33], v[14:15]
	v_add_co_u32_e32 v24, vcc, s12, v44
	v_addc_co_u32_e32 v25, vcc, v21, v45, vcc
	v_fma_f64 v[14:15], v[26:27], v[34:35], v[14:15]
	v_add_co_u32_e32 v26, vcc, s12, v17
	v_addc_co_u32_e32 v27, vcc, v21, v18, vcc
	v_add_u32_e32 v18, 2, v40
	v_lshlrev_b64 v[17:18], 3, v[18:19]
	v_add_co_u32_e32 v43, vcc, s14, v17
	v_addc_co_u32_e32 v44, vcc, v23, v18, vcc
	v_add_u32_e32 v18, -15, v16
	v_lshlrev_b64 v[17:18], 3, v[18:19]
	v_add_co_u32_e32 v45, vcc, s12, v17
	v_addc_co_u32_e32 v46, vcc, v21, v18, vcc
	v_add_u32_e32 v18, -9, v16
	v_lshlrev_b64 v[17:18], 3, v[18:19]
	v_add_co_u32_e32 v52, vcc, s12, v17
	v_addc_co_u32_e32 v53, vcc, v21, v18, vcc
	global_load_dwordx2 v[17:18], v[48:49], off
	global_load_dwordx2 v[54:55], v[50:51], off
	;; [unrolled: 1-line block ×4, first 2 shown]
	s_waitcnt vmcnt(3)
	v_fma_f64 v[10:11], v[17:18], v[32:33], v[10:11]
	s_waitcnt vmcnt(2)
	v_fma_f64 v[7:8], v[54:55], v[32:33], v[8:9]
	v_add_u32_e32 v18, -3, v16
	s_waitcnt vmcnt(1)
	v_fma_f64 v[24:25], v[56:57], v[34:35], v[10:11]
	v_lshlrev_b64 v[9:10], 3, v[18:19]
	v_add_u32_e32 v18, -14, v16
	s_waitcnt vmcnt(0)
	v_fma_f64 v[26:27], v[58:59], v[34:35], v[7:8]
	v_lshlrev_b64 v[7:8], 3, v[18:19]
	v_add_co_u32_e32 v32, vcc, s12, v9
	v_add_u32_e32 v18, -8, v16
	v_addc_co_u32_e32 v33, vcc, v21, v10, vcc
	v_lshlrev_b64 v[9:10], 3, v[18:19]
	v_add_co_u32_e32 v34, vcc, s12, v7
	v_addc_co_u32_e32 v35, vcc, v21, v8, vcc
	v_add_co_u32_e32 v49, vcc, s12, v9
	v_addc_co_u32_e32 v50, vcc, v21, v10, vcc
	global_load_dwordx4 v[7:10], v[43:44], off
	global_load_dwordx2 v[58:59], v[45:46], off
	global_load_dwordx2 v[60:61], v[52:53], off
	;; [unrolled: 1-line block ×4, first 2 shown]
	v_add_u32_e32 v18, -2, v16
	v_lshlrev_b64 v[47:48], 3, v[18:19]
	v_add_u32_e32 v18, 4, v40
	s_waitcnt vmcnt(4)
	v_fma_f64 v[11:12], v[28:29], v[7:8], v[12:13]
	s_waitcnt vmcnt(3)
	v_fma_f64 v[13:14], v[58:59], v[7:8], v[14:15]
	;; [unrolled: 2-line block ×4, first 2 shown]
	v_lshlrev_b64 v[28:29], 3, v[18:19]
	v_add_u32_e32 v18, -13, v16
	v_lshlrev_b64 v[17:18], 3, v[18:19]
	v_fma_f64 v[11:12], v[30:31], v[9:10], v[11:12]
	v_add_co_u32_e32 v30, vcc, s12, v47
	v_addc_co_u32_e32 v31, vcc, v21, v48, vcc
	global_load_dwordx2 v[26:27], v[49:50], off
	global_load_dwordx2 v[32:33], v[30:31], off
	v_add_co_u32_e32 v28, vcc, s14, v28
	v_addc_co_u32_e32 v29, vcc, v23, v29, vcc
	v_add_co_u32_e32 v43, vcc, s12, v17
	v_addc_co_u32_e32 v44, vcc, v21, v18, vcc
	v_add_u32_e32 v18, -7, v16
	v_lshlrev_b64 v[17:18], 3, v[18:19]
	s_waitcnt vmcnt(2)
	v_fma_f64 v[13:14], v[64:65], v[9:10], v[13:14]
	v_add_co_u32_e32 v47, vcc, s12, v17
	v_addc_co_u32_e32 v48, vcc, v21, v18, vcc
	v_add_u32_e32 v18, -1, v16
	v_lshlrev_b64 v[17:18], 3, v[18:19]
	v_add_co_u32_e32 v54, vcc, s12, v17
	v_addc_co_u32_e32 v55, vcc, v21, v18, vcc
	v_add_u32_e32 v18, -12, v16
	v_lshlrev_b64 v[17:18], 3, v[18:19]
	v_add_co_u32_e32 v56, vcc, s12, v17
	v_addc_co_u32_e32 v57, vcc, v21, v18, vcc
	v_add_u32_e32 v18, -6, v16
	v_lshlrev_b64 v[17:18], 3, v[18:19]
	v_add_u32_e32 v16, 0x600, v16
	v_add_co_u32_e32 v17, vcc, s12, v17
	v_addc_co_u32_e32 v18, vcc, v21, v18, vcc
	v_cmp_ge_i32_e32 vcc, v6, v22
	s_or_b64 s[0:1], vcc, s[0:1]
	s_waitcnt vmcnt(1)
	v_fma_f64 v[30:31], v[26:27], v[9:10], v[24:25]
	global_load_dwordx4 v[24:27], v[28:29], off
	global_load_dwordx2 v[34:35], v[43:44], off
	global_load_dwordx2 v[45:46], v[47:48], off
	;; [unrolled: 1-line block ×6, first 2 shown]
	s_waitcnt vmcnt(7)
	v_fma_f64 v[7:8], v[32:33], v[9:10], v[7:8]
	s_waitcnt vmcnt(6)
	v_fma_f64 v[9:10], v[36:37], v[24:25], v[11:12]
	;; [unrolled: 2-line block ×5, first 2 shown]
	v_fma_f64 v[12:13], v[38:39], v[26:27], v[9:10]
	s_waitcnt vmcnt(2)
	v_fma_f64 v[14:15], v[51:52], v[26:27], v[14:15]
	s_waitcnt vmcnt(1)
	;; [unrolled: 2-line block ×3, first 2 shown]
	v_fma_f64 v[8:9], v[60:61], v[26:27], v[7:8]
	s_andn2_b64 exec, exec, s[0:1]
	s_cbranch_execnz .LBB61_15
; %bb.16:
	s_or_b64 exec, exec, s[0:1]
.LBB61_17:
	s_or_b64 exec, exec, s[2:3]
.LBB61_18:
	v_mov_b32_dpp v6, v12 row_shr:1 row_mask:0xf bank_mask:0xf
	v_mov_b32_dpp v7, v13 row_shr:1 row_mask:0xf bank_mask:0xf
	v_add_f64 v[6:7], v[12:13], v[6:7]
	v_mov_b32_dpp v12, v14 row_shr:1 row_mask:0xf bank_mask:0xf
	v_mov_b32_dpp v13, v15 row_shr:1 row_mask:0xf bank_mask:0xf
	v_add_f64 v[12:13], v[14:15], v[12:13]
	;; [unrolled: 3-line block ×3, first 2 shown]
	v_cmp_eq_u32_e32 vcc, 63, v0
	v_mov_b32_dpp v14, v6 row_shr:2 row_mask:0xf bank_mask:0xf
	v_mov_b32_dpp v15, v7 row_shr:2 row_mask:0xf bank_mask:0xf
	v_add_f64 v[6:7], v[6:7], v[14:15]
	v_mov_b32_dpp v14, v10 row_shr:1 row_mask:0xf bank_mask:0xf
	v_mov_b32_dpp v15, v11 row_shr:1 row_mask:0xf bank_mask:0xf
	v_add_f64 v[10:11], v[10:11], v[14:15]
	v_mov_b32_dpp v14, v12 row_shr:2 row_mask:0xf bank_mask:0xf
	v_mov_b32_dpp v15, v6 row_shr:4 row_mask:0xf bank_mask:0xe
	v_mov_b32_dpp v16, v7 row_shr:4 row_mask:0xf bank_mask:0xe
	v_add_f64 v[6:7], v[6:7], v[15:16]
	v_mov_b32_dpp v15, v13 row_shr:2 row_mask:0xf bank_mask:0xf
	;; [unrolled: 4-line block ×3, first 2 shown]
	v_add_f64 v[10:11], v[10:11], v[16:17]
	v_mov_b32_dpp v15, v9 row_shr:2 row_mask:0xf bank_mask:0xf
	v_add_f64 v[8:9], v[8:9], v[14:15]
	v_mov_b32_dpp v16, v6 row_shr:8 row_mask:0xf bank_mask:0xc
	v_mov_b32_dpp v17, v7 row_shr:8 row_mask:0xf bank_mask:0xc
	v_add_f64 v[6:7], v[6:7], v[16:17]
	v_mov_b32_dpp v14, v12 row_shr:4 row_mask:0xf bank_mask:0xe
	v_mov_b32_dpp v15, v13 row_shr:4 row_mask:0xf bank_mask:0xe
	;; [unrolled: 1-line block ×3, first 2 shown]
	v_add_f64 v[12:13], v[12:13], v[14:15]
	v_mov_b32_dpp v17, v11 row_shr:4 row_mask:0xf bank_mask:0xe
	v_add_f64 v[10:11], v[10:11], v[16:17]
	v_mov_b32_dpp v15, v8 row_shr:4 row_mask:0xf bank_mask:0xe
	v_mov_b32_dpp v16, v9 row_shr:4 row_mask:0xf bank_mask:0xe
	v_add_f64 v[8:9], v[8:9], v[15:16]
	v_mov_b32_dpp v14, v6 row_bcast:15 row_mask:0xa bank_mask:0xf
	v_mov_b32_dpp v15, v7 row_bcast:15 row_mask:0xa bank_mask:0xf
	v_mov_b32_dpp v16, v12 row_shr:8 row_mask:0xf bank_mask:0xc
	v_mov_b32_dpp v17, v13 row_shr:8 row_mask:0xf bank_mask:0xc
	v_add_f64 v[12:13], v[12:13], v[16:17]
	v_mov_b32_dpp v16, v10 row_shr:8 row_mask:0xf bank_mask:0xc
	v_mov_b32_dpp v17, v11 row_shr:8 row_mask:0xf bank_mask:0xc
	v_add_f64 v[10:11], v[10:11], v[16:17]
	;; [unrolled: 3-line block ×3, first 2 shown]
	v_add_f64 v[6:7], v[6:7], v[14:15]
	v_mov_b32_dpp v8, v12 row_bcast:15 row_mask:0xa bank_mask:0xf
	v_mov_b32_dpp v9, v13 row_bcast:15 row_mask:0xa bank_mask:0xf
	v_add_f64 v[8:9], v[12:13], v[8:9]
	v_mov_b32_dpp v12, v10 row_bcast:15 row_mask:0xa bank_mask:0xf
	v_mov_b32_dpp v13, v11 row_bcast:15 row_mask:0xa bank_mask:0xf
	;; [unrolled: 3-line block ×4, first 2 shown]
	v_mov_b32_dpp v10, v8 row_bcast:31 row_mask:0xc bank_mask:0xf
	v_mov_b32_dpp v11, v9 row_bcast:31 row_mask:0xc bank_mask:0xf
	;; [unrolled: 1-line block ×6, first 2 shown]
	s_and_b64 exec, exec, vcc
	s_cbranch_execz .LBB61_23
; %bb.19:
	v_add_f64 v[12:13], v[6:7], v[12:13]
	v_add_f64 v[10:11], v[8:9], v[10:11]
	;; [unrolled: 1-line block ×4, first 2 shown]
	v_cmp_eq_f64_e32 vcc, 0, v[3:4]
	s_load_dwordx2 s[0:1], s[4:5], 0x38
	s_and_saveexec_b64 s[2:3], vcc
	s_xor_b64 s[2:3], exec, s[2:3]
	s_cbranch_execz .LBB61_21
; %bb.20:
	v_mul_f64 v[12:13], v[1:2], v[12:13]
	v_mul_f64 v[14:15], v[1:2], v[10:11]
	v_lshlrev_b32_e32 v16, 2, v5
	v_mul_f64 v[3:4], v[1:2], v[6:7]
	v_mul_f64 v[5:6], v[1:2], v[8:9]
	v_ashrrev_i32_e32 v17, 31, v16
	v_lshlrev_b64 v[0:1], 3, v[16:17]
	s_waitcnt lgkmcnt(0)
	v_mov_b32_e32 v2, s1
	v_add_co_u32_e32 v0, vcc, s0, v0
	v_addc_co_u32_e32 v1, vcc, v2, v1, vcc
	global_store_dwordx4 v[0:1], v[12:15], off
	global_store_dwordx4 v[0:1], v[3:6], off offset:16
                                        ; implicit-def: $vgpr5
                                        ; implicit-def: $vgpr1_vgpr2
                                        ; implicit-def: $vgpr12_vgpr13
                                        ; implicit-def: $vgpr3_vgpr4
                                        ; implicit-def: $vgpr10_vgpr11
                                        ; implicit-def: $vgpr6_vgpr7
                                        ; implicit-def: $vgpr8_vgpr9
.LBB61_21:
	s_andn2_saveexec_b64 s[2:3], s[2:3]
	s_cbranch_execz .LBB61_23
; %bb.22:
	v_lshlrev_b32_e32 v14, 2, v5
	v_ashrrev_i32_e32 v15, 31, v14
	v_lshlrev_b64 v[14:15], 3, v[14:15]
	s_waitcnt lgkmcnt(0)
	v_mov_b32_e32 v0, s1
	v_add_co_u32_e32 v22, vcc, s0, v14
	v_addc_co_u32_e32 v23, vcc, v0, v15, vcc
	global_load_dwordx4 v[14:17], v[22:23], off
	global_load_dwordx4 v[18:21], v[22:23], off offset:16
	v_mul_f64 v[12:13], v[1:2], v[12:13]
	v_mul_f64 v[10:11], v[1:2], v[10:11]
	;; [unrolled: 1-line block ×4, first 2 shown]
	s_waitcnt vmcnt(1)
	v_fma_f64 v[5:6], v[3:4], v[14:15], v[12:13]
	v_fma_f64 v[7:8], v[3:4], v[16:17], v[10:11]
	s_waitcnt vmcnt(0)
	v_fma_f64 v[0:1], v[3:4], v[18:19], v[24:25]
	v_fma_f64 v[2:3], v[3:4], v[20:21], v[26:27]
	global_store_dwordx4 v[22:23], v[5:8], off
	global_store_dwordx4 v[22:23], v[0:3], off offset:16
.LBB61_23:
	s_endpgm
	.section	.rodata,"a",@progbits
	.p2align	6, 0x0
	.amdhsa_kernel _ZN9rocsparseL19gebsrmvn_4xn_kernelILj128ELj6ELj64EdEEvi20rocsparse_direction_NS_24const_host_device_scalarIT2_EEPKiS6_PKS3_S8_S4_PS3_21rocsparse_index_base_b
		.amdhsa_group_segment_fixed_size 0
		.amdhsa_private_segment_fixed_size 0
		.amdhsa_kernarg_size 72
		.amdhsa_user_sgpr_count 6
		.amdhsa_user_sgpr_private_segment_buffer 1
		.amdhsa_user_sgpr_dispatch_ptr 0
		.amdhsa_user_sgpr_queue_ptr 0
		.amdhsa_user_sgpr_kernarg_segment_ptr 1
		.amdhsa_user_sgpr_dispatch_id 0
		.amdhsa_user_sgpr_flat_scratch_init 0
		.amdhsa_user_sgpr_private_segment_size 0
		.amdhsa_uses_dynamic_stack 0
		.amdhsa_system_sgpr_private_segment_wavefront_offset 0
		.amdhsa_system_sgpr_workgroup_id_x 1
		.amdhsa_system_sgpr_workgroup_id_y 0
		.amdhsa_system_sgpr_workgroup_id_z 0
		.amdhsa_system_sgpr_workgroup_info 0
		.amdhsa_system_vgpr_workitem_id 0
		.amdhsa_next_free_vgpr 66
		.amdhsa_next_free_sgpr 18
		.amdhsa_reserve_vcc 1
		.amdhsa_reserve_flat_scratch 0
		.amdhsa_float_round_mode_32 0
		.amdhsa_float_round_mode_16_64 0
		.amdhsa_float_denorm_mode_32 3
		.amdhsa_float_denorm_mode_16_64 3
		.amdhsa_dx10_clamp 1
		.amdhsa_ieee_mode 1
		.amdhsa_fp16_overflow 0
		.amdhsa_exception_fp_ieee_invalid_op 0
		.amdhsa_exception_fp_denorm_src 0
		.amdhsa_exception_fp_ieee_div_zero 0
		.amdhsa_exception_fp_ieee_overflow 0
		.amdhsa_exception_fp_ieee_underflow 0
		.amdhsa_exception_fp_ieee_inexact 0
		.amdhsa_exception_int_div_zero 0
	.end_amdhsa_kernel
	.section	.text._ZN9rocsparseL19gebsrmvn_4xn_kernelILj128ELj6ELj64EdEEvi20rocsparse_direction_NS_24const_host_device_scalarIT2_EEPKiS6_PKS3_S8_S4_PS3_21rocsparse_index_base_b,"axG",@progbits,_ZN9rocsparseL19gebsrmvn_4xn_kernelILj128ELj6ELj64EdEEvi20rocsparse_direction_NS_24const_host_device_scalarIT2_EEPKiS6_PKS3_S8_S4_PS3_21rocsparse_index_base_b,comdat
.Lfunc_end61:
	.size	_ZN9rocsparseL19gebsrmvn_4xn_kernelILj128ELj6ELj64EdEEvi20rocsparse_direction_NS_24const_host_device_scalarIT2_EEPKiS6_PKS3_S8_S4_PS3_21rocsparse_index_base_b, .Lfunc_end61-_ZN9rocsparseL19gebsrmvn_4xn_kernelILj128ELj6ELj64EdEEvi20rocsparse_direction_NS_24const_host_device_scalarIT2_EEPKiS6_PKS3_S8_S4_PS3_21rocsparse_index_base_b
                                        ; -- End function
	.set _ZN9rocsparseL19gebsrmvn_4xn_kernelILj128ELj6ELj64EdEEvi20rocsparse_direction_NS_24const_host_device_scalarIT2_EEPKiS6_PKS3_S8_S4_PS3_21rocsparse_index_base_b.num_vgpr, 66
	.set _ZN9rocsparseL19gebsrmvn_4xn_kernelILj128ELj6ELj64EdEEvi20rocsparse_direction_NS_24const_host_device_scalarIT2_EEPKiS6_PKS3_S8_S4_PS3_21rocsparse_index_base_b.num_agpr, 0
	.set _ZN9rocsparseL19gebsrmvn_4xn_kernelILj128ELj6ELj64EdEEvi20rocsparse_direction_NS_24const_host_device_scalarIT2_EEPKiS6_PKS3_S8_S4_PS3_21rocsparse_index_base_b.numbered_sgpr, 18
	.set _ZN9rocsparseL19gebsrmvn_4xn_kernelILj128ELj6ELj64EdEEvi20rocsparse_direction_NS_24const_host_device_scalarIT2_EEPKiS6_PKS3_S8_S4_PS3_21rocsparse_index_base_b.num_named_barrier, 0
	.set _ZN9rocsparseL19gebsrmvn_4xn_kernelILj128ELj6ELj64EdEEvi20rocsparse_direction_NS_24const_host_device_scalarIT2_EEPKiS6_PKS3_S8_S4_PS3_21rocsparse_index_base_b.private_seg_size, 0
	.set _ZN9rocsparseL19gebsrmvn_4xn_kernelILj128ELj6ELj64EdEEvi20rocsparse_direction_NS_24const_host_device_scalarIT2_EEPKiS6_PKS3_S8_S4_PS3_21rocsparse_index_base_b.uses_vcc, 1
	.set _ZN9rocsparseL19gebsrmvn_4xn_kernelILj128ELj6ELj64EdEEvi20rocsparse_direction_NS_24const_host_device_scalarIT2_EEPKiS6_PKS3_S8_S4_PS3_21rocsparse_index_base_b.uses_flat_scratch, 0
	.set _ZN9rocsparseL19gebsrmvn_4xn_kernelILj128ELj6ELj64EdEEvi20rocsparse_direction_NS_24const_host_device_scalarIT2_EEPKiS6_PKS3_S8_S4_PS3_21rocsparse_index_base_b.has_dyn_sized_stack, 0
	.set _ZN9rocsparseL19gebsrmvn_4xn_kernelILj128ELj6ELj64EdEEvi20rocsparse_direction_NS_24const_host_device_scalarIT2_EEPKiS6_PKS3_S8_S4_PS3_21rocsparse_index_base_b.has_recursion, 0
	.set _ZN9rocsparseL19gebsrmvn_4xn_kernelILj128ELj6ELj64EdEEvi20rocsparse_direction_NS_24const_host_device_scalarIT2_EEPKiS6_PKS3_S8_S4_PS3_21rocsparse_index_base_b.has_indirect_call, 0
	.section	.AMDGPU.csdata,"",@progbits
; Kernel info:
; codeLenInByte = 2852
; TotalNumSgprs: 22
; NumVgprs: 66
; ScratchSize: 0
; MemoryBound: 1
; FloatMode: 240
; IeeeMode: 1
; LDSByteSize: 0 bytes/workgroup (compile time only)
; SGPRBlocks: 2
; VGPRBlocks: 16
; NumSGPRsForWavesPerEU: 22
; NumVGPRsForWavesPerEU: 66
; Occupancy: 3
; WaveLimiterHint : 1
; COMPUTE_PGM_RSRC2:SCRATCH_EN: 0
; COMPUTE_PGM_RSRC2:USER_SGPR: 6
; COMPUTE_PGM_RSRC2:TRAP_HANDLER: 0
; COMPUTE_PGM_RSRC2:TGID_X_EN: 1
; COMPUTE_PGM_RSRC2:TGID_Y_EN: 0
; COMPUTE_PGM_RSRC2:TGID_Z_EN: 0
; COMPUTE_PGM_RSRC2:TIDIG_COMP_CNT: 0
	.section	.text._ZN9rocsparseL19gebsrmvn_4xn_kernelILj128ELj7ELj4EdEEvi20rocsparse_direction_NS_24const_host_device_scalarIT2_EEPKiS6_PKS3_S8_S4_PS3_21rocsparse_index_base_b,"axG",@progbits,_ZN9rocsparseL19gebsrmvn_4xn_kernelILj128ELj7ELj4EdEEvi20rocsparse_direction_NS_24const_host_device_scalarIT2_EEPKiS6_PKS3_S8_S4_PS3_21rocsparse_index_base_b,comdat
	.globl	_ZN9rocsparseL19gebsrmvn_4xn_kernelILj128ELj7ELj4EdEEvi20rocsparse_direction_NS_24const_host_device_scalarIT2_EEPKiS6_PKS3_S8_S4_PS3_21rocsparse_index_base_b ; -- Begin function _ZN9rocsparseL19gebsrmvn_4xn_kernelILj128ELj7ELj4EdEEvi20rocsparse_direction_NS_24const_host_device_scalarIT2_EEPKiS6_PKS3_S8_S4_PS3_21rocsparse_index_base_b
	.p2align	8
	.type	_ZN9rocsparseL19gebsrmvn_4xn_kernelILj128ELj7ELj4EdEEvi20rocsparse_direction_NS_24const_host_device_scalarIT2_EEPKiS6_PKS3_S8_S4_PS3_21rocsparse_index_base_b,@function
_ZN9rocsparseL19gebsrmvn_4xn_kernelILj128ELj7ELj4EdEEvi20rocsparse_direction_NS_24const_host_device_scalarIT2_EEPKiS6_PKS3_S8_S4_PS3_21rocsparse_index_base_b: ; @_ZN9rocsparseL19gebsrmvn_4xn_kernelILj128ELj7ELj4EdEEvi20rocsparse_direction_NS_24const_host_device_scalarIT2_EEPKiS6_PKS3_S8_S4_PS3_21rocsparse_index_base_b
; %bb.0:
	s_load_dwordx2 s[2:3], s[4:5], 0x40
	s_load_dwordx2 s[10:11], s[4:5], 0x8
	;; [unrolled: 1-line block ×3, first 2 shown]
	s_waitcnt lgkmcnt(0)
	s_bitcmp1_b32 s3, 0
	s_cselect_b64 s[12:13], -1, 0
	v_mov_b32_e32 v1, s10
	s_xor_b64 s[8:9], s[12:13], -1
	s_and_b64 vcc, exec, s[12:13]
	v_mov_b32_e32 v2, s11
	s_cbranch_vccnz .LBB62_2
; %bb.1:
	v_mov_b32_e32 v1, s10
	v_mov_b32_e32 v2, s11
	flat_load_dwordx2 v[1:2], v[1:2]
.LBB62_2:
	v_mov_b32_e32 v4, s1
	s_andn2_b64 vcc, exec, s[8:9]
	v_mov_b32_e32 v3, s0
	s_cbranch_vccnz .LBB62_4
; %bb.3:
	v_mov_b32_e32 v4, s1
	v_mov_b32_e32 v3, s0
	flat_load_dwordx2 v[3:4], v[3:4]
.LBB62_4:
	s_waitcnt vmcnt(0) lgkmcnt(0)
	v_cmp_neq_f64_e32 vcc, 0, v[1:2]
	v_cmp_neq_f64_e64 s[0:1], 1.0, v[3:4]
	s_or_b64 s[0:1], vcc, s[0:1]
	s_and_saveexec_b64 s[8:9], s[0:1]
	s_cbranch_execz .LBB62_23
; %bb.5:
	s_load_dwordx2 s[0:1], s[4:5], 0x0
	v_lshrrev_b32_e32 v5, 2, v0
	v_lshl_or_b32 v5, s6, 5, v5
	s_waitcnt lgkmcnt(0)
	v_cmp_gt_i32_e32 vcc, s0, v5
	s_and_b64 exec, exec, vcc
	s_cbranch_execz .LBB62_23
; %bb.6:
	s_load_dwordx8 s[8:15], s[4:5], 0x10
	v_ashrrev_i32_e32 v6, 31, v5
	v_lshlrev_b64 v[6:7], 2, v[5:6]
	v_and_b32_e32 v0, 3, v0
	s_cmp_lg_u32 s1, 0
	s_waitcnt lgkmcnt(0)
	v_mov_b32_e32 v8, s9
	v_add_co_u32_e32 v6, vcc, s8, v6
	v_addc_co_u32_e32 v7, vcc, v8, v7, vcc
	global_load_dwordx2 v[6:7], v[6:7], off
	s_waitcnt vmcnt(0)
	v_subrev_u32_e32 v6, s2, v6
	v_subrev_u32_e32 v22, s2, v7
	v_add_u32_e32 v6, v6, v0
	v_cmp_lt_i32_e64 s[0:1], v6, v22
	s_cbranch_scc0 .LBB62_12
; %bb.7:
	v_mov_b32_e32 v8, 0
	v_mov_b32_e32 v10, 0
	;; [unrolled: 1-line block ×8, first 2 shown]
	s_and_saveexec_b64 s[6:7], s[0:1]
	s_cbranch_execz .LBB62_11
; %bb.8:
	v_mad_u64_u32 v[16:17], s[8:9], v6, 28, 24
	v_mov_b32_e32 v8, 0
	v_mov_b32_e32 v10, 0
	;; [unrolled: 1-line block ×5, first 2 shown]
	s_mov_b64 s[8:9], 0
	v_mov_b32_e32 v7, s11
	v_mov_b32_e32 v19, 0
	;; [unrolled: 1-line block ×8, first 2 shown]
.LBB62_9:                               ; =>This Inner Loop Header: Depth=1
	v_ashrrev_i32_e32 v21, 31, v20
	v_lshlrev_b64 v[25:26], 2, v[20:21]
	v_subrev_u32_e32 v18, 24, v16
	v_lshlrev_b64 v[27:28], 3, v[18:19]
	v_add_co_u32_e32 v33, vcc, s10, v25
	v_mov_b32_e32 v17, v19
	v_addc_co_u32_e32 v34, vcc, v7, v26, vcc
	v_lshlrev_b64 v[29:30], 3, v[16:17]
	v_add_co_u32_e32 v35, vcc, s12, v27
	v_addc_co_u32_e32 v36, vcc, v23, v28, vcc
	v_add_co_u32_e32 v47, vcc, s12, v29
	v_addc_co_u32_e32 v48, vcc, v23, v30, vcc
	global_load_dword v21, v[33:34], off
	global_load_dwordx4 v[25:28], v[35:36], off
	global_load_dwordx4 v[29:32], v[35:36], off offset:16
	v_subrev_u32_e32 v18, 20, v16
	v_lshlrev_b64 v[17:18], 3, v[18:19]
	v_mov_b32_e32 v46, v19
	v_add_co_u32_e32 v17, vcc, s12, v17
	v_addc_co_u32_e32 v18, vcc, v23, v18, vcc
	global_load_dwordx4 v[33:36], v[47:48], off
	global_load_dwordx4 v[37:40], v[17:18], off
	v_add_u32_e32 v20, 4, v20
	s_waitcnt vmcnt(4)
	v_subrev_u32_e32 v21, s2, v21
	v_mul_lo_u32 v45, v21, 7
	v_lshlrev_b64 v[41:42], 3, v[45:46]
	v_add_co_u32_e32 v49, vcc, s14, v41
	v_addc_co_u32_e32 v50, vcc, v24, v42, vcc
	global_load_dwordx2 v[49:50], v[49:50], off
	s_waitcnt vmcnt(0)
	v_fma_f64 v[8:9], v[25:26], v[49:50], v[8:9]
	global_load_dwordx4 v[41:44], v[17:18], off offset:16
	v_add_u32_e32 v18, 1, v45
	v_lshlrev_b64 v[25:26], 3, v[18:19]
	v_fma_f64 v[14:15], v[27:28], v[49:50], v[14:15]
	v_add_co_u32_e32 v25, vcc, s14, v25
	v_addc_co_u32_e32 v26, vcc, v24, v26, vcc
	global_load_dwordx2 v[25:26], v[25:26], off
	v_fma_f64 v[29:30], v[29:30], v[49:50], v[12:13]
	v_add_u32_e32 v18, -16, v16
	v_lshlrev_b64 v[27:28], 3, v[18:19]
	v_add_u32_e32 v18, 2, v45
	v_fma_f64 v[31:32], v[31:32], v[49:50], v[10:11]
	v_lshlrev_b64 v[10:11], 3, v[18:19]
	v_add_co_u32_e32 v27, vcc, s12, v27
	v_addc_co_u32_e32 v28, vcc, v23, v28, vcc
	v_add_co_u32_e32 v51, vcc, s14, v10
	v_addc_co_u32_e32 v52, vcc, v24, v11, vcc
	v_add_u32_e32 v18, -12, v16
	v_lshlrev_b64 v[49:50], 3, v[18:19]
	v_add_u32_e32 v18, 3, v45
	s_waitcnt vmcnt(0)
	v_fma_f64 v[37:38], v[37:38], v[25:26], v[8:9]
	v_fma_f64 v[39:40], v[39:40], v[25:26], v[14:15]
	global_load_dwordx4 v[8:11], v[27:28], off
	global_load_dwordx4 v[12:15], v[27:28], off offset:16
	v_fma_f64 v[29:30], v[41:42], v[25:26], v[29:30]
	global_load_dwordx2 v[41:42], v[51:52], off
	v_fma_f64 v[31:32], v[43:44], v[25:26], v[31:32]
	v_lshlrev_b64 v[25:26], 3, v[18:19]
	v_add_co_u32_e32 v43, vcc, s12, v49
	v_addc_co_u32_e32 v44, vcc, v23, v50, vcc
	v_add_co_u32_e32 v51, vcc, s14, v25
	v_addc_co_u32_e32 v52, vcc, v24, v26, vcc
	v_add_u32_e32 v18, -8, v16
	v_lshlrev_b64 v[49:50], 3, v[18:19]
	v_add_u32_e32 v18, 4, v45
	s_waitcnt vmcnt(0)
	v_fma_f64 v[37:38], v[8:9], v[41:42], v[37:38]
	v_fma_f64 v[39:40], v[10:11], v[41:42], v[39:40]
	global_load_dwordx4 v[8:11], v[43:44], off
	global_load_dwordx4 v[25:28], v[43:44], off offset:16
	v_fma_f64 v[29:30], v[12:13], v[41:42], v[29:30]
	v_fma_f64 v[31:32], v[14:15], v[41:42], v[31:32]
	global_load_dwordx2 v[41:42], v[51:52], off
	v_lshlrev_b64 v[12:13], 3, v[18:19]
	v_add_co_u32_e32 v43, vcc, s12, v49
	v_add_u32_e32 v18, -4, v16
	v_addc_co_u32_e32 v44, vcc, v23, v50, vcc
	v_lshlrev_b64 v[14:15], 3, v[18:19]
	v_add_co_u32_e32 v49, vcc, s14, v12
	v_add_u32_e32 v18, 5, v45
	v_addc_co_u32_e32 v50, vcc, v24, v13, vcc
	v_lshlrev_b64 v[51:52], 3, v[18:19]
	v_add_u32_e32 v18, 6, v45
	v_add_co_u32_e32 v45, vcc, s12, v14
	v_addc_co_u32_e32 v46, vcc, v23, v15, vcc
	v_lshlrev_b64 v[17:18], 3, v[18:19]
	v_add_u32_e32 v16, 0x70, v16
	s_waitcnt vmcnt(0)
	v_fma_f64 v[37:38], v[8:9], v[41:42], v[37:38]
	v_fma_f64 v[39:40], v[10:11], v[41:42], v[39:40]
	global_load_dwordx4 v[8:11], v[43:44], off
	global_load_dwordx4 v[12:15], v[43:44], off offset:16
	global_load_dwordx2 v[53:54], v[49:50], off
	v_fma_f64 v[43:44], v[25:26], v[41:42], v[29:30]
	v_add_co_u32_e32 v29, vcc, s14, v51
	v_fma_f64 v[41:42], v[27:28], v[41:42], v[31:32]
	v_addc_co_u32_e32 v30, vcc, v24, v52, vcc
	global_load_dwordx4 v[25:28], v[45:46], off
	v_add_co_u32_e32 v17, vcc, s14, v17
	v_addc_co_u32_e32 v18, vcc, v24, v18, vcc
	v_cmp_ge_i32_e32 vcc, v20, v22
	s_or_b64 s[8:9], vcc, s[8:9]
	s_waitcnt vmcnt(1)
	v_fma_f64 v[37:38], v[8:9], v[53:54], v[37:38]
	v_fma_f64 v[39:40], v[10:11], v[53:54], v[39:40]
	global_load_dwordx4 v[8:11], v[45:46], off offset:16
	global_load_dwordx2 v[49:50], v[29:30], off
	s_nop 0
	global_load_dwordx4 v[29:32], v[47:48], off offset:16
	global_load_dwordx2 v[45:46], v[17:18], off
	v_fma_f64 v[12:13], v[12:13], v[53:54], v[43:44]
	v_fma_f64 v[14:15], v[14:15], v[53:54], v[41:42]
	s_waitcnt vmcnt(2)
	v_fma_f64 v[17:18], v[25:26], v[49:50], v[37:38]
	v_fma_f64 v[25:26], v[27:28], v[49:50], v[39:40]
	;; [unrolled: 1-line block ×4, first 2 shown]
	s_waitcnt vmcnt(0)
	v_fma_f64 v[8:9], v[33:34], v[45:46], v[17:18]
	v_fma_f64 v[14:15], v[35:36], v[45:46], v[25:26]
	v_fma_f64 v[12:13], v[29:30], v[45:46], v[12:13]
	v_fma_f64 v[10:11], v[31:32], v[45:46], v[10:11]
	s_andn2_b64 exec, exec, s[8:9]
	s_cbranch_execnz .LBB62_9
; %bb.10:
	s_or_b64 exec, exec, s[8:9]
.LBB62_11:
	s_or_b64 exec, exec, s[6:7]
	s_cbranch_execz .LBB62_13
	s_branch .LBB62_18
.LBB62_12:
                                        ; implicit-def: $vgpr8_vgpr9
                                        ; implicit-def: $vgpr10_vgpr11
                                        ; implicit-def: $vgpr12_vgpr13
                                        ; implicit-def: $vgpr14_vgpr15
.LBB62_13:
	v_mov_b32_e32 v8, 0
	v_mov_b32_e32 v10, 0
	;; [unrolled: 1-line block ×8, first 2 shown]
	s_and_saveexec_b64 s[6:7], s[0:1]
	s_cbranch_execz .LBB62_17
; %bb.14:
	v_mad_u64_u32 v[16:17], s[0:1], v6, 28, 27
	v_mov_b32_e32 v8, 0
	v_mov_b32_e32 v10, 0
	v_mov_b32_e32 v12, 0
	v_mov_b32_e32 v14, 0
	v_mov_b32_e32 v9, 0
	s_mov_b64 s[0:1], 0
	v_mov_b32_e32 v20, s11
	v_mov_b32_e32 v19, 0
	;; [unrolled: 1-line block ×7, first 2 shown]
.LBB62_15:                              ; =>This Inner Loop Header: Depth=1
	v_ashrrev_i32_e32 v7, 31, v6
	v_lshlrev_b64 v[30:31], 2, v[6:7]
	v_subrev_u32_e32 v18, 27, v16
	v_add_co_u32_e32 v30, vcc, s10, v30
	v_addc_co_u32_e32 v31, vcc, v20, v31, vcc
	global_load_dword v7, v[30:31], off
	v_lshlrev_b64 v[32:33], 3, v[18:19]
	v_subrev_u32_e32 v24, 20, v16
	v_mov_b32_e32 v25, v19
	v_lshlrev_b64 v[24:25], 3, v[24:25]
	v_add_co_u32_e32 v32, vcc, s12, v32
	v_add_u32_e32 v26, -13, v16
	v_mov_b32_e32 v27, v19
	v_addc_co_u32_e32 v33, vcc, v21, v33, vcc
	v_lshlrev_b64 v[26:27], 3, v[26:27]
	v_add_co_u32_e32 v24, vcc, s12, v24
	v_add_u32_e32 v28, -6, v16
	v_mov_b32_e32 v29, v19
	v_addc_co_u32_e32 v25, vcc, v21, v25, vcc
	v_lshlrev_b64 v[28:29], 3, v[28:29]
	v_add_co_u32_e32 v26, vcc, s12, v26
	v_mov_b32_e32 v17, v19
	v_addc_co_u32_e32 v27, vcc, v21, v27, vcc
	v_lshlrev_b64 v[17:18], 3, v[16:17]
	v_add_co_u32_e32 v28, vcc, s12, v28
	v_addc_co_u32_e32 v29, vcc, v21, v29, vcc
	v_add_co_u32_e32 v34, vcc, s12, v17
	v_addc_co_u32_e32 v35, vcc, v21, v18, vcc
	v_mov_b32_e32 v18, v19
	v_add_u32_e32 v6, 4, v6
	s_waitcnt vmcnt(0)
	v_subrev_u32_e32 v7, s2, v7
	v_mul_lo_u32 v17, v7, 7
	v_lshlrev_b64 v[30:31], 3, v[17:18]
	v_add_u32_e32 v18, 1, v17
	v_add_co_u32_e32 v30, vcc, s14, v30
	v_addc_co_u32_e32 v31, vcc, v23, v31, vcc
	global_load_dwordx2 v[38:39], v[24:25], off
	global_load_dwordx2 v[40:41], v[26:27], off
	;; [unrolled: 1-line block ×4, first 2 shown]
	v_lshlrev_b64 v[36:37], 3, v[18:19]
	v_subrev_u32_e32 v18, 19, v16
	v_add_co_u32_e32 v36, vcc, s14, v36
	v_addc_co_u32_e32 v37, vcc, v23, v37, vcc
	s_waitcnt vmcnt(0)
	v_fma_f64 v[28:29], v[40:41], v[44:45], v[12:13]
	v_fma_f64 v[30:31], v[42:43], v[44:45], v[10:11]
	global_load_dwordx4 v[10:13], v[32:33], off
	global_load_dwordx4 v[24:27], v[32:33], off offset:16
	v_fma_f64 v[14:15], v[38:39], v[44:45], v[14:15]
	s_waitcnt vmcnt(1)
	v_fma_f64 v[7:8], v[10:11], v[44:45], v[8:9]
	global_load_dwordx2 v[9:10], v[36:37], off
	s_waitcnt vmcnt(0)
	v_fma_f64 v[7:8], v[12:13], v[9:10], v[7:8]
	v_lshlrev_b64 v[11:12], 3, v[18:19]
	v_add_u32_e32 v18, -12, v16
	v_add_co_u32_e32 v11, vcc, s12, v11
	v_lshlrev_b64 v[32:33], 3, v[18:19]
	v_addc_co_u32_e32 v12, vcc, v21, v12, vcc
	v_add_u32_e32 v18, -5, v16
	v_add_co_u32_e32 v32, vcc, s12, v32
	v_lshlrev_b64 v[36:37], 3, v[18:19]
	v_addc_co_u32_e32 v33, vcc, v21, v33, vcc
	v_add_co_u32_e32 v36, vcc, s12, v36
	v_addc_co_u32_e32 v37, vcc, v21, v37, vcc
	global_load_dwordx2 v[38:39], v[11:12], off
	global_load_dwordx2 v[40:41], v[32:33], off
	;; [unrolled: 1-line block ×3, first 2 shown]
	v_add_u32_e32 v18, 2, v17
	s_waitcnt vmcnt(2)
	v_fma_f64 v[11:12], v[38:39], v[9:10], v[14:15]
	s_waitcnt vmcnt(1)
	v_fma_f64 v[13:14], v[40:41], v[9:10], v[28:29]
	v_lshlrev_b64 v[28:29], 3, v[18:19]
	v_subrev_u32_e32 v18, 18, v16
	s_waitcnt vmcnt(0)
	v_fma_f64 v[9:10], v[42:43], v[9:10], v[30:31]
	v_lshlrev_b64 v[30:31], 3, v[18:19]
	v_add_co_u32_e32 v28, vcc, s14, v28
	v_add_u32_e32 v18, -11, v16
	v_addc_co_u32_e32 v29, vcc, v23, v29, vcc
	v_add_co_u32_e32 v30, vcc, s12, v30
	v_lshlrev_b64 v[32:33], 3, v[18:19]
	v_addc_co_u32_e32 v31, vcc, v21, v31, vcc
	v_add_u32_e32 v18, -4, v16
	v_add_co_u32_e32 v32, vcc, s12, v32
	v_lshlrev_b64 v[36:37], 3, v[18:19]
	v_addc_co_u32_e32 v33, vcc, v21, v33, vcc
	v_add_co_u32_e32 v36, vcc, s12, v36
	v_addc_co_u32_e32 v37, vcc, v21, v37, vcc
	v_add_u32_e32 v18, 3, v17
	global_load_dwordx2 v[42:43], v[28:29], off
	global_load_dwordx2 v[44:45], v[30:31], off
	;; [unrolled: 1-line block ×4, first 2 shown]
	v_lshlrev_b64 v[38:39], 3, v[18:19]
	v_subrev_u32_e32 v18, 17, v16
	v_add_co_u32_e32 v38, vcc, s14, v38
	v_addc_co_u32_e32 v39, vcc, v23, v39, vcc
	global_load_dwordx2 v[28:29], v[38:39], off
	v_lshlrev_b64 v[40:41], 3, v[18:19]
	v_add_u32_e32 v18, -10, v16
	v_add_co_u32_e32 v40, vcc, s12, v40
	v_addc_co_u32_e32 v41, vcc, v21, v41, vcc
	s_waitcnt vmcnt(4)
	v_fma_f64 v[7:8], v[24:25], v[42:43], v[7:8]
	v_lshlrev_b64 v[24:25], 3, v[18:19]
	v_add_u32_e32 v18, -3, v16
	v_add_co_u32_e32 v24, vcc, s12, v24
	v_addc_co_u32_e32 v25, vcc, v21, v25, vcc
	s_waitcnt vmcnt(3)
	v_fma_f64 v[11:12], v[44:45], v[42:43], v[11:12]
	s_waitcnt vmcnt(2)
	v_fma_f64 v[13:14], v[46:47], v[42:43], v[13:14]
	;; [unrolled: 2-line block ×4, first 2 shown]
	v_lshlrev_b64 v[26:27], 3, v[18:19]
	v_subrev_u32_e32 v18, 23, v16
	v_add_co_u32_e32 v26, vcc, s12, v26
	v_lshlrev_b64 v[30:31], 3, v[18:19]
	v_addc_co_u32_e32 v27, vcc, v21, v27, vcc
	v_add_co_u32_e32 v30, vcc, s12, v30
	v_addc_co_u32_e32 v31, vcc, v21, v31, vcc
	global_load_dwordx2 v[36:37], v[40:41], off
	global_load_dwordx2 v[38:39], v[24:25], off
	;; [unrolled: 1-line block ×4, first 2 shown]
	v_add_u32_e32 v18, 4, v17
	v_lshlrev_b64 v[32:33], 3, v[18:19]
	v_add_u32_e32 v18, -16, v16
	v_add_co_u32_e32 v32, vcc, s14, v32
	v_addc_co_u32_e32 v33, vcc, v23, v33, vcc
	global_load_dwordx2 v[32:33], v[32:33], off
	v_lshlrev_b64 v[24:25], 3, v[18:19]
	v_add_u32_e32 v18, -9, v16
	v_lshlrev_b64 v[26:27], 3, v[18:19]
	v_add_co_u32_e32 v24, vcc, s12, v24
	v_add_u32_e32 v18, -2, v16
	v_addc_co_u32_e32 v25, vcc, v21, v25, vcc
	v_add_co_u32_e32 v26, vcc, s12, v26
	v_addc_co_u32_e32 v27, vcc, v21, v27, vcc
	s_waitcnt vmcnt(4)
	v_fma_f64 v[11:12], v[36:37], v[28:29], v[11:12]
	s_waitcnt vmcnt(3)
	v_fma_f64 v[13:14], v[38:39], v[28:29], v[13:14]
	;; [unrolled: 2-line block ×3, first 2 shown]
	v_lshlrev_b64 v[28:29], 3, v[18:19]
	v_subrev_u32_e32 v18, 22, v16
	v_add_co_u32_e32 v28, vcc, s12, v28
	v_lshlrev_b64 v[30:31], 3, v[18:19]
	v_addc_co_u32_e32 v29, vcc, v21, v29, vcc
	v_add_u32_e32 v18, 5, v17
	v_add_co_u32_e32 v30, vcc, s12, v30
	v_lshlrev_b64 v[36:37], 3, v[18:19]
	v_addc_co_u32_e32 v31, vcc, v21, v31, vcc
	v_add_co_u32_e32 v36, vcc, s14, v36
	v_addc_co_u32_e32 v37, vcc, v23, v37, vcc
	s_waitcnt vmcnt(0)
	v_fma_f64 v[7:8], v[44:45], v[32:33], v[7:8]
	global_load_dwordx2 v[38:39], v[24:25], off
	global_load_dwordx2 v[40:41], v[26:27], off
	;; [unrolled: 1-line block ×4, first 2 shown]
	v_add_u32_e32 v18, -15, v16
	global_load_dwordx2 v[36:37], v[36:37], off
	v_lshlrev_b64 v[24:25], 3, v[18:19]
	v_add_u32_e32 v18, -8, v16
	v_lshlrev_b64 v[26:27], 3, v[18:19]
	v_add_co_u32_e32 v24, vcc, s12, v24
	v_add_u32_e32 v18, -1, v16
	v_addc_co_u32_e32 v25, vcc, v21, v25, vcc
	v_add_co_u32_e32 v26, vcc, s12, v26
	v_lshlrev_b64 v[28:29], 3, v[18:19]
	v_addc_co_u32_e32 v27, vcc, v21, v27, vcc
	v_subrev_u32_e32 v18, 21, v16
	v_lshlrev_b64 v[30:31], 3, v[18:19]
	v_add_co_u32_e32 v28, vcc, s12, v28
	v_addc_co_u32_e32 v29, vcc, v21, v29, vcc
	v_add_co_u32_e32 v30, vcc, s12, v30
	v_addc_co_u32_e32 v31, vcc, v21, v31, vcc
	v_add_u32_e32 v18, 6, v17
	v_lshlrev_b64 v[17:18], 3, v[18:19]
	s_waitcnt vmcnt(4)
	v_fma_f64 v[11:12], v[38:39], v[32:33], v[11:12]
	s_waitcnt vmcnt(3)
	v_fma_f64 v[13:14], v[40:41], v[32:33], v[13:14]
	;; [unrolled: 2-line block ×3, first 2 shown]
	v_add_co_u32_e32 v32, vcc, s14, v17
	s_waitcnt vmcnt(0)
	v_fma_f64 v[7:8], v[44:45], v[36:37], v[7:8]
	global_load_dwordx2 v[40:41], v[24:25], off
	global_load_dwordx2 v[42:43], v[26:27], off
	;; [unrolled: 1-line block ×4, first 2 shown]
	v_addc_co_u32_e32 v33, vcc, v23, v18, vcc
	v_add_u32_e32 v18, -14, v16
	v_lshlrev_b64 v[17:18], 3, v[18:19]
	v_add_co_u32_e32 v38, vcc, s12, v17
	v_addc_co_u32_e32 v39, vcc, v21, v18, vcc
	v_add_u32_e32 v18, -7, v16
	v_lshlrev_b64 v[17:18], 3, v[18:19]
	v_add_u32_e32 v16, 0x70, v16
	v_add_co_u32_e32 v17, vcc, s12, v17
	v_addc_co_u32_e32 v18, vcc, v21, v18, vcc
	v_cmp_ge_i32_e32 vcc, v6, v22
	s_or_b64 s[0:1], vcc, s[0:1]
	s_waitcnt vmcnt(3)
	v_fma_f64 v[11:12], v[40:41], v[36:37], v[11:12]
	s_waitcnt vmcnt(2)
	v_fma_f64 v[24:25], v[42:43], v[36:37], v[13:14]
	global_load_dwordx2 v[26:27], v[32:33], off
	global_load_dwordx2 v[13:14], v[38:39], off
	global_load_dwordx2 v[28:29], v[17:18], off
	global_load_dwordx2 v[30:31], v[34:35], off
	s_waitcnt vmcnt(5)
	v_fma_f64 v[17:18], v[44:45], v[36:37], v[9:10]
	s_waitcnt vmcnt(3)
	v_fma_f64 v[8:9], v[46:47], v[26:27], v[7:8]
	s_waitcnt vmcnt(2)
	v_fma_f64 v[14:15], v[13:14], v[26:27], v[11:12]
	s_waitcnt vmcnt(1)
	v_fma_f64 v[12:13], v[28:29], v[26:27], v[24:25]
	s_waitcnt vmcnt(0)
	v_fma_f64 v[10:11], v[30:31], v[26:27], v[17:18]
	s_andn2_b64 exec, exec, s[0:1]
	s_cbranch_execnz .LBB62_15
; %bb.16:
	s_or_b64 exec, exec, s[0:1]
.LBB62_17:
	s_or_b64 exec, exec, s[6:7]
.LBB62_18:
	v_mov_b32_dpp v6, v8 row_shr:1 row_mask:0xf bank_mask:0xf
	v_mov_b32_dpp v7, v9 row_shr:1 row_mask:0xf bank_mask:0xf
	v_add_f64 v[6:7], v[8:9], v[6:7]
	v_mov_b32_dpp v8, v14 row_shr:1 row_mask:0xf bank_mask:0xf
	v_mov_b32_dpp v9, v15 row_shr:1 row_mask:0xf bank_mask:0xf
	v_add_f64 v[8:9], v[14:15], v[8:9]
	;; [unrolled: 3-line block ×4, first 2 shown]
	v_mov_b32_dpp v12, v6 row_shr:2 row_mask:0xf bank_mask:0xf
	v_mov_b32_dpp v13, v7 row_shr:2 row_mask:0xf bank_mask:0xf
	;; [unrolled: 1-line block ×6, first 2 shown]
	v_cmp_eq_u32_e32 vcc, 3, v0
	v_mov_b32_dpp v18, v16 row_shr:2 row_mask:0xf bank_mask:0xf
	v_mov_b32_dpp v19, v17 row_shr:2 row_mask:0xf bank_mask:0xf
	s_and_b64 exec, exec, vcc
	s_cbranch_execz .LBB62_23
; %bb.19:
	v_add_f64 v[12:13], v[6:7], v[12:13]
	v_add_f64 v[10:11], v[8:9], v[10:11]
	;; [unrolled: 1-line block ×4, first 2 shown]
	v_cmp_eq_f64_e32 vcc, 0, v[3:4]
	s_load_dwordx2 s[0:1], s[4:5], 0x38
	s_and_saveexec_b64 s[2:3], vcc
	s_xor_b64 s[2:3], exec, s[2:3]
	s_cbranch_execz .LBB62_21
; %bb.20:
	v_mul_f64 v[12:13], v[1:2], v[12:13]
	v_mul_f64 v[14:15], v[1:2], v[10:11]
	v_lshlrev_b32_e32 v16, 2, v5
	v_mul_f64 v[3:4], v[1:2], v[6:7]
	v_mul_f64 v[5:6], v[1:2], v[8:9]
	v_ashrrev_i32_e32 v17, 31, v16
	v_lshlrev_b64 v[0:1], 3, v[16:17]
	s_waitcnt lgkmcnt(0)
	v_mov_b32_e32 v2, s1
	v_add_co_u32_e32 v0, vcc, s0, v0
	v_addc_co_u32_e32 v1, vcc, v2, v1, vcc
	global_store_dwordx4 v[0:1], v[12:15], off
	global_store_dwordx4 v[0:1], v[3:6], off offset:16
                                        ; implicit-def: $vgpr5
                                        ; implicit-def: $vgpr1_vgpr2
                                        ; implicit-def: $vgpr12_vgpr13
                                        ; implicit-def: $vgpr3_vgpr4
                                        ; implicit-def: $vgpr10_vgpr11
                                        ; implicit-def: $vgpr6_vgpr7
                                        ; implicit-def: $vgpr8_vgpr9
.LBB62_21:
	s_andn2_saveexec_b64 s[2:3], s[2:3]
	s_cbranch_execz .LBB62_23
; %bb.22:
	v_lshlrev_b32_e32 v14, 2, v5
	v_ashrrev_i32_e32 v15, 31, v14
	v_lshlrev_b64 v[14:15], 3, v[14:15]
	s_waitcnt lgkmcnt(0)
	v_mov_b32_e32 v0, s1
	v_add_co_u32_e32 v22, vcc, s0, v14
	v_addc_co_u32_e32 v23, vcc, v0, v15, vcc
	global_load_dwordx4 v[14:17], v[22:23], off
	global_load_dwordx4 v[18:21], v[22:23], off offset:16
	v_mul_f64 v[12:13], v[1:2], v[12:13]
	v_mul_f64 v[10:11], v[1:2], v[10:11]
	;; [unrolled: 1-line block ×4, first 2 shown]
	s_waitcnt vmcnt(1)
	v_fma_f64 v[5:6], v[3:4], v[14:15], v[12:13]
	v_fma_f64 v[7:8], v[3:4], v[16:17], v[10:11]
	s_waitcnt vmcnt(0)
	v_fma_f64 v[0:1], v[3:4], v[18:19], v[24:25]
	v_fma_f64 v[2:3], v[3:4], v[20:21], v[26:27]
	global_store_dwordx4 v[22:23], v[5:8], off
	global_store_dwordx4 v[22:23], v[0:3], off offset:16
.LBB62_23:
	s_endpgm
	.section	.rodata,"a",@progbits
	.p2align	6, 0x0
	.amdhsa_kernel _ZN9rocsparseL19gebsrmvn_4xn_kernelILj128ELj7ELj4EdEEvi20rocsparse_direction_NS_24const_host_device_scalarIT2_EEPKiS6_PKS3_S8_S4_PS3_21rocsparse_index_base_b
		.amdhsa_group_segment_fixed_size 0
		.amdhsa_private_segment_fixed_size 0
		.amdhsa_kernarg_size 72
		.amdhsa_user_sgpr_count 6
		.amdhsa_user_sgpr_private_segment_buffer 1
		.amdhsa_user_sgpr_dispatch_ptr 0
		.amdhsa_user_sgpr_queue_ptr 0
		.amdhsa_user_sgpr_kernarg_segment_ptr 1
		.amdhsa_user_sgpr_dispatch_id 0
		.amdhsa_user_sgpr_flat_scratch_init 0
		.amdhsa_user_sgpr_private_segment_size 0
		.amdhsa_uses_dynamic_stack 0
		.amdhsa_system_sgpr_private_segment_wavefront_offset 0
		.amdhsa_system_sgpr_workgroup_id_x 1
		.amdhsa_system_sgpr_workgroup_id_y 0
		.amdhsa_system_sgpr_workgroup_id_z 0
		.amdhsa_system_sgpr_workgroup_info 0
		.amdhsa_system_vgpr_workitem_id 0
		.amdhsa_next_free_vgpr 55
		.amdhsa_next_free_sgpr 16
		.amdhsa_reserve_vcc 1
		.amdhsa_reserve_flat_scratch 0
		.amdhsa_float_round_mode_32 0
		.amdhsa_float_round_mode_16_64 0
		.amdhsa_float_denorm_mode_32 3
		.amdhsa_float_denorm_mode_16_64 3
		.amdhsa_dx10_clamp 1
		.amdhsa_ieee_mode 1
		.amdhsa_fp16_overflow 0
		.amdhsa_exception_fp_ieee_invalid_op 0
		.amdhsa_exception_fp_denorm_src 0
		.amdhsa_exception_fp_ieee_div_zero 0
		.amdhsa_exception_fp_ieee_overflow 0
		.amdhsa_exception_fp_ieee_underflow 0
		.amdhsa_exception_fp_ieee_inexact 0
		.amdhsa_exception_int_div_zero 0
	.end_amdhsa_kernel
	.section	.text._ZN9rocsparseL19gebsrmvn_4xn_kernelILj128ELj7ELj4EdEEvi20rocsparse_direction_NS_24const_host_device_scalarIT2_EEPKiS6_PKS3_S8_S4_PS3_21rocsparse_index_base_b,"axG",@progbits,_ZN9rocsparseL19gebsrmvn_4xn_kernelILj128ELj7ELj4EdEEvi20rocsparse_direction_NS_24const_host_device_scalarIT2_EEPKiS6_PKS3_S8_S4_PS3_21rocsparse_index_base_b,comdat
.Lfunc_end62:
	.size	_ZN9rocsparseL19gebsrmvn_4xn_kernelILj128ELj7ELj4EdEEvi20rocsparse_direction_NS_24const_host_device_scalarIT2_EEPKiS6_PKS3_S8_S4_PS3_21rocsparse_index_base_b, .Lfunc_end62-_ZN9rocsparseL19gebsrmvn_4xn_kernelILj128ELj7ELj4EdEEvi20rocsparse_direction_NS_24const_host_device_scalarIT2_EEPKiS6_PKS3_S8_S4_PS3_21rocsparse_index_base_b
                                        ; -- End function
	.set _ZN9rocsparseL19gebsrmvn_4xn_kernelILj128ELj7ELj4EdEEvi20rocsparse_direction_NS_24const_host_device_scalarIT2_EEPKiS6_PKS3_S8_S4_PS3_21rocsparse_index_base_b.num_vgpr, 55
	.set _ZN9rocsparseL19gebsrmvn_4xn_kernelILj128ELj7ELj4EdEEvi20rocsparse_direction_NS_24const_host_device_scalarIT2_EEPKiS6_PKS3_S8_S4_PS3_21rocsparse_index_base_b.num_agpr, 0
	.set _ZN9rocsparseL19gebsrmvn_4xn_kernelILj128ELj7ELj4EdEEvi20rocsparse_direction_NS_24const_host_device_scalarIT2_EEPKiS6_PKS3_S8_S4_PS3_21rocsparse_index_base_b.numbered_sgpr, 16
	.set _ZN9rocsparseL19gebsrmvn_4xn_kernelILj128ELj7ELj4EdEEvi20rocsparse_direction_NS_24const_host_device_scalarIT2_EEPKiS6_PKS3_S8_S4_PS3_21rocsparse_index_base_b.num_named_barrier, 0
	.set _ZN9rocsparseL19gebsrmvn_4xn_kernelILj128ELj7ELj4EdEEvi20rocsparse_direction_NS_24const_host_device_scalarIT2_EEPKiS6_PKS3_S8_S4_PS3_21rocsparse_index_base_b.private_seg_size, 0
	.set _ZN9rocsparseL19gebsrmvn_4xn_kernelILj128ELj7ELj4EdEEvi20rocsparse_direction_NS_24const_host_device_scalarIT2_EEPKiS6_PKS3_S8_S4_PS3_21rocsparse_index_base_b.uses_vcc, 1
	.set _ZN9rocsparseL19gebsrmvn_4xn_kernelILj128ELj7ELj4EdEEvi20rocsparse_direction_NS_24const_host_device_scalarIT2_EEPKiS6_PKS3_S8_S4_PS3_21rocsparse_index_base_b.uses_flat_scratch, 0
	.set _ZN9rocsparseL19gebsrmvn_4xn_kernelILj128ELj7ELj4EdEEvi20rocsparse_direction_NS_24const_host_device_scalarIT2_EEPKiS6_PKS3_S8_S4_PS3_21rocsparse_index_base_b.has_dyn_sized_stack, 0
	.set _ZN9rocsparseL19gebsrmvn_4xn_kernelILj128ELj7ELj4EdEEvi20rocsparse_direction_NS_24const_host_device_scalarIT2_EEPKiS6_PKS3_S8_S4_PS3_21rocsparse_index_base_b.has_recursion, 0
	.set _ZN9rocsparseL19gebsrmvn_4xn_kernelILj128ELj7ELj4EdEEvi20rocsparse_direction_NS_24const_host_device_scalarIT2_EEPKiS6_PKS3_S8_S4_PS3_21rocsparse_index_base_b.has_indirect_call, 0
	.section	.AMDGPU.csdata,"",@progbits
; Kernel info:
; codeLenInByte = 3024
; TotalNumSgprs: 20
; NumVgprs: 55
; ScratchSize: 0
; MemoryBound: 1
; FloatMode: 240
; IeeeMode: 1
; LDSByteSize: 0 bytes/workgroup (compile time only)
; SGPRBlocks: 2
; VGPRBlocks: 13
; NumSGPRsForWavesPerEU: 20
; NumVGPRsForWavesPerEU: 55
; Occupancy: 4
; WaveLimiterHint : 1
; COMPUTE_PGM_RSRC2:SCRATCH_EN: 0
; COMPUTE_PGM_RSRC2:USER_SGPR: 6
; COMPUTE_PGM_RSRC2:TRAP_HANDLER: 0
; COMPUTE_PGM_RSRC2:TGID_X_EN: 1
; COMPUTE_PGM_RSRC2:TGID_Y_EN: 0
; COMPUTE_PGM_RSRC2:TGID_Z_EN: 0
; COMPUTE_PGM_RSRC2:TIDIG_COMP_CNT: 0
	.section	.text._ZN9rocsparseL19gebsrmvn_4xn_kernelILj128ELj7ELj8EdEEvi20rocsparse_direction_NS_24const_host_device_scalarIT2_EEPKiS6_PKS3_S8_S4_PS3_21rocsparse_index_base_b,"axG",@progbits,_ZN9rocsparseL19gebsrmvn_4xn_kernelILj128ELj7ELj8EdEEvi20rocsparse_direction_NS_24const_host_device_scalarIT2_EEPKiS6_PKS3_S8_S4_PS3_21rocsparse_index_base_b,comdat
	.globl	_ZN9rocsparseL19gebsrmvn_4xn_kernelILj128ELj7ELj8EdEEvi20rocsparse_direction_NS_24const_host_device_scalarIT2_EEPKiS6_PKS3_S8_S4_PS3_21rocsparse_index_base_b ; -- Begin function _ZN9rocsparseL19gebsrmvn_4xn_kernelILj128ELj7ELj8EdEEvi20rocsparse_direction_NS_24const_host_device_scalarIT2_EEPKiS6_PKS3_S8_S4_PS3_21rocsparse_index_base_b
	.p2align	8
	.type	_ZN9rocsparseL19gebsrmvn_4xn_kernelILj128ELj7ELj8EdEEvi20rocsparse_direction_NS_24const_host_device_scalarIT2_EEPKiS6_PKS3_S8_S4_PS3_21rocsparse_index_base_b,@function
_ZN9rocsparseL19gebsrmvn_4xn_kernelILj128ELj7ELj8EdEEvi20rocsparse_direction_NS_24const_host_device_scalarIT2_EEPKiS6_PKS3_S8_S4_PS3_21rocsparse_index_base_b: ; @_ZN9rocsparseL19gebsrmvn_4xn_kernelILj128ELj7ELj8EdEEvi20rocsparse_direction_NS_24const_host_device_scalarIT2_EEPKiS6_PKS3_S8_S4_PS3_21rocsparse_index_base_b
; %bb.0:
	s_load_dwordx2 s[2:3], s[4:5], 0x40
	s_load_dwordx2 s[10:11], s[4:5], 0x8
	;; [unrolled: 1-line block ×3, first 2 shown]
	s_waitcnt lgkmcnt(0)
	s_bitcmp1_b32 s3, 0
	s_cselect_b64 s[12:13], -1, 0
	v_mov_b32_e32 v1, s10
	s_xor_b64 s[8:9], s[12:13], -1
	s_and_b64 vcc, exec, s[12:13]
	v_mov_b32_e32 v2, s11
	s_cbranch_vccnz .LBB63_2
; %bb.1:
	v_mov_b32_e32 v1, s10
	v_mov_b32_e32 v2, s11
	flat_load_dwordx2 v[1:2], v[1:2]
.LBB63_2:
	v_mov_b32_e32 v4, s1
	s_andn2_b64 vcc, exec, s[8:9]
	v_mov_b32_e32 v3, s0
	s_cbranch_vccnz .LBB63_4
; %bb.3:
	v_mov_b32_e32 v4, s1
	v_mov_b32_e32 v3, s0
	flat_load_dwordx2 v[3:4], v[3:4]
.LBB63_4:
	s_waitcnt vmcnt(0) lgkmcnt(0)
	v_cmp_neq_f64_e32 vcc, 0, v[1:2]
	v_cmp_neq_f64_e64 s[0:1], 1.0, v[3:4]
	s_or_b64 s[0:1], vcc, s[0:1]
	s_and_saveexec_b64 s[8:9], s[0:1]
	s_cbranch_execz .LBB63_23
; %bb.5:
	s_load_dwordx2 s[0:1], s[4:5], 0x0
	v_lshrrev_b32_e32 v5, 3, v0
	v_lshl_or_b32 v5, s6, 4, v5
	s_waitcnt lgkmcnt(0)
	v_cmp_gt_i32_e32 vcc, s0, v5
	s_and_b64 exec, exec, vcc
	s_cbranch_execz .LBB63_23
; %bb.6:
	s_load_dwordx8 s[8:15], s[4:5], 0x10
	v_ashrrev_i32_e32 v6, 31, v5
	v_lshlrev_b64 v[6:7], 2, v[5:6]
	v_and_b32_e32 v0, 7, v0
	s_cmp_lg_u32 s1, 0
	s_waitcnt lgkmcnt(0)
	v_mov_b32_e32 v8, s9
	v_add_co_u32_e32 v6, vcc, s8, v6
	v_addc_co_u32_e32 v7, vcc, v8, v7, vcc
	global_load_dwordx2 v[6:7], v[6:7], off
	s_waitcnt vmcnt(0)
	v_subrev_u32_e32 v6, s2, v6
	v_subrev_u32_e32 v22, s2, v7
	v_add_u32_e32 v6, v6, v0
	v_cmp_lt_i32_e64 s[0:1], v6, v22
	s_cbranch_scc0 .LBB63_12
; %bb.7:
	v_mov_b32_e32 v10, 0
	v_mov_b32_e32 v8, 0
	;; [unrolled: 1-line block ×8, first 2 shown]
	s_and_saveexec_b64 s[6:7], s[0:1]
	s_cbranch_execz .LBB63_11
; %bb.8:
	v_mad_u64_u32 v[16:17], s[8:9], v6, 28, 24
	v_mov_b32_e32 v10, 0
	v_mov_b32_e32 v8, 0
	;; [unrolled: 1-line block ×5, first 2 shown]
	s_mov_b64 s[8:9], 0
	v_mov_b32_e32 v7, s11
	v_mov_b32_e32 v19, 0
	;; [unrolled: 1-line block ×8, first 2 shown]
.LBB63_9:                               ; =>This Inner Loop Header: Depth=1
	v_ashrrev_i32_e32 v21, 31, v20
	v_lshlrev_b64 v[25:26], 2, v[20:21]
	v_subrev_u32_e32 v18, 24, v16
	v_lshlrev_b64 v[27:28], 3, v[18:19]
	v_add_co_u32_e32 v33, vcc, s10, v25
	v_mov_b32_e32 v17, v19
	v_addc_co_u32_e32 v34, vcc, v7, v26, vcc
	v_lshlrev_b64 v[29:30], 3, v[16:17]
	v_add_co_u32_e32 v35, vcc, s12, v27
	v_addc_co_u32_e32 v36, vcc, v23, v28, vcc
	v_add_co_u32_e32 v47, vcc, s12, v29
	v_addc_co_u32_e32 v48, vcc, v23, v30, vcc
	global_load_dword v21, v[33:34], off
	global_load_dwordx4 v[25:28], v[35:36], off
	global_load_dwordx4 v[29:32], v[35:36], off offset:16
	v_subrev_u32_e32 v18, 20, v16
	v_lshlrev_b64 v[17:18], 3, v[18:19]
	v_mov_b32_e32 v46, v19
	v_add_co_u32_e32 v17, vcc, s12, v17
	v_addc_co_u32_e32 v18, vcc, v23, v18, vcc
	global_load_dwordx4 v[33:36], v[47:48], off
	global_load_dwordx4 v[37:40], v[17:18], off
	v_add_u32_e32 v20, 8, v20
	s_waitcnt vmcnt(4)
	v_subrev_u32_e32 v21, s2, v21
	v_mul_lo_u32 v45, v21, 7
	v_lshlrev_b64 v[41:42], 3, v[45:46]
	v_add_co_u32_e32 v49, vcc, s14, v41
	v_addc_co_u32_e32 v50, vcc, v24, v42, vcc
	global_load_dwordx2 v[49:50], v[49:50], off
	s_waitcnt vmcnt(0)
	v_fma_f64 v[10:11], v[25:26], v[49:50], v[10:11]
	global_load_dwordx4 v[41:44], v[17:18], off offset:16
	v_add_u32_e32 v18, 1, v45
	v_lshlrev_b64 v[25:26], 3, v[18:19]
	v_fma_f64 v[14:15], v[27:28], v[49:50], v[14:15]
	v_add_co_u32_e32 v25, vcc, s14, v25
	v_addc_co_u32_e32 v26, vcc, v24, v26, vcc
	global_load_dwordx2 v[25:26], v[25:26], off
	v_fma_f64 v[29:30], v[29:30], v[49:50], v[12:13]
	v_add_u32_e32 v18, -16, v16
	v_lshlrev_b64 v[27:28], 3, v[18:19]
	v_add_u32_e32 v18, 2, v45
	v_fma_f64 v[31:32], v[31:32], v[49:50], v[8:9]
	v_lshlrev_b64 v[8:9], 3, v[18:19]
	v_add_co_u32_e32 v27, vcc, s12, v27
	v_addc_co_u32_e32 v28, vcc, v23, v28, vcc
	v_add_co_u32_e32 v51, vcc, s14, v8
	v_addc_co_u32_e32 v52, vcc, v24, v9, vcc
	v_add_u32_e32 v18, -12, v16
	v_lshlrev_b64 v[49:50], 3, v[18:19]
	v_add_u32_e32 v18, 3, v45
	s_waitcnt vmcnt(0)
	v_fma_f64 v[37:38], v[37:38], v[25:26], v[10:11]
	v_fma_f64 v[39:40], v[39:40], v[25:26], v[14:15]
	global_load_dwordx4 v[8:11], v[27:28], off
	global_load_dwordx4 v[12:15], v[27:28], off offset:16
	v_fma_f64 v[29:30], v[41:42], v[25:26], v[29:30]
	global_load_dwordx2 v[41:42], v[51:52], off
	v_fma_f64 v[31:32], v[43:44], v[25:26], v[31:32]
	v_lshlrev_b64 v[25:26], 3, v[18:19]
	v_add_co_u32_e32 v43, vcc, s12, v49
	v_addc_co_u32_e32 v44, vcc, v23, v50, vcc
	v_add_co_u32_e32 v51, vcc, s14, v25
	v_addc_co_u32_e32 v52, vcc, v24, v26, vcc
	v_add_u32_e32 v18, -8, v16
	v_lshlrev_b64 v[49:50], 3, v[18:19]
	v_add_u32_e32 v18, 4, v45
	s_waitcnt vmcnt(0)
	v_fma_f64 v[37:38], v[8:9], v[41:42], v[37:38]
	v_fma_f64 v[39:40], v[10:11], v[41:42], v[39:40]
	global_load_dwordx4 v[8:11], v[43:44], off
	global_load_dwordx4 v[25:28], v[43:44], off offset:16
	v_fma_f64 v[29:30], v[12:13], v[41:42], v[29:30]
	v_fma_f64 v[31:32], v[14:15], v[41:42], v[31:32]
	global_load_dwordx2 v[41:42], v[51:52], off
	v_lshlrev_b64 v[12:13], 3, v[18:19]
	v_add_co_u32_e32 v43, vcc, s12, v49
	v_add_u32_e32 v18, -4, v16
	v_addc_co_u32_e32 v44, vcc, v23, v50, vcc
	v_lshlrev_b64 v[14:15], 3, v[18:19]
	v_add_co_u32_e32 v49, vcc, s14, v12
	v_add_u32_e32 v18, 5, v45
	v_addc_co_u32_e32 v50, vcc, v24, v13, vcc
	v_lshlrev_b64 v[51:52], 3, v[18:19]
	v_add_u32_e32 v18, 6, v45
	v_add_co_u32_e32 v45, vcc, s12, v14
	v_addc_co_u32_e32 v46, vcc, v23, v15, vcc
	v_lshlrev_b64 v[17:18], 3, v[18:19]
	v_add_u32_e32 v16, 0xe0, v16
	s_waitcnt vmcnt(0)
	v_fma_f64 v[37:38], v[8:9], v[41:42], v[37:38]
	v_fma_f64 v[39:40], v[10:11], v[41:42], v[39:40]
	global_load_dwordx4 v[8:11], v[43:44], off
	global_load_dwordx4 v[12:15], v[43:44], off offset:16
	global_load_dwordx2 v[53:54], v[49:50], off
	v_fma_f64 v[43:44], v[25:26], v[41:42], v[29:30]
	v_add_co_u32_e32 v29, vcc, s14, v51
	v_fma_f64 v[41:42], v[27:28], v[41:42], v[31:32]
	v_addc_co_u32_e32 v30, vcc, v24, v52, vcc
	global_load_dwordx4 v[25:28], v[45:46], off
	v_add_co_u32_e32 v17, vcc, s14, v17
	v_addc_co_u32_e32 v18, vcc, v24, v18, vcc
	v_cmp_ge_i32_e32 vcc, v20, v22
	s_or_b64 s[8:9], vcc, s[8:9]
	s_waitcnt vmcnt(1)
	v_fma_f64 v[37:38], v[8:9], v[53:54], v[37:38]
	v_fma_f64 v[39:40], v[10:11], v[53:54], v[39:40]
	global_load_dwordx4 v[8:11], v[45:46], off offset:16
	global_load_dwordx2 v[49:50], v[29:30], off
	s_nop 0
	global_load_dwordx4 v[29:32], v[47:48], off offset:16
	global_load_dwordx2 v[45:46], v[17:18], off
	v_fma_f64 v[12:13], v[12:13], v[53:54], v[43:44]
	v_fma_f64 v[14:15], v[14:15], v[53:54], v[41:42]
	s_waitcnt vmcnt(2)
	v_fma_f64 v[17:18], v[25:26], v[49:50], v[37:38]
	v_fma_f64 v[25:26], v[27:28], v[49:50], v[39:40]
	;; [unrolled: 1-line block ×4, first 2 shown]
	s_waitcnt vmcnt(0)
	v_fma_f64 v[10:11], v[33:34], v[45:46], v[17:18]
	v_fma_f64 v[14:15], v[35:36], v[45:46], v[25:26]
	;; [unrolled: 1-line block ×4, first 2 shown]
	s_andn2_b64 exec, exec, s[8:9]
	s_cbranch_execnz .LBB63_9
; %bb.10:
	s_or_b64 exec, exec, s[8:9]
.LBB63_11:
	s_or_b64 exec, exec, s[6:7]
	s_cbranch_execz .LBB63_13
	s_branch .LBB63_18
.LBB63_12:
                                        ; implicit-def: $vgpr10_vgpr11
                                        ; implicit-def: $vgpr8_vgpr9
                                        ; implicit-def: $vgpr12_vgpr13
                                        ; implicit-def: $vgpr14_vgpr15
.LBB63_13:
	v_mov_b32_e32 v10, 0
	v_mov_b32_e32 v8, 0
	;; [unrolled: 1-line block ×8, first 2 shown]
	s_and_saveexec_b64 s[6:7], s[0:1]
	s_cbranch_execz .LBB63_17
; %bb.14:
	v_mad_u64_u32 v[16:17], s[0:1], v6, 28, 27
	v_mov_b32_e32 v10, 0
	v_mov_b32_e32 v8, 0
	v_mov_b32_e32 v12, 0
	v_mov_b32_e32 v14, 0
	v_mov_b32_e32 v11, 0
	s_mov_b64 s[0:1], 0
	v_mov_b32_e32 v20, s11
	v_mov_b32_e32 v19, 0
	;; [unrolled: 1-line block ×7, first 2 shown]
.LBB63_15:                              ; =>This Inner Loop Header: Depth=1
	v_ashrrev_i32_e32 v7, 31, v6
	v_lshlrev_b64 v[30:31], 2, v[6:7]
	v_subrev_u32_e32 v18, 27, v16
	v_add_co_u32_e32 v30, vcc, s10, v30
	v_addc_co_u32_e32 v31, vcc, v20, v31, vcc
	global_load_dword v7, v[30:31], off
	v_lshlrev_b64 v[32:33], 3, v[18:19]
	v_subrev_u32_e32 v24, 20, v16
	v_mov_b32_e32 v25, v19
	v_lshlrev_b64 v[24:25], 3, v[24:25]
	v_add_co_u32_e32 v32, vcc, s12, v32
	v_add_u32_e32 v26, -13, v16
	v_mov_b32_e32 v27, v19
	v_addc_co_u32_e32 v33, vcc, v21, v33, vcc
	v_lshlrev_b64 v[26:27], 3, v[26:27]
	v_add_co_u32_e32 v24, vcc, s12, v24
	v_add_u32_e32 v28, -6, v16
	v_mov_b32_e32 v29, v19
	v_addc_co_u32_e32 v25, vcc, v21, v25, vcc
	v_lshlrev_b64 v[28:29], 3, v[28:29]
	v_add_co_u32_e32 v26, vcc, s12, v26
	v_mov_b32_e32 v17, v19
	v_addc_co_u32_e32 v27, vcc, v21, v27, vcc
	v_lshlrev_b64 v[17:18], 3, v[16:17]
	v_add_co_u32_e32 v28, vcc, s12, v28
	v_addc_co_u32_e32 v29, vcc, v21, v29, vcc
	v_add_co_u32_e32 v34, vcc, s12, v17
	v_addc_co_u32_e32 v35, vcc, v21, v18, vcc
	v_mov_b32_e32 v18, v19
	v_add_u32_e32 v6, 8, v6
	s_waitcnt vmcnt(0)
	v_subrev_u32_e32 v7, s2, v7
	v_mul_lo_u32 v17, v7, 7
	v_lshlrev_b64 v[30:31], 3, v[17:18]
	v_add_u32_e32 v18, 1, v17
	v_add_co_u32_e32 v30, vcc, s14, v30
	v_addc_co_u32_e32 v31, vcc, v23, v31, vcc
	global_load_dwordx2 v[38:39], v[24:25], off
	global_load_dwordx2 v[40:41], v[26:27], off
	global_load_dwordx2 v[42:43], v[28:29], off
	global_load_dwordx2 v[44:45], v[30:31], off
	v_lshlrev_b64 v[36:37], 3, v[18:19]
	v_subrev_u32_e32 v18, 19, v16
	v_add_co_u32_e32 v36, vcc, s14, v36
	v_addc_co_u32_e32 v37, vcc, v23, v37, vcc
	s_waitcnt vmcnt(0)
	v_fma_f64 v[28:29], v[38:39], v[44:45], v[14:15]
	v_fma_f64 v[30:31], v[40:41], v[44:45], v[12:13]
	global_load_dwordx4 v[12:15], v[32:33], off
	global_load_dwordx4 v[24:27], v[32:33], off offset:16
	v_fma_f64 v[7:8], v[42:43], v[44:45], v[8:9]
	s_waitcnt vmcnt(1)
	v_fma_f64 v[9:10], v[12:13], v[44:45], v[10:11]
	global_load_dwordx2 v[11:12], v[36:37], off
	s_waitcnt vmcnt(0)
	v_fma_f64 v[9:10], v[14:15], v[11:12], v[9:10]
	v_lshlrev_b64 v[13:14], 3, v[18:19]
	v_add_u32_e32 v18, -12, v16
	v_add_co_u32_e32 v13, vcc, s12, v13
	v_lshlrev_b64 v[32:33], 3, v[18:19]
	v_addc_co_u32_e32 v14, vcc, v21, v14, vcc
	v_add_u32_e32 v18, -5, v16
	v_add_co_u32_e32 v32, vcc, s12, v32
	v_lshlrev_b64 v[36:37], 3, v[18:19]
	v_addc_co_u32_e32 v33, vcc, v21, v33, vcc
	v_add_co_u32_e32 v36, vcc, s12, v36
	v_addc_co_u32_e32 v37, vcc, v21, v37, vcc
	global_load_dwordx2 v[38:39], v[13:14], off
	global_load_dwordx2 v[40:41], v[32:33], off
	;; [unrolled: 1-line block ×3, first 2 shown]
	v_add_u32_e32 v18, 2, v17
	s_waitcnt vmcnt(2)
	v_fma_f64 v[13:14], v[38:39], v[11:12], v[28:29]
	s_waitcnt vmcnt(1)
	v_fma_f64 v[28:29], v[40:41], v[11:12], v[30:31]
	v_lshlrev_b64 v[30:31], 3, v[18:19]
	v_subrev_u32_e32 v18, 18, v16
	s_waitcnt vmcnt(0)
	v_fma_f64 v[7:8], v[42:43], v[11:12], v[7:8]
	v_lshlrev_b64 v[11:12], 3, v[18:19]
	v_add_co_u32_e32 v30, vcc, s14, v30
	v_add_u32_e32 v18, -11, v16
	v_addc_co_u32_e32 v31, vcc, v23, v31, vcc
	v_add_co_u32_e32 v11, vcc, s12, v11
	v_lshlrev_b64 v[32:33], 3, v[18:19]
	v_addc_co_u32_e32 v12, vcc, v21, v12, vcc
	v_add_u32_e32 v18, -4, v16
	v_add_co_u32_e32 v32, vcc, s12, v32
	v_lshlrev_b64 v[36:37], 3, v[18:19]
	v_addc_co_u32_e32 v33, vcc, v21, v33, vcc
	v_add_co_u32_e32 v36, vcc, s12, v36
	v_addc_co_u32_e32 v37, vcc, v21, v37, vcc
	global_load_dwordx2 v[42:43], v[30:31], off
	global_load_dwordx2 v[44:45], v[11:12], off
	;; [unrolled: 1-line block ×4, first 2 shown]
	v_add_u32_e32 v18, 3, v17
	v_lshlrev_b64 v[38:39], 3, v[18:19]
	v_subrev_u32_e32 v18, 17, v16
	v_add_co_u32_e32 v38, vcc, s14, v38
	v_addc_co_u32_e32 v39, vcc, v23, v39, vcc
	v_lshlrev_b64 v[40:41], 3, v[18:19]
	v_add_u32_e32 v18, -10, v16
	v_add_co_u32_e32 v40, vcc, s12, v40
	v_addc_co_u32_e32 v41, vcc, v21, v41, vcc
	s_waitcnt vmcnt(3)
	v_fma_f64 v[9:10], v[24:25], v[42:43], v[9:10]
	s_waitcnt vmcnt(2)
	v_fma_f64 v[11:12], v[44:45], v[42:43], v[13:14]
	s_waitcnt vmcnt(1)
	v_fma_f64 v[13:14], v[46:47], v[42:43], v[28:29]
	global_load_dwordx2 v[28:29], v[38:39], off
	v_lshlrev_b64 v[24:25], 3, v[18:19]
	v_add_u32_e32 v18, -3, v16
	v_add_co_u32_e32 v24, vcc, s12, v24
	v_addc_co_u32_e32 v25, vcc, v21, v25, vcc
	s_waitcnt vmcnt(1)
	v_fma_f64 v[7:8], v[48:49], v[42:43], v[7:8]
	s_waitcnt vmcnt(0)
	v_fma_f64 v[9:10], v[26:27], v[28:29], v[9:10]
	v_lshlrev_b64 v[26:27], 3, v[18:19]
	v_subrev_u32_e32 v18, 23, v16
	v_add_co_u32_e32 v26, vcc, s12, v26
	v_lshlrev_b64 v[30:31], 3, v[18:19]
	v_addc_co_u32_e32 v27, vcc, v21, v27, vcc
	v_add_co_u32_e32 v30, vcc, s12, v30
	v_addc_co_u32_e32 v31, vcc, v21, v31, vcc
	global_load_dwordx2 v[36:37], v[40:41], off
	global_load_dwordx2 v[38:39], v[24:25], off
	;; [unrolled: 1-line block ×4, first 2 shown]
	v_add_u32_e32 v18, 4, v17
	v_lshlrev_b64 v[32:33], 3, v[18:19]
	v_add_u32_e32 v18, -16, v16
	v_add_co_u32_e32 v32, vcc, s14, v32
	v_addc_co_u32_e32 v33, vcc, v23, v33, vcc
	global_load_dwordx2 v[32:33], v[32:33], off
	v_lshlrev_b64 v[24:25], 3, v[18:19]
	v_add_u32_e32 v18, -9, v16
	v_lshlrev_b64 v[26:27], 3, v[18:19]
	v_add_co_u32_e32 v24, vcc, s12, v24
	v_add_u32_e32 v18, -2, v16
	v_addc_co_u32_e32 v25, vcc, v21, v25, vcc
	v_add_co_u32_e32 v26, vcc, s12, v26
	v_addc_co_u32_e32 v27, vcc, v21, v27, vcc
	s_waitcnt vmcnt(4)
	v_fma_f64 v[11:12], v[36:37], v[28:29], v[11:12]
	s_waitcnt vmcnt(3)
	v_fma_f64 v[13:14], v[38:39], v[28:29], v[13:14]
	;; [unrolled: 2-line block ×3, first 2 shown]
	v_lshlrev_b64 v[28:29], 3, v[18:19]
	v_subrev_u32_e32 v18, 22, v16
	v_add_co_u32_e32 v28, vcc, s12, v28
	v_lshlrev_b64 v[30:31], 3, v[18:19]
	v_addc_co_u32_e32 v29, vcc, v21, v29, vcc
	v_add_u32_e32 v18, 5, v17
	v_add_co_u32_e32 v30, vcc, s12, v30
	v_lshlrev_b64 v[36:37], 3, v[18:19]
	v_addc_co_u32_e32 v31, vcc, v21, v31, vcc
	v_add_co_u32_e32 v36, vcc, s14, v36
	v_addc_co_u32_e32 v37, vcc, v23, v37, vcc
	s_waitcnt vmcnt(0)
	v_fma_f64 v[9:10], v[44:45], v[32:33], v[9:10]
	global_load_dwordx2 v[38:39], v[24:25], off
	global_load_dwordx2 v[40:41], v[26:27], off
	;; [unrolled: 1-line block ×4, first 2 shown]
	v_add_u32_e32 v18, -15, v16
	global_load_dwordx2 v[36:37], v[36:37], off
	v_lshlrev_b64 v[24:25], 3, v[18:19]
	v_add_u32_e32 v18, -8, v16
	v_lshlrev_b64 v[26:27], 3, v[18:19]
	v_add_co_u32_e32 v24, vcc, s12, v24
	v_add_u32_e32 v18, -1, v16
	v_addc_co_u32_e32 v25, vcc, v21, v25, vcc
	v_add_co_u32_e32 v26, vcc, s12, v26
	v_lshlrev_b64 v[28:29], 3, v[18:19]
	v_addc_co_u32_e32 v27, vcc, v21, v27, vcc
	v_subrev_u32_e32 v18, 21, v16
	v_lshlrev_b64 v[30:31], 3, v[18:19]
	v_add_co_u32_e32 v28, vcc, s12, v28
	v_addc_co_u32_e32 v29, vcc, v21, v29, vcc
	v_add_co_u32_e32 v30, vcc, s12, v30
	v_addc_co_u32_e32 v31, vcc, v21, v31, vcc
	v_add_u32_e32 v18, 6, v17
	v_lshlrev_b64 v[17:18], 3, v[18:19]
	s_waitcnt vmcnt(4)
	v_fma_f64 v[11:12], v[38:39], v[32:33], v[11:12]
	s_waitcnt vmcnt(3)
	v_fma_f64 v[13:14], v[40:41], v[32:33], v[13:14]
	;; [unrolled: 2-line block ×3, first 2 shown]
	v_add_co_u32_e32 v32, vcc, s14, v17
	s_waitcnt vmcnt(0)
	v_fma_f64 v[9:10], v[44:45], v[36:37], v[9:10]
	global_load_dwordx2 v[40:41], v[24:25], off
	global_load_dwordx2 v[42:43], v[26:27], off
	;; [unrolled: 1-line block ×4, first 2 shown]
	v_addc_co_u32_e32 v33, vcc, v23, v18, vcc
	v_add_u32_e32 v18, -14, v16
	v_lshlrev_b64 v[17:18], 3, v[18:19]
	v_add_co_u32_e32 v38, vcc, s12, v17
	v_addc_co_u32_e32 v39, vcc, v21, v18, vcc
	v_add_u32_e32 v18, -7, v16
	v_lshlrev_b64 v[17:18], 3, v[18:19]
	v_add_u32_e32 v16, 0xe0, v16
	v_add_co_u32_e32 v17, vcc, s12, v17
	v_addc_co_u32_e32 v18, vcc, v21, v18, vcc
	v_cmp_ge_i32_e32 vcc, v6, v22
	s_or_b64 s[0:1], vcc, s[0:1]
	s_waitcnt vmcnt(3)
	v_fma_f64 v[24:25], v[40:41], v[36:37], v[11:12]
	s_waitcnt vmcnt(2)
	v_fma_f64 v[12:13], v[42:43], v[36:37], v[13:14]
	global_load_dwordx2 v[26:27], v[32:33], off
	global_load_dwordx2 v[14:15], v[38:39], off
	global_load_dwordx2 v[28:29], v[17:18], off
	global_load_dwordx2 v[30:31], v[34:35], off
	s_waitcnt vmcnt(5)
	v_fma_f64 v[7:8], v[44:45], v[36:37], v[7:8]
	s_waitcnt vmcnt(3)
	v_fma_f64 v[10:11], v[46:47], v[26:27], v[9:10]
	;; [unrolled: 2-line block ×5, first 2 shown]
	s_andn2_b64 exec, exec, s[0:1]
	s_cbranch_execnz .LBB63_15
; %bb.16:
	s_or_b64 exec, exec, s[0:1]
.LBB63_17:
	s_or_b64 exec, exec, s[6:7]
.LBB63_18:
	v_mov_b32_dpp v6, v10 row_shr:1 row_mask:0xf bank_mask:0xf
	v_mov_b32_dpp v7, v11 row_shr:1 row_mask:0xf bank_mask:0xf
	v_add_f64 v[6:7], v[10:11], v[6:7]
	v_mov_b32_dpp v10, v14 row_shr:1 row_mask:0xf bank_mask:0xf
	v_mov_b32_dpp v11, v15 row_shr:1 row_mask:0xf bank_mask:0xf
	;; [unrolled: 1-line block ×4, first 2 shown]
	v_add_f64 v[10:11], v[14:15], v[10:11]
	v_add_f64 v[12:13], v[12:13], v[16:17]
	v_mov_b32_dpp v16, v8 row_shr:1 row_mask:0xf bank_mask:0xf
	v_mov_b32_dpp v17, v9 row_shr:1 row_mask:0xf bank_mask:0xf
	v_add_f64 v[16:17], v[8:9], v[16:17]
	v_mov_b32_dpp v14, v6 row_shr:2 row_mask:0xf bank_mask:0xf
	v_mov_b32_dpp v15, v7 row_shr:2 row_mask:0xf bank_mask:0xf
	;; [unrolled: 3-line block ×6, first 2 shown]
	v_mov_b32_dpp v10, v8 row_shr:4 row_mask:0xf bank_mask:0xe
	v_mov_b32_dpp v11, v9 row_shr:4 row_mask:0xf bank_mask:0xe
	;; [unrolled: 1-line block ×4, first 2 shown]
	v_cmp_eq_u32_e32 vcc, 7, v0
	v_mov_b32_dpp v18, v16 row_shr:4 row_mask:0xf bank_mask:0xe
	v_mov_b32_dpp v19, v17 row_shr:4 row_mask:0xf bank_mask:0xe
	s_and_b64 exec, exec, vcc
	s_cbranch_execz .LBB63_23
; %bb.19:
	v_add_f64 v[12:13], v[6:7], v[12:13]
	v_add_f64 v[10:11], v[8:9], v[10:11]
	;; [unrolled: 1-line block ×4, first 2 shown]
	v_cmp_eq_f64_e32 vcc, 0, v[3:4]
	s_load_dwordx2 s[0:1], s[4:5], 0x38
	s_and_saveexec_b64 s[2:3], vcc
	s_xor_b64 s[2:3], exec, s[2:3]
	s_cbranch_execz .LBB63_21
; %bb.20:
	v_mul_f64 v[12:13], v[1:2], v[12:13]
	v_mul_f64 v[14:15], v[1:2], v[10:11]
	v_lshlrev_b32_e32 v16, 2, v5
	v_mul_f64 v[3:4], v[1:2], v[6:7]
	v_mul_f64 v[5:6], v[1:2], v[8:9]
	v_ashrrev_i32_e32 v17, 31, v16
	v_lshlrev_b64 v[0:1], 3, v[16:17]
	s_waitcnt lgkmcnt(0)
	v_mov_b32_e32 v2, s1
	v_add_co_u32_e32 v0, vcc, s0, v0
	v_addc_co_u32_e32 v1, vcc, v2, v1, vcc
	global_store_dwordx4 v[0:1], v[12:15], off
	global_store_dwordx4 v[0:1], v[3:6], off offset:16
                                        ; implicit-def: $vgpr5
                                        ; implicit-def: $vgpr1_vgpr2
                                        ; implicit-def: $vgpr12_vgpr13
                                        ; implicit-def: $vgpr3_vgpr4
                                        ; implicit-def: $vgpr10_vgpr11
                                        ; implicit-def: $vgpr6_vgpr7
                                        ; implicit-def: $vgpr8_vgpr9
.LBB63_21:
	s_andn2_saveexec_b64 s[2:3], s[2:3]
	s_cbranch_execz .LBB63_23
; %bb.22:
	v_lshlrev_b32_e32 v14, 2, v5
	v_ashrrev_i32_e32 v15, 31, v14
	v_lshlrev_b64 v[14:15], 3, v[14:15]
	s_waitcnt lgkmcnt(0)
	v_mov_b32_e32 v0, s1
	v_add_co_u32_e32 v22, vcc, s0, v14
	v_addc_co_u32_e32 v23, vcc, v0, v15, vcc
	global_load_dwordx4 v[14:17], v[22:23], off
	global_load_dwordx4 v[18:21], v[22:23], off offset:16
	v_mul_f64 v[12:13], v[1:2], v[12:13]
	v_mul_f64 v[10:11], v[1:2], v[10:11]
	;; [unrolled: 1-line block ×4, first 2 shown]
	s_waitcnt vmcnt(1)
	v_fma_f64 v[5:6], v[3:4], v[14:15], v[12:13]
	v_fma_f64 v[7:8], v[3:4], v[16:17], v[10:11]
	s_waitcnt vmcnt(0)
	v_fma_f64 v[0:1], v[3:4], v[18:19], v[24:25]
	v_fma_f64 v[2:3], v[3:4], v[20:21], v[26:27]
	global_store_dwordx4 v[22:23], v[5:8], off
	global_store_dwordx4 v[22:23], v[0:3], off offset:16
.LBB63_23:
	s_endpgm
	.section	.rodata,"a",@progbits
	.p2align	6, 0x0
	.amdhsa_kernel _ZN9rocsparseL19gebsrmvn_4xn_kernelILj128ELj7ELj8EdEEvi20rocsparse_direction_NS_24const_host_device_scalarIT2_EEPKiS6_PKS3_S8_S4_PS3_21rocsparse_index_base_b
		.amdhsa_group_segment_fixed_size 0
		.amdhsa_private_segment_fixed_size 0
		.amdhsa_kernarg_size 72
		.amdhsa_user_sgpr_count 6
		.amdhsa_user_sgpr_private_segment_buffer 1
		.amdhsa_user_sgpr_dispatch_ptr 0
		.amdhsa_user_sgpr_queue_ptr 0
		.amdhsa_user_sgpr_kernarg_segment_ptr 1
		.amdhsa_user_sgpr_dispatch_id 0
		.amdhsa_user_sgpr_flat_scratch_init 0
		.amdhsa_user_sgpr_private_segment_size 0
		.amdhsa_uses_dynamic_stack 0
		.amdhsa_system_sgpr_private_segment_wavefront_offset 0
		.amdhsa_system_sgpr_workgroup_id_x 1
		.amdhsa_system_sgpr_workgroup_id_y 0
		.amdhsa_system_sgpr_workgroup_id_z 0
		.amdhsa_system_sgpr_workgroup_info 0
		.amdhsa_system_vgpr_workitem_id 0
		.amdhsa_next_free_vgpr 55
		.amdhsa_next_free_sgpr 16
		.amdhsa_reserve_vcc 1
		.amdhsa_reserve_flat_scratch 0
		.amdhsa_float_round_mode_32 0
		.amdhsa_float_round_mode_16_64 0
		.amdhsa_float_denorm_mode_32 3
		.amdhsa_float_denorm_mode_16_64 3
		.amdhsa_dx10_clamp 1
		.amdhsa_ieee_mode 1
		.amdhsa_fp16_overflow 0
		.amdhsa_exception_fp_ieee_invalid_op 0
		.amdhsa_exception_fp_denorm_src 0
		.amdhsa_exception_fp_ieee_div_zero 0
		.amdhsa_exception_fp_ieee_overflow 0
		.amdhsa_exception_fp_ieee_underflow 0
		.amdhsa_exception_fp_ieee_inexact 0
		.amdhsa_exception_int_div_zero 0
	.end_amdhsa_kernel
	.section	.text._ZN9rocsparseL19gebsrmvn_4xn_kernelILj128ELj7ELj8EdEEvi20rocsparse_direction_NS_24const_host_device_scalarIT2_EEPKiS6_PKS3_S8_S4_PS3_21rocsparse_index_base_b,"axG",@progbits,_ZN9rocsparseL19gebsrmvn_4xn_kernelILj128ELj7ELj8EdEEvi20rocsparse_direction_NS_24const_host_device_scalarIT2_EEPKiS6_PKS3_S8_S4_PS3_21rocsparse_index_base_b,comdat
.Lfunc_end63:
	.size	_ZN9rocsparseL19gebsrmvn_4xn_kernelILj128ELj7ELj8EdEEvi20rocsparse_direction_NS_24const_host_device_scalarIT2_EEPKiS6_PKS3_S8_S4_PS3_21rocsparse_index_base_b, .Lfunc_end63-_ZN9rocsparseL19gebsrmvn_4xn_kernelILj128ELj7ELj8EdEEvi20rocsparse_direction_NS_24const_host_device_scalarIT2_EEPKiS6_PKS3_S8_S4_PS3_21rocsparse_index_base_b
                                        ; -- End function
	.set _ZN9rocsparseL19gebsrmvn_4xn_kernelILj128ELj7ELj8EdEEvi20rocsparse_direction_NS_24const_host_device_scalarIT2_EEPKiS6_PKS3_S8_S4_PS3_21rocsparse_index_base_b.num_vgpr, 55
	.set _ZN9rocsparseL19gebsrmvn_4xn_kernelILj128ELj7ELj8EdEEvi20rocsparse_direction_NS_24const_host_device_scalarIT2_EEPKiS6_PKS3_S8_S4_PS3_21rocsparse_index_base_b.num_agpr, 0
	.set _ZN9rocsparseL19gebsrmvn_4xn_kernelILj128ELj7ELj8EdEEvi20rocsparse_direction_NS_24const_host_device_scalarIT2_EEPKiS6_PKS3_S8_S4_PS3_21rocsparse_index_base_b.numbered_sgpr, 16
	.set _ZN9rocsparseL19gebsrmvn_4xn_kernelILj128ELj7ELj8EdEEvi20rocsparse_direction_NS_24const_host_device_scalarIT2_EEPKiS6_PKS3_S8_S4_PS3_21rocsparse_index_base_b.num_named_barrier, 0
	.set _ZN9rocsparseL19gebsrmvn_4xn_kernelILj128ELj7ELj8EdEEvi20rocsparse_direction_NS_24const_host_device_scalarIT2_EEPKiS6_PKS3_S8_S4_PS3_21rocsparse_index_base_b.private_seg_size, 0
	.set _ZN9rocsparseL19gebsrmvn_4xn_kernelILj128ELj7ELj8EdEEvi20rocsparse_direction_NS_24const_host_device_scalarIT2_EEPKiS6_PKS3_S8_S4_PS3_21rocsparse_index_base_b.uses_vcc, 1
	.set _ZN9rocsparseL19gebsrmvn_4xn_kernelILj128ELj7ELj8EdEEvi20rocsparse_direction_NS_24const_host_device_scalarIT2_EEPKiS6_PKS3_S8_S4_PS3_21rocsparse_index_base_b.uses_flat_scratch, 0
	.set _ZN9rocsparseL19gebsrmvn_4xn_kernelILj128ELj7ELj8EdEEvi20rocsparse_direction_NS_24const_host_device_scalarIT2_EEPKiS6_PKS3_S8_S4_PS3_21rocsparse_index_base_b.has_dyn_sized_stack, 0
	.set _ZN9rocsparseL19gebsrmvn_4xn_kernelILj128ELj7ELj8EdEEvi20rocsparse_direction_NS_24const_host_device_scalarIT2_EEPKiS6_PKS3_S8_S4_PS3_21rocsparse_index_base_b.has_recursion, 0
	.set _ZN9rocsparseL19gebsrmvn_4xn_kernelILj128ELj7ELj8EdEEvi20rocsparse_direction_NS_24const_host_device_scalarIT2_EEPKiS6_PKS3_S8_S4_PS3_21rocsparse_index_base_b.has_indirect_call, 0
	.section	.AMDGPU.csdata,"",@progbits
; Kernel info:
; codeLenInByte = 3120
; TotalNumSgprs: 20
; NumVgprs: 55
; ScratchSize: 0
; MemoryBound: 1
; FloatMode: 240
; IeeeMode: 1
; LDSByteSize: 0 bytes/workgroup (compile time only)
; SGPRBlocks: 2
; VGPRBlocks: 13
; NumSGPRsForWavesPerEU: 20
; NumVGPRsForWavesPerEU: 55
; Occupancy: 4
; WaveLimiterHint : 1
; COMPUTE_PGM_RSRC2:SCRATCH_EN: 0
; COMPUTE_PGM_RSRC2:USER_SGPR: 6
; COMPUTE_PGM_RSRC2:TRAP_HANDLER: 0
; COMPUTE_PGM_RSRC2:TGID_X_EN: 1
; COMPUTE_PGM_RSRC2:TGID_Y_EN: 0
; COMPUTE_PGM_RSRC2:TGID_Z_EN: 0
; COMPUTE_PGM_RSRC2:TIDIG_COMP_CNT: 0
	.section	.text._ZN9rocsparseL19gebsrmvn_4xn_kernelILj128ELj7ELj16EdEEvi20rocsparse_direction_NS_24const_host_device_scalarIT2_EEPKiS6_PKS3_S8_S4_PS3_21rocsparse_index_base_b,"axG",@progbits,_ZN9rocsparseL19gebsrmvn_4xn_kernelILj128ELj7ELj16EdEEvi20rocsparse_direction_NS_24const_host_device_scalarIT2_EEPKiS6_PKS3_S8_S4_PS3_21rocsparse_index_base_b,comdat
	.globl	_ZN9rocsparseL19gebsrmvn_4xn_kernelILj128ELj7ELj16EdEEvi20rocsparse_direction_NS_24const_host_device_scalarIT2_EEPKiS6_PKS3_S8_S4_PS3_21rocsparse_index_base_b ; -- Begin function _ZN9rocsparseL19gebsrmvn_4xn_kernelILj128ELj7ELj16EdEEvi20rocsparse_direction_NS_24const_host_device_scalarIT2_EEPKiS6_PKS3_S8_S4_PS3_21rocsparse_index_base_b
	.p2align	8
	.type	_ZN9rocsparseL19gebsrmvn_4xn_kernelILj128ELj7ELj16EdEEvi20rocsparse_direction_NS_24const_host_device_scalarIT2_EEPKiS6_PKS3_S8_S4_PS3_21rocsparse_index_base_b,@function
_ZN9rocsparseL19gebsrmvn_4xn_kernelILj128ELj7ELj16EdEEvi20rocsparse_direction_NS_24const_host_device_scalarIT2_EEPKiS6_PKS3_S8_S4_PS3_21rocsparse_index_base_b: ; @_ZN9rocsparseL19gebsrmvn_4xn_kernelILj128ELj7ELj16EdEEvi20rocsparse_direction_NS_24const_host_device_scalarIT2_EEPKiS6_PKS3_S8_S4_PS3_21rocsparse_index_base_b
; %bb.0:
	s_load_dwordx2 s[2:3], s[4:5], 0x40
	s_load_dwordx2 s[10:11], s[4:5], 0x8
	;; [unrolled: 1-line block ×3, first 2 shown]
	s_waitcnt lgkmcnt(0)
	s_bitcmp1_b32 s3, 0
	s_cselect_b64 s[12:13], -1, 0
	v_mov_b32_e32 v1, s10
	s_xor_b64 s[8:9], s[12:13], -1
	s_and_b64 vcc, exec, s[12:13]
	v_mov_b32_e32 v2, s11
	s_cbranch_vccnz .LBB64_2
; %bb.1:
	v_mov_b32_e32 v1, s10
	v_mov_b32_e32 v2, s11
	flat_load_dwordx2 v[1:2], v[1:2]
.LBB64_2:
	v_mov_b32_e32 v4, s1
	s_andn2_b64 vcc, exec, s[8:9]
	v_mov_b32_e32 v3, s0
	s_cbranch_vccnz .LBB64_4
; %bb.3:
	v_mov_b32_e32 v4, s1
	v_mov_b32_e32 v3, s0
	flat_load_dwordx2 v[3:4], v[3:4]
.LBB64_4:
	s_waitcnt vmcnt(0) lgkmcnt(0)
	v_cmp_neq_f64_e32 vcc, 0, v[1:2]
	v_cmp_neq_f64_e64 s[0:1], 1.0, v[3:4]
	s_or_b64 s[0:1], vcc, s[0:1]
	s_and_saveexec_b64 s[8:9], s[0:1]
	s_cbranch_execz .LBB64_23
; %bb.5:
	s_load_dwordx2 s[0:1], s[4:5], 0x0
	v_lshrrev_b32_e32 v5, 4, v0
	v_lshl_or_b32 v5, s6, 3, v5
	s_waitcnt lgkmcnt(0)
	v_cmp_gt_i32_e32 vcc, s0, v5
	s_and_b64 exec, exec, vcc
	s_cbranch_execz .LBB64_23
; %bb.6:
	s_load_dwordx8 s[8:15], s[4:5], 0x10
	v_ashrrev_i32_e32 v6, 31, v5
	v_lshlrev_b64 v[6:7], 2, v[5:6]
	v_and_b32_e32 v0, 15, v0
	s_cmp_lg_u32 s1, 0
	s_waitcnt lgkmcnt(0)
	v_mov_b32_e32 v8, s9
	v_add_co_u32_e32 v6, vcc, s8, v6
	v_addc_co_u32_e32 v7, vcc, v8, v7, vcc
	global_load_dwordx2 v[6:7], v[6:7], off
	s_waitcnt vmcnt(0)
	v_subrev_u32_e32 v6, s2, v6
	v_subrev_u32_e32 v22, s2, v7
	v_add_u32_e32 v6, v6, v0
	v_cmp_lt_i32_e64 s[0:1], v6, v22
	s_cbranch_scc0 .LBB64_12
; %bb.7:
	v_mov_b32_e32 v12, 0
	v_mov_b32_e32 v8, 0
	;; [unrolled: 1-line block ×8, first 2 shown]
	s_and_saveexec_b64 s[6:7], s[0:1]
	s_cbranch_execz .LBB64_11
; %bb.8:
	v_mad_u64_u32 v[16:17], s[8:9], v6, 28, 24
	v_mov_b32_e32 v12, 0
	v_mov_b32_e32 v8, 0
	v_mov_b32_e32 v10, 0
	v_mov_b32_e32 v14, 0
	v_mov_b32_e32 v13, 0
	s_mov_b64 s[8:9], 0
	v_mov_b32_e32 v7, s11
	v_mov_b32_e32 v19, 0
	;; [unrolled: 1-line block ×8, first 2 shown]
.LBB64_9:                               ; =>This Inner Loop Header: Depth=1
	v_ashrrev_i32_e32 v21, 31, v20
	v_lshlrev_b64 v[25:26], 2, v[20:21]
	v_subrev_u32_e32 v18, 24, v16
	v_lshlrev_b64 v[27:28], 3, v[18:19]
	v_add_co_u32_e32 v33, vcc, s10, v25
	v_mov_b32_e32 v17, v19
	v_addc_co_u32_e32 v34, vcc, v7, v26, vcc
	v_lshlrev_b64 v[29:30], 3, v[16:17]
	v_add_co_u32_e32 v35, vcc, s12, v27
	v_addc_co_u32_e32 v36, vcc, v23, v28, vcc
	v_add_co_u32_e32 v47, vcc, s12, v29
	v_addc_co_u32_e32 v48, vcc, v23, v30, vcc
	global_load_dword v21, v[33:34], off
	global_load_dwordx4 v[25:28], v[35:36], off
	global_load_dwordx4 v[29:32], v[35:36], off offset:16
	v_subrev_u32_e32 v18, 20, v16
	v_lshlrev_b64 v[17:18], 3, v[18:19]
	v_mov_b32_e32 v46, v19
	v_add_co_u32_e32 v17, vcc, s12, v17
	v_addc_co_u32_e32 v18, vcc, v23, v18, vcc
	global_load_dwordx4 v[33:36], v[47:48], off
	global_load_dwordx4 v[37:40], v[17:18], off
	v_add_u32_e32 v20, 16, v20
	s_waitcnt vmcnt(4)
	v_subrev_u32_e32 v21, s2, v21
	v_mul_lo_u32 v45, v21, 7
	v_lshlrev_b64 v[41:42], 3, v[45:46]
	v_add_co_u32_e32 v49, vcc, s14, v41
	v_addc_co_u32_e32 v50, vcc, v24, v42, vcc
	global_load_dwordx2 v[49:50], v[49:50], off
	s_waitcnt vmcnt(0)
	v_fma_f64 v[12:13], v[25:26], v[49:50], v[12:13]
	global_load_dwordx4 v[41:44], v[17:18], off offset:16
	v_add_u32_e32 v18, 1, v45
	v_lshlrev_b64 v[25:26], 3, v[18:19]
	v_fma_f64 v[14:15], v[27:28], v[49:50], v[14:15]
	v_add_co_u32_e32 v25, vcc, s14, v25
	v_addc_co_u32_e32 v26, vcc, v24, v26, vcc
	global_load_dwordx2 v[25:26], v[25:26], off
	v_fma_f64 v[29:30], v[29:30], v[49:50], v[10:11]
	v_add_u32_e32 v18, -16, v16
	v_lshlrev_b64 v[27:28], 3, v[18:19]
	v_add_u32_e32 v18, 2, v45
	v_fma_f64 v[31:32], v[31:32], v[49:50], v[8:9]
	v_lshlrev_b64 v[8:9], 3, v[18:19]
	v_add_co_u32_e32 v27, vcc, s12, v27
	v_addc_co_u32_e32 v28, vcc, v23, v28, vcc
	v_add_co_u32_e32 v51, vcc, s14, v8
	v_addc_co_u32_e32 v52, vcc, v24, v9, vcc
	v_add_u32_e32 v18, -12, v16
	v_lshlrev_b64 v[49:50], 3, v[18:19]
	v_add_u32_e32 v18, 3, v45
	s_waitcnt vmcnt(0)
	v_fma_f64 v[37:38], v[37:38], v[25:26], v[12:13]
	v_fma_f64 v[39:40], v[39:40], v[25:26], v[14:15]
	global_load_dwordx4 v[8:11], v[27:28], off
	global_load_dwordx4 v[12:15], v[27:28], off offset:16
	v_fma_f64 v[29:30], v[41:42], v[25:26], v[29:30]
	global_load_dwordx2 v[41:42], v[51:52], off
	v_fma_f64 v[31:32], v[43:44], v[25:26], v[31:32]
	v_lshlrev_b64 v[25:26], 3, v[18:19]
	v_add_co_u32_e32 v43, vcc, s12, v49
	v_addc_co_u32_e32 v44, vcc, v23, v50, vcc
	v_add_co_u32_e32 v51, vcc, s14, v25
	v_addc_co_u32_e32 v52, vcc, v24, v26, vcc
	v_add_u32_e32 v18, -8, v16
	v_lshlrev_b64 v[49:50], 3, v[18:19]
	v_add_u32_e32 v18, 4, v45
	s_waitcnt vmcnt(0)
	v_fma_f64 v[37:38], v[8:9], v[41:42], v[37:38]
	v_fma_f64 v[39:40], v[10:11], v[41:42], v[39:40]
	global_load_dwordx4 v[8:11], v[43:44], off
	global_load_dwordx4 v[25:28], v[43:44], off offset:16
	v_fma_f64 v[29:30], v[12:13], v[41:42], v[29:30]
	v_fma_f64 v[31:32], v[14:15], v[41:42], v[31:32]
	global_load_dwordx2 v[41:42], v[51:52], off
	v_lshlrev_b64 v[12:13], 3, v[18:19]
	v_add_co_u32_e32 v43, vcc, s12, v49
	v_add_u32_e32 v18, -4, v16
	v_addc_co_u32_e32 v44, vcc, v23, v50, vcc
	v_lshlrev_b64 v[14:15], 3, v[18:19]
	v_add_co_u32_e32 v49, vcc, s14, v12
	v_add_u32_e32 v18, 5, v45
	v_addc_co_u32_e32 v50, vcc, v24, v13, vcc
	v_lshlrev_b64 v[51:52], 3, v[18:19]
	v_add_u32_e32 v18, 6, v45
	v_add_co_u32_e32 v45, vcc, s12, v14
	v_addc_co_u32_e32 v46, vcc, v23, v15, vcc
	v_lshlrev_b64 v[17:18], 3, v[18:19]
	v_add_u32_e32 v16, 0x1c0, v16
	s_waitcnt vmcnt(0)
	v_fma_f64 v[37:38], v[8:9], v[41:42], v[37:38]
	v_fma_f64 v[39:40], v[10:11], v[41:42], v[39:40]
	global_load_dwordx4 v[8:11], v[43:44], off
	global_load_dwordx4 v[12:15], v[43:44], off offset:16
	global_load_dwordx2 v[53:54], v[49:50], off
	v_fma_f64 v[43:44], v[25:26], v[41:42], v[29:30]
	v_add_co_u32_e32 v29, vcc, s14, v51
	v_fma_f64 v[41:42], v[27:28], v[41:42], v[31:32]
	v_addc_co_u32_e32 v30, vcc, v24, v52, vcc
	global_load_dwordx4 v[25:28], v[45:46], off
	v_add_co_u32_e32 v17, vcc, s14, v17
	v_addc_co_u32_e32 v18, vcc, v24, v18, vcc
	v_cmp_ge_i32_e32 vcc, v20, v22
	s_or_b64 s[8:9], vcc, s[8:9]
	s_waitcnt vmcnt(1)
	v_fma_f64 v[37:38], v[8:9], v[53:54], v[37:38]
	v_fma_f64 v[39:40], v[10:11], v[53:54], v[39:40]
	global_load_dwordx4 v[8:11], v[45:46], off offset:16
	global_load_dwordx2 v[49:50], v[29:30], off
	s_nop 0
	global_load_dwordx4 v[29:32], v[47:48], off offset:16
	global_load_dwordx2 v[45:46], v[17:18], off
	v_fma_f64 v[12:13], v[12:13], v[53:54], v[43:44]
	v_fma_f64 v[14:15], v[14:15], v[53:54], v[41:42]
	s_waitcnt vmcnt(2)
	v_fma_f64 v[17:18], v[25:26], v[49:50], v[37:38]
	v_fma_f64 v[25:26], v[27:28], v[49:50], v[39:40]
	;; [unrolled: 1-line block ×4, first 2 shown]
	s_waitcnt vmcnt(0)
	v_fma_f64 v[12:13], v[33:34], v[45:46], v[17:18]
	v_fma_f64 v[14:15], v[35:36], v[45:46], v[25:26]
	;; [unrolled: 1-line block ×4, first 2 shown]
	s_andn2_b64 exec, exec, s[8:9]
	s_cbranch_execnz .LBB64_9
; %bb.10:
	s_or_b64 exec, exec, s[8:9]
.LBB64_11:
	s_or_b64 exec, exec, s[6:7]
	s_cbranch_execz .LBB64_13
	s_branch .LBB64_18
.LBB64_12:
                                        ; implicit-def: $vgpr12_vgpr13
                                        ; implicit-def: $vgpr8_vgpr9
                                        ; implicit-def: $vgpr10_vgpr11
                                        ; implicit-def: $vgpr14_vgpr15
.LBB64_13:
	v_mov_b32_e32 v12, 0
	v_mov_b32_e32 v8, 0
	;; [unrolled: 1-line block ×8, first 2 shown]
	s_and_saveexec_b64 s[6:7], s[0:1]
	s_cbranch_execz .LBB64_17
; %bb.14:
	v_mad_u64_u32 v[16:17], s[0:1], v6, 28, 27
	v_mov_b32_e32 v12, 0
	v_mov_b32_e32 v8, 0
	v_mov_b32_e32 v10, 0
	v_mov_b32_e32 v14, 0
	v_mov_b32_e32 v13, 0
	s_mov_b64 s[0:1], 0
	v_mov_b32_e32 v20, s11
	v_mov_b32_e32 v19, 0
	v_mov_b32_e32 v21, s13
	v_mov_b32_e32 v9, 0
	v_mov_b32_e32 v11, 0
	v_mov_b32_e32 v15, 0
	v_mov_b32_e32 v23, s15
.LBB64_15:                              ; =>This Inner Loop Header: Depth=1
	v_ashrrev_i32_e32 v7, 31, v6
	v_lshlrev_b64 v[30:31], 2, v[6:7]
	v_subrev_u32_e32 v18, 27, v16
	v_add_co_u32_e32 v30, vcc, s10, v30
	v_addc_co_u32_e32 v31, vcc, v20, v31, vcc
	global_load_dword v7, v[30:31], off
	v_lshlrev_b64 v[32:33], 3, v[18:19]
	v_subrev_u32_e32 v24, 20, v16
	v_mov_b32_e32 v25, v19
	v_lshlrev_b64 v[24:25], 3, v[24:25]
	v_add_co_u32_e32 v32, vcc, s12, v32
	v_add_u32_e32 v26, -13, v16
	v_mov_b32_e32 v27, v19
	v_addc_co_u32_e32 v33, vcc, v21, v33, vcc
	v_lshlrev_b64 v[26:27], 3, v[26:27]
	v_add_co_u32_e32 v24, vcc, s12, v24
	v_add_u32_e32 v28, -6, v16
	v_mov_b32_e32 v29, v19
	v_addc_co_u32_e32 v25, vcc, v21, v25, vcc
	v_lshlrev_b64 v[28:29], 3, v[28:29]
	v_add_co_u32_e32 v26, vcc, s12, v26
	v_mov_b32_e32 v17, v19
	v_addc_co_u32_e32 v27, vcc, v21, v27, vcc
	v_lshlrev_b64 v[17:18], 3, v[16:17]
	v_add_co_u32_e32 v28, vcc, s12, v28
	v_addc_co_u32_e32 v29, vcc, v21, v29, vcc
	v_add_co_u32_e32 v34, vcc, s12, v17
	v_addc_co_u32_e32 v35, vcc, v21, v18, vcc
	v_mov_b32_e32 v18, v19
	v_add_u32_e32 v6, 16, v6
	s_waitcnt vmcnt(0)
	v_subrev_u32_e32 v7, s2, v7
	v_mul_lo_u32 v17, v7, 7
	v_lshlrev_b64 v[30:31], 3, v[17:18]
	v_add_u32_e32 v18, 1, v17
	v_add_co_u32_e32 v30, vcc, s14, v30
	v_addc_co_u32_e32 v31, vcc, v23, v31, vcc
	global_load_dwordx2 v[38:39], v[24:25], off
	global_load_dwordx2 v[40:41], v[26:27], off
	;; [unrolled: 1-line block ×4, first 2 shown]
	v_lshlrev_b64 v[36:37], 3, v[18:19]
	v_subrev_u32_e32 v18, 19, v16
	v_add_co_u32_e32 v36, vcc, s14, v36
	v_addc_co_u32_e32 v37, vcc, v23, v37, vcc
	s_waitcnt vmcnt(0)
	v_fma_f64 v[28:29], v[40:41], v[44:45], v[10:11]
	v_fma_f64 v[30:31], v[42:43], v[44:45], v[8:9]
	global_load_dwordx4 v[7:10], v[32:33], off
	global_load_dwordx4 v[24:27], v[32:33], off offset:16
	v_fma_f64 v[14:15], v[38:39], v[44:45], v[14:15]
	s_waitcnt vmcnt(1)
	v_fma_f64 v[7:8], v[7:8], v[44:45], v[12:13]
	global_load_dwordx2 v[11:12], v[36:37], off
	s_waitcnt vmcnt(0)
	v_fma_f64 v[7:8], v[9:10], v[11:12], v[7:8]
	v_lshlrev_b64 v[9:10], 3, v[18:19]
	v_add_u32_e32 v18, -12, v16
	v_add_co_u32_e32 v9, vcc, s12, v9
	v_lshlrev_b64 v[32:33], 3, v[18:19]
	v_addc_co_u32_e32 v10, vcc, v21, v10, vcc
	v_add_u32_e32 v18, -5, v16
	v_add_co_u32_e32 v32, vcc, s12, v32
	v_lshlrev_b64 v[36:37], 3, v[18:19]
	v_addc_co_u32_e32 v33, vcc, v21, v33, vcc
	v_add_co_u32_e32 v36, vcc, s12, v36
	v_addc_co_u32_e32 v37, vcc, v21, v37, vcc
	global_load_dwordx2 v[38:39], v[9:10], off
	global_load_dwordx2 v[40:41], v[32:33], off
	;; [unrolled: 1-line block ×3, first 2 shown]
	v_add_u32_e32 v18, 2, v17
	s_waitcnt vmcnt(2)
	v_fma_f64 v[9:10], v[38:39], v[11:12], v[14:15]
	s_waitcnt vmcnt(1)
	v_fma_f64 v[13:14], v[40:41], v[11:12], v[28:29]
	v_lshlrev_b64 v[28:29], 3, v[18:19]
	v_subrev_u32_e32 v18, 18, v16
	s_waitcnt vmcnt(0)
	v_fma_f64 v[11:12], v[42:43], v[11:12], v[30:31]
	v_lshlrev_b64 v[30:31], 3, v[18:19]
	v_add_co_u32_e32 v28, vcc, s14, v28
	v_add_u32_e32 v18, -11, v16
	v_addc_co_u32_e32 v29, vcc, v23, v29, vcc
	v_add_co_u32_e32 v30, vcc, s12, v30
	v_lshlrev_b64 v[32:33], 3, v[18:19]
	v_addc_co_u32_e32 v31, vcc, v21, v31, vcc
	v_add_u32_e32 v18, -4, v16
	v_add_co_u32_e32 v32, vcc, s12, v32
	v_lshlrev_b64 v[36:37], 3, v[18:19]
	v_addc_co_u32_e32 v33, vcc, v21, v33, vcc
	v_add_co_u32_e32 v36, vcc, s12, v36
	v_addc_co_u32_e32 v37, vcc, v21, v37, vcc
	v_add_u32_e32 v18, 3, v17
	global_load_dwordx2 v[42:43], v[28:29], off
	global_load_dwordx2 v[44:45], v[30:31], off
	;; [unrolled: 1-line block ×4, first 2 shown]
	v_lshlrev_b64 v[38:39], 3, v[18:19]
	v_subrev_u32_e32 v18, 17, v16
	v_add_co_u32_e32 v38, vcc, s14, v38
	v_addc_co_u32_e32 v39, vcc, v23, v39, vcc
	global_load_dwordx2 v[28:29], v[38:39], off
	v_lshlrev_b64 v[40:41], 3, v[18:19]
	v_add_u32_e32 v18, -10, v16
	v_add_co_u32_e32 v40, vcc, s12, v40
	v_addc_co_u32_e32 v41, vcc, v21, v41, vcc
	s_waitcnt vmcnt(4)
	v_fma_f64 v[7:8], v[24:25], v[42:43], v[7:8]
	v_lshlrev_b64 v[24:25], 3, v[18:19]
	v_add_u32_e32 v18, -3, v16
	v_add_co_u32_e32 v24, vcc, s12, v24
	v_addc_co_u32_e32 v25, vcc, v21, v25, vcc
	s_waitcnt vmcnt(3)
	v_fma_f64 v[9:10], v[44:45], v[42:43], v[9:10]
	s_waitcnt vmcnt(2)
	v_fma_f64 v[13:14], v[46:47], v[42:43], v[13:14]
	;; [unrolled: 2-line block ×4, first 2 shown]
	v_lshlrev_b64 v[26:27], 3, v[18:19]
	v_subrev_u32_e32 v18, 23, v16
	v_add_co_u32_e32 v26, vcc, s12, v26
	v_lshlrev_b64 v[30:31], 3, v[18:19]
	v_addc_co_u32_e32 v27, vcc, v21, v27, vcc
	v_add_co_u32_e32 v30, vcc, s12, v30
	v_addc_co_u32_e32 v31, vcc, v21, v31, vcc
	global_load_dwordx2 v[36:37], v[40:41], off
	global_load_dwordx2 v[38:39], v[24:25], off
	;; [unrolled: 1-line block ×4, first 2 shown]
	v_add_u32_e32 v18, 4, v17
	v_lshlrev_b64 v[32:33], 3, v[18:19]
	v_add_u32_e32 v18, -16, v16
	v_add_co_u32_e32 v32, vcc, s14, v32
	v_addc_co_u32_e32 v33, vcc, v23, v33, vcc
	global_load_dwordx2 v[32:33], v[32:33], off
	v_lshlrev_b64 v[24:25], 3, v[18:19]
	v_add_u32_e32 v18, -9, v16
	v_lshlrev_b64 v[26:27], 3, v[18:19]
	v_add_co_u32_e32 v24, vcc, s12, v24
	v_add_u32_e32 v18, -2, v16
	v_addc_co_u32_e32 v25, vcc, v21, v25, vcc
	v_add_co_u32_e32 v26, vcc, s12, v26
	v_addc_co_u32_e32 v27, vcc, v21, v27, vcc
	s_waitcnt vmcnt(4)
	v_fma_f64 v[9:10], v[36:37], v[28:29], v[9:10]
	s_waitcnt vmcnt(3)
	v_fma_f64 v[13:14], v[38:39], v[28:29], v[13:14]
	;; [unrolled: 2-line block ×3, first 2 shown]
	v_lshlrev_b64 v[28:29], 3, v[18:19]
	v_subrev_u32_e32 v18, 22, v16
	v_add_co_u32_e32 v28, vcc, s12, v28
	v_lshlrev_b64 v[30:31], 3, v[18:19]
	v_addc_co_u32_e32 v29, vcc, v21, v29, vcc
	v_add_u32_e32 v18, 5, v17
	v_add_co_u32_e32 v30, vcc, s12, v30
	v_lshlrev_b64 v[36:37], 3, v[18:19]
	v_addc_co_u32_e32 v31, vcc, v21, v31, vcc
	v_add_co_u32_e32 v36, vcc, s14, v36
	v_addc_co_u32_e32 v37, vcc, v23, v37, vcc
	s_waitcnt vmcnt(0)
	v_fma_f64 v[7:8], v[44:45], v[32:33], v[7:8]
	global_load_dwordx2 v[38:39], v[24:25], off
	global_load_dwordx2 v[40:41], v[26:27], off
	;; [unrolled: 1-line block ×4, first 2 shown]
	v_add_u32_e32 v18, -15, v16
	global_load_dwordx2 v[36:37], v[36:37], off
	v_lshlrev_b64 v[24:25], 3, v[18:19]
	v_add_u32_e32 v18, -8, v16
	v_lshlrev_b64 v[26:27], 3, v[18:19]
	v_add_co_u32_e32 v24, vcc, s12, v24
	v_add_u32_e32 v18, -1, v16
	v_addc_co_u32_e32 v25, vcc, v21, v25, vcc
	v_add_co_u32_e32 v26, vcc, s12, v26
	v_lshlrev_b64 v[28:29], 3, v[18:19]
	v_addc_co_u32_e32 v27, vcc, v21, v27, vcc
	v_subrev_u32_e32 v18, 21, v16
	v_lshlrev_b64 v[30:31], 3, v[18:19]
	v_add_co_u32_e32 v28, vcc, s12, v28
	v_addc_co_u32_e32 v29, vcc, v21, v29, vcc
	v_add_co_u32_e32 v30, vcc, s12, v30
	v_addc_co_u32_e32 v31, vcc, v21, v31, vcc
	v_add_u32_e32 v18, 6, v17
	v_lshlrev_b64 v[17:18], 3, v[18:19]
	s_waitcnt vmcnt(4)
	v_fma_f64 v[9:10], v[38:39], v[32:33], v[9:10]
	s_waitcnt vmcnt(3)
	v_fma_f64 v[13:14], v[40:41], v[32:33], v[13:14]
	;; [unrolled: 2-line block ×3, first 2 shown]
	v_add_co_u32_e32 v32, vcc, s14, v17
	s_waitcnt vmcnt(0)
	v_fma_f64 v[7:8], v[44:45], v[36:37], v[7:8]
	global_load_dwordx2 v[40:41], v[24:25], off
	global_load_dwordx2 v[42:43], v[26:27], off
	;; [unrolled: 1-line block ×4, first 2 shown]
	v_addc_co_u32_e32 v33, vcc, v23, v18, vcc
	v_add_u32_e32 v18, -14, v16
	v_lshlrev_b64 v[17:18], 3, v[18:19]
	v_add_co_u32_e32 v38, vcc, s12, v17
	v_addc_co_u32_e32 v39, vcc, v21, v18, vcc
	v_add_u32_e32 v18, -7, v16
	v_lshlrev_b64 v[17:18], 3, v[18:19]
	v_add_u32_e32 v16, 0x1c0, v16
	v_add_co_u32_e32 v17, vcc, s12, v17
	v_addc_co_u32_e32 v18, vcc, v21, v18, vcc
	v_cmp_ge_i32_e32 vcc, v6, v22
	s_or_b64 s[0:1], vcc, s[0:1]
	s_waitcnt vmcnt(3)
	v_fma_f64 v[9:10], v[40:41], v[36:37], v[9:10]
	s_waitcnt vmcnt(2)
	v_fma_f64 v[24:25], v[42:43], v[36:37], v[13:14]
	global_load_dwordx2 v[26:27], v[32:33], off
	global_load_dwordx2 v[14:15], v[38:39], off
	;; [unrolled: 1-line block ×4, first 2 shown]
	s_waitcnt vmcnt(5)
	v_fma_f64 v[17:18], v[44:45], v[36:37], v[11:12]
	s_waitcnt vmcnt(3)
	v_fma_f64 v[12:13], v[46:47], v[26:27], v[7:8]
	;; [unrolled: 2-line block ×5, first 2 shown]
	s_andn2_b64 exec, exec, s[0:1]
	s_cbranch_execnz .LBB64_15
; %bb.16:
	s_or_b64 exec, exec, s[0:1]
.LBB64_17:
	s_or_b64 exec, exec, s[6:7]
.LBB64_18:
	v_mov_b32_dpp v6, v12 row_shr:1 row_mask:0xf bank_mask:0xf
	v_mov_b32_dpp v7, v13 row_shr:1 row_mask:0xf bank_mask:0xf
	v_add_f64 v[6:7], v[12:13], v[6:7]
	v_mov_b32_dpp v12, v14 row_shr:1 row_mask:0xf bank_mask:0xf
	v_mov_b32_dpp v13, v15 row_shr:1 row_mask:0xf bank_mask:0xf
	;; [unrolled: 1-line block ×3, first 2 shown]
	v_add_f64 v[12:13], v[14:15], v[12:13]
	v_mov_b32_dpp v17, v11 row_shr:1 row_mask:0xf bank_mask:0xf
	v_add_f64 v[10:11], v[10:11], v[16:17]
	v_cmp_eq_u32_e32 vcc, 15, v0
	v_mov_b32_dpp v14, v6 row_shr:2 row_mask:0xf bank_mask:0xf
	v_mov_b32_dpp v15, v7 row_shr:2 row_mask:0xf bank_mask:0xf
	v_add_f64 v[6:7], v[6:7], v[14:15]
	v_mov_b32_dpp v14, v8 row_shr:1 row_mask:0xf bank_mask:0xf
	v_mov_b32_dpp v15, v9 row_shr:1 row_mask:0xf bank_mask:0xf
	v_add_f64 v[8:9], v[8:9], v[14:15]
	;; [unrolled: 3-line block ×4, first 2 shown]
	v_mov_b32_dpp v16, v6 row_shr:4 row_mask:0xf bank_mask:0xe
	v_mov_b32_dpp v14, v8 row_shr:2 row_mask:0xf bank_mask:0xf
	;; [unrolled: 1-line block ×3, first 2 shown]
	v_add_f64 v[18:19], v[8:9], v[14:15]
	v_mov_b32_dpp v8, v12 row_shr:4 row_mask:0xf bank_mask:0xe
	v_mov_b32_dpp v9, v13 row_shr:4 row_mask:0xf bank_mask:0xe
	v_add_f64 v[8:9], v[12:13], v[8:9]
	v_mov_b32_dpp v12, v10 row_shr:4 row_mask:0xf bank_mask:0xe
	v_mov_b32_dpp v13, v11 row_shr:4 row_mask:0xf bank_mask:0xe
	;; [unrolled: 1-line block ×3, first 2 shown]
	v_add_f64 v[14:15], v[10:11], v[12:13]
	v_mov_b32_dpp v10, v18 row_shr:4 row_mask:0xf bank_mask:0xe
	v_mov_b32_dpp v11, v19 row_shr:4 row_mask:0xf bank_mask:0xe
	v_add_f64 v[6:7], v[6:7], v[16:17]
	v_add_f64 v[16:17], v[18:19], v[10:11]
	v_mov_b32_dpp v10, v8 row_shr:8 row_mask:0xf bank_mask:0xc
	v_mov_b32_dpp v11, v9 row_shr:8 row_mask:0xf bank_mask:0xc
	;; [unrolled: 1-line block ×8, first 2 shown]
	s_and_b64 exec, exec, vcc
	s_cbranch_execz .LBB64_23
; %bb.19:
	v_add_f64 v[12:13], v[6:7], v[12:13]
	v_add_f64 v[10:11], v[8:9], v[10:11]
	;; [unrolled: 1-line block ×4, first 2 shown]
	v_cmp_eq_f64_e32 vcc, 0, v[3:4]
	s_load_dwordx2 s[0:1], s[4:5], 0x38
	s_and_saveexec_b64 s[2:3], vcc
	s_xor_b64 s[2:3], exec, s[2:3]
	s_cbranch_execz .LBB64_21
; %bb.20:
	v_mul_f64 v[12:13], v[1:2], v[12:13]
	v_mul_f64 v[14:15], v[1:2], v[10:11]
	v_lshlrev_b32_e32 v16, 2, v5
	v_mul_f64 v[3:4], v[1:2], v[6:7]
	v_mul_f64 v[5:6], v[1:2], v[8:9]
	v_ashrrev_i32_e32 v17, 31, v16
	v_lshlrev_b64 v[0:1], 3, v[16:17]
	s_waitcnt lgkmcnt(0)
	v_mov_b32_e32 v2, s1
	v_add_co_u32_e32 v0, vcc, s0, v0
	v_addc_co_u32_e32 v1, vcc, v2, v1, vcc
	global_store_dwordx4 v[0:1], v[12:15], off
	global_store_dwordx4 v[0:1], v[3:6], off offset:16
                                        ; implicit-def: $vgpr5
                                        ; implicit-def: $vgpr1_vgpr2
                                        ; implicit-def: $vgpr12_vgpr13
                                        ; implicit-def: $vgpr3_vgpr4
                                        ; implicit-def: $vgpr10_vgpr11
                                        ; implicit-def: $vgpr6_vgpr7
                                        ; implicit-def: $vgpr8_vgpr9
.LBB64_21:
	s_andn2_saveexec_b64 s[2:3], s[2:3]
	s_cbranch_execz .LBB64_23
; %bb.22:
	v_lshlrev_b32_e32 v14, 2, v5
	v_ashrrev_i32_e32 v15, 31, v14
	v_lshlrev_b64 v[14:15], 3, v[14:15]
	s_waitcnt lgkmcnt(0)
	v_mov_b32_e32 v0, s1
	v_add_co_u32_e32 v22, vcc, s0, v14
	v_addc_co_u32_e32 v23, vcc, v0, v15, vcc
	global_load_dwordx4 v[14:17], v[22:23], off
	global_load_dwordx4 v[18:21], v[22:23], off offset:16
	v_mul_f64 v[12:13], v[1:2], v[12:13]
	v_mul_f64 v[10:11], v[1:2], v[10:11]
	;; [unrolled: 1-line block ×4, first 2 shown]
	s_waitcnt vmcnt(1)
	v_fma_f64 v[5:6], v[3:4], v[14:15], v[12:13]
	v_fma_f64 v[7:8], v[3:4], v[16:17], v[10:11]
	s_waitcnt vmcnt(0)
	v_fma_f64 v[0:1], v[3:4], v[18:19], v[24:25]
	v_fma_f64 v[2:3], v[3:4], v[20:21], v[26:27]
	global_store_dwordx4 v[22:23], v[5:8], off
	global_store_dwordx4 v[22:23], v[0:3], off offset:16
.LBB64_23:
	s_endpgm
	.section	.rodata,"a",@progbits
	.p2align	6, 0x0
	.amdhsa_kernel _ZN9rocsparseL19gebsrmvn_4xn_kernelILj128ELj7ELj16EdEEvi20rocsparse_direction_NS_24const_host_device_scalarIT2_EEPKiS6_PKS3_S8_S4_PS3_21rocsparse_index_base_b
		.amdhsa_group_segment_fixed_size 0
		.amdhsa_private_segment_fixed_size 0
		.amdhsa_kernarg_size 72
		.amdhsa_user_sgpr_count 6
		.amdhsa_user_sgpr_private_segment_buffer 1
		.amdhsa_user_sgpr_dispatch_ptr 0
		.amdhsa_user_sgpr_queue_ptr 0
		.amdhsa_user_sgpr_kernarg_segment_ptr 1
		.amdhsa_user_sgpr_dispatch_id 0
		.amdhsa_user_sgpr_flat_scratch_init 0
		.amdhsa_user_sgpr_private_segment_size 0
		.amdhsa_uses_dynamic_stack 0
		.amdhsa_system_sgpr_private_segment_wavefront_offset 0
		.amdhsa_system_sgpr_workgroup_id_x 1
		.amdhsa_system_sgpr_workgroup_id_y 0
		.amdhsa_system_sgpr_workgroup_id_z 0
		.amdhsa_system_sgpr_workgroup_info 0
		.amdhsa_system_vgpr_workitem_id 0
		.amdhsa_next_free_vgpr 55
		.amdhsa_next_free_sgpr 16
		.amdhsa_reserve_vcc 1
		.amdhsa_reserve_flat_scratch 0
		.amdhsa_float_round_mode_32 0
		.amdhsa_float_round_mode_16_64 0
		.amdhsa_float_denorm_mode_32 3
		.amdhsa_float_denorm_mode_16_64 3
		.amdhsa_dx10_clamp 1
		.amdhsa_ieee_mode 1
		.amdhsa_fp16_overflow 0
		.amdhsa_exception_fp_ieee_invalid_op 0
		.amdhsa_exception_fp_denorm_src 0
		.amdhsa_exception_fp_ieee_div_zero 0
		.amdhsa_exception_fp_ieee_overflow 0
		.amdhsa_exception_fp_ieee_underflow 0
		.amdhsa_exception_fp_ieee_inexact 0
		.amdhsa_exception_int_div_zero 0
	.end_amdhsa_kernel
	.section	.text._ZN9rocsparseL19gebsrmvn_4xn_kernelILj128ELj7ELj16EdEEvi20rocsparse_direction_NS_24const_host_device_scalarIT2_EEPKiS6_PKS3_S8_S4_PS3_21rocsparse_index_base_b,"axG",@progbits,_ZN9rocsparseL19gebsrmvn_4xn_kernelILj128ELj7ELj16EdEEvi20rocsparse_direction_NS_24const_host_device_scalarIT2_EEPKiS6_PKS3_S8_S4_PS3_21rocsparse_index_base_b,comdat
.Lfunc_end64:
	.size	_ZN9rocsparseL19gebsrmvn_4xn_kernelILj128ELj7ELj16EdEEvi20rocsparse_direction_NS_24const_host_device_scalarIT2_EEPKiS6_PKS3_S8_S4_PS3_21rocsparse_index_base_b, .Lfunc_end64-_ZN9rocsparseL19gebsrmvn_4xn_kernelILj128ELj7ELj16EdEEvi20rocsparse_direction_NS_24const_host_device_scalarIT2_EEPKiS6_PKS3_S8_S4_PS3_21rocsparse_index_base_b
                                        ; -- End function
	.set _ZN9rocsparseL19gebsrmvn_4xn_kernelILj128ELj7ELj16EdEEvi20rocsparse_direction_NS_24const_host_device_scalarIT2_EEPKiS6_PKS3_S8_S4_PS3_21rocsparse_index_base_b.num_vgpr, 55
	.set _ZN9rocsparseL19gebsrmvn_4xn_kernelILj128ELj7ELj16EdEEvi20rocsparse_direction_NS_24const_host_device_scalarIT2_EEPKiS6_PKS3_S8_S4_PS3_21rocsparse_index_base_b.num_agpr, 0
	.set _ZN9rocsparseL19gebsrmvn_4xn_kernelILj128ELj7ELj16EdEEvi20rocsparse_direction_NS_24const_host_device_scalarIT2_EEPKiS6_PKS3_S8_S4_PS3_21rocsparse_index_base_b.numbered_sgpr, 16
	.set _ZN9rocsparseL19gebsrmvn_4xn_kernelILj128ELj7ELj16EdEEvi20rocsparse_direction_NS_24const_host_device_scalarIT2_EEPKiS6_PKS3_S8_S4_PS3_21rocsparse_index_base_b.num_named_barrier, 0
	.set _ZN9rocsparseL19gebsrmvn_4xn_kernelILj128ELj7ELj16EdEEvi20rocsparse_direction_NS_24const_host_device_scalarIT2_EEPKiS6_PKS3_S8_S4_PS3_21rocsparse_index_base_b.private_seg_size, 0
	.set _ZN9rocsparseL19gebsrmvn_4xn_kernelILj128ELj7ELj16EdEEvi20rocsparse_direction_NS_24const_host_device_scalarIT2_EEPKiS6_PKS3_S8_S4_PS3_21rocsparse_index_base_b.uses_vcc, 1
	.set _ZN9rocsparseL19gebsrmvn_4xn_kernelILj128ELj7ELj16EdEEvi20rocsparse_direction_NS_24const_host_device_scalarIT2_EEPKiS6_PKS3_S8_S4_PS3_21rocsparse_index_base_b.uses_flat_scratch, 0
	.set _ZN9rocsparseL19gebsrmvn_4xn_kernelILj128ELj7ELj16EdEEvi20rocsparse_direction_NS_24const_host_device_scalarIT2_EEPKiS6_PKS3_S8_S4_PS3_21rocsparse_index_base_b.has_dyn_sized_stack, 0
	.set _ZN9rocsparseL19gebsrmvn_4xn_kernelILj128ELj7ELj16EdEEvi20rocsparse_direction_NS_24const_host_device_scalarIT2_EEPKiS6_PKS3_S8_S4_PS3_21rocsparse_index_base_b.has_recursion, 0
	.set _ZN9rocsparseL19gebsrmvn_4xn_kernelILj128ELj7ELj16EdEEvi20rocsparse_direction_NS_24const_host_device_scalarIT2_EEPKiS6_PKS3_S8_S4_PS3_21rocsparse_index_base_b.has_indirect_call, 0
	.section	.AMDGPU.csdata,"",@progbits
; Kernel info:
; codeLenInByte = 3216
; TotalNumSgprs: 20
; NumVgprs: 55
; ScratchSize: 0
; MemoryBound: 1
; FloatMode: 240
; IeeeMode: 1
; LDSByteSize: 0 bytes/workgroup (compile time only)
; SGPRBlocks: 2
; VGPRBlocks: 13
; NumSGPRsForWavesPerEU: 20
; NumVGPRsForWavesPerEU: 55
; Occupancy: 4
; WaveLimiterHint : 1
; COMPUTE_PGM_RSRC2:SCRATCH_EN: 0
; COMPUTE_PGM_RSRC2:USER_SGPR: 6
; COMPUTE_PGM_RSRC2:TRAP_HANDLER: 0
; COMPUTE_PGM_RSRC2:TGID_X_EN: 1
; COMPUTE_PGM_RSRC2:TGID_Y_EN: 0
; COMPUTE_PGM_RSRC2:TGID_Z_EN: 0
; COMPUTE_PGM_RSRC2:TIDIG_COMP_CNT: 0
	.section	.text._ZN9rocsparseL19gebsrmvn_4xn_kernelILj128ELj7ELj32EdEEvi20rocsparse_direction_NS_24const_host_device_scalarIT2_EEPKiS6_PKS3_S8_S4_PS3_21rocsparse_index_base_b,"axG",@progbits,_ZN9rocsparseL19gebsrmvn_4xn_kernelILj128ELj7ELj32EdEEvi20rocsparse_direction_NS_24const_host_device_scalarIT2_EEPKiS6_PKS3_S8_S4_PS3_21rocsparse_index_base_b,comdat
	.globl	_ZN9rocsparseL19gebsrmvn_4xn_kernelILj128ELj7ELj32EdEEvi20rocsparse_direction_NS_24const_host_device_scalarIT2_EEPKiS6_PKS3_S8_S4_PS3_21rocsparse_index_base_b ; -- Begin function _ZN9rocsparseL19gebsrmvn_4xn_kernelILj128ELj7ELj32EdEEvi20rocsparse_direction_NS_24const_host_device_scalarIT2_EEPKiS6_PKS3_S8_S4_PS3_21rocsparse_index_base_b
	.p2align	8
	.type	_ZN9rocsparseL19gebsrmvn_4xn_kernelILj128ELj7ELj32EdEEvi20rocsparse_direction_NS_24const_host_device_scalarIT2_EEPKiS6_PKS3_S8_S4_PS3_21rocsparse_index_base_b,@function
_ZN9rocsparseL19gebsrmvn_4xn_kernelILj128ELj7ELj32EdEEvi20rocsparse_direction_NS_24const_host_device_scalarIT2_EEPKiS6_PKS3_S8_S4_PS3_21rocsparse_index_base_b: ; @_ZN9rocsparseL19gebsrmvn_4xn_kernelILj128ELj7ELj32EdEEvi20rocsparse_direction_NS_24const_host_device_scalarIT2_EEPKiS6_PKS3_S8_S4_PS3_21rocsparse_index_base_b
; %bb.0:
	s_load_dwordx2 s[2:3], s[4:5], 0x40
	s_load_dwordx2 s[10:11], s[4:5], 0x8
	s_load_dwordx2 s[0:1], s[4:5], 0x30
	s_waitcnt lgkmcnt(0)
	s_bitcmp1_b32 s3, 0
	s_cselect_b64 s[12:13], -1, 0
	v_mov_b32_e32 v1, s10
	s_xor_b64 s[8:9], s[12:13], -1
	s_and_b64 vcc, exec, s[12:13]
	v_mov_b32_e32 v2, s11
	s_cbranch_vccnz .LBB65_2
; %bb.1:
	v_mov_b32_e32 v1, s10
	v_mov_b32_e32 v2, s11
	flat_load_dwordx2 v[1:2], v[1:2]
.LBB65_2:
	v_mov_b32_e32 v4, s1
	s_andn2_b64 vcc, exec, s[8:9]
	v_mov_b32_e32 v3, s0
	s_cbranch_vccnz .LBB65_4
; %bb.3:
	v_mov_b32_e32 v4, s1
	v_mov_b32_e32 v3, s0
	flat_load_dwordx2 v[3:4], v[3:4]
.LBB65_4:
	s_waitcnt vmcnt(0) lgkmcnt(0)
	v_cmp_neq_f64_e32 vcc, 0, v[1:2]
	v_cmp_neq_f64_e64 s[0:1], 1.0, v[3:4]
	s_or_b64 s[0:1], vcc, s[0:1]
	s_and_saveexec_b64 s[8:9], s[0:1]
	s_cbranch_execz .LBB65_23
; %bb.5:
	s_load_dwordx2 s[0:1], s[4:5], 0x0
	v_lshrrev_b32_e32 v5, 5, v0
	v_lshl_or_b32 v5, s6, 2, v5
	s_waitcnt lgkmcnt(0)
	v_cmp_gt_i32_e32 vcc, s0, v5
	s_and_b64 exec, exec, vcc
	s_cbranch_execz .LBB65_23
; %bb.6:
	s_load_dwordx8 s[8:15], s[4:5], 0x10
	v_ashrrev_i32_e32 v6, 31, v5
	v_lshlrev_b64 v[6:7], 2, v[5:6]
	v_and_b32_e32 v0, 31, v0
	s_cmp_lg_u32 s1, 0
	s_waitcnt lgkmcnt(0)
	v_mov_b32_e32 v8, s9
	v_add_co_u32_e32 v6, vcc, s8, v6
	v_addc_co_u32_e32 v7, vcc, v8, v7, vcc
	global_load_dwordx2 v[6:7], v[6:7], off
	s_waitcnt vmcnt(0)
	v_subrev_u32_e32 v6, s2, v6
	v_subrev_u32_e32 v22, s2, v7
	v_add_u32_e32 v6, v6, v0
	v_cmp_lt_i32_e64 s[0:1], v6, v22
	s_cbranch_scc0 .LBB65_12
; %bb.7:
	v_mov_b32_e32 v12, 0
	v_mov_b32_e32 v8, 0
	;; [unrolled: 1-line block ×8, first 2 shown]
	s_and_saveexec_b64 s[6:7], s[0:1]
	s_cbranch_execz .LBB65_11
; %bb.8:
	v_mad_u64_u32 v[16:17], s[8:9], v6, 28, 24
	v_mov_b32_e32 v12, 0
	v_mov_b32_e32 v8, 0
	;; [unrolled: 1-line block ×5, first 2 shown]
	s_mov_b64 s[8:9], 0
	v_mov_b32_e32 v7, s11
	v_mov_b32_e32 v19, 0
	v_mov_b32_e32 v23, s13
	v_mov_b32_e32 v24, s15
	v_mov_b32_e32 v9, 0
	v_mov_b32_e32 v11, 0
	v_mov_b32_e32 v15, 0
	v_mov_b32_e32 v20, v6
.LBB65_9:                               ; =>This Inner Loop Header: Depth=1
	v_ashrrev_i32_e32 v21, 31, v20
	v_lshlrev_b64 v[25:26], 2, v[20:21]
	v_subrev_u32_e32 v18, 24, v16
	v_lshlrev_b64 v[27:28], 3, v[18:19]
	v_add_co_u32_e32 v33, vcc, s10, v25
	v_mov_b32_e32 v17, v19
	v_addc_co_u32_e32 v34, vcc, v7, v26, vcc
	v_lshlrev_b64 v[29:30], 3, v[16:17]
	v_add_co_u32_e32 v35, vcc, s12, v27
	v_addc_co_u32_e32 v36, vcc, v23, v28, vcc
	v_add_co_u32_e32 v47, vcc, s12, v29
	v_addc_co_u32_e32 v48, vcc, v23, v30, vcc
	global_load_dword v21, v[33:34], off
	global_load_dwordx4 v[25:28], v[35:36], off
	global_load_dwordx4 v[29:32], v[35:36], off offset:16
	v_subrev_u32_e32 v18, 20, v16
	v_lshlrev_b64 v[17:18], 3, v[18:19]
	v_mov_b32_e32 v46, v19
	v_add_co_u32_e32 v17, vcc, s12, v17
	v_addc_co_u32_e32 v18, vcc, v23, v18, vcc
	global_load_dwordx4 v[33:36], v[47:48], off
	global_load_dwordx4 v[37:40], v[17:18], off
	v_add_u32_e32 v20, 32, v20
	s_waitcnt vmcnt(4)
	v_subrev_u32_e32 v21, s2, v21
	v_mul_lo_u32 v45, v21, 7
	v_lshlrev_b64 v[41:42], 3, v[45:46]
	v_add_co_u32_e32 v49, vcc, s14, v41
	v_addc_co_u32_e32 v50, vcc, v24, v42, vcc
	global_load_dwordx2 v[49:50], v[49:50], off
	s_waitcnt vmcnt(0)
	v_fma_f64 v[12:13], v[25:26], v[49:50], v[12:13]
	global_load_dwordx4 v[41:44], v[17:18], off offset:16
	v_add_u32_e32 v18, 1, v45
	v_lshlrev_b64 v[25:26], 3, v[18:19]
	v_fma_f64 v[14:15], v[27:28], v[49:50], v[14:15]
	v_add_co_u32_e32 v25, vcc, s14, v25
	v_addc_co_u32_e32 v26, vcc, v24, v26, vcc
	global_load_dwordx2 v[25:26], v[25:26], off
	v_fma_f64 v[29:30], v[29:30], v[49:50], v[10:11]
	v_add_u32_e32 v18, -16, v16
	v_lshlrev_b64 v[27:28], 3, v[18:19]
	v_add_u32_e32 v18, 2, v45
	v_fma_f64 v[31:32], v[31:32], v[49:50], v[8:9]
	v_lshlrev_b64 v[8:9], 3, v[18:19]
	v_add_co_u32_e32 v27, vcc, s12, v27
	v_addc_co_u32_e32 v28, vcc, v23, v28, vcc
	v_add_co_u32_e32 v51, vcc, s14, v8
	v_addc_co_u32_e32 v52, vcc, v24, v9, vcc
	v_add_u32_e32 v18, -12, v16
	v_lshlrev_b64 v[49:50], 3, v[18:19]
	v_add_u32_e32 v18, 3, v45
	s_waitcnt vmcnt(0)
	v_fma_f64 v[37:38], v[37:38], v[25:26], v[12:13]
	v_fma_f64 v[39:40], v[39:40], v[25:26], v[14:15]
	global_load_dwordx4 v[8:11], v[27:28], off
	global_load_dwordx4 v[12:15], v[27:28], off offset:16
	v_fma_f64 v[29:30], v[41:42], v[25:26], v[29:30]
	global_load_dwordx2 v[41:42], v[51:52], off
	v_fma_f64 v[31:32], v[43:44], v[25:26], v[31:32]
	v_lshlrev_b64 v[25:26], 3, v[18:19]
	v_add_co_u32_e32 v43, vcc, s12, v49
	v_addc_co_u32_e32 v44, vcc, v23, v50, vcc
	v_add_co_u32_e32 v51, vcc, s14, v25
	v_addc_co_u32_e32 v52, vcc, v24, v26, vcc
	v_add_u32_e32 v18, -8, v16
	v_lshlrev_b64 v[49:50], 3, v[18:19]
	v_add_u32_e32 v18, 4, v45
	s_waitcnt vmcnt(0)
	v_fma_f64 v[37:38], v[8:9], v[41:42], v[37:38]
	v_fma_f64 v[39:40], v[10:11], v[41:42], v[39:40]
	global_load_dwordx4 v[8:11], v[43:44], off
	global_load_dwordx4 v[25:28], v[43:44], off offset:16
	v_fma_f64 v[29:30], v[12:13], v[41:42], v[29:30]
	v_fma_f64 v[31:32], v[14:15], v[41:42], v[31:32]
	global_load_dwordx2 v[41:42], v[51:52], off
	v_lshlrev_b64 v[12:13], 3, v[18:19]
	v_add_co_u32_e32 v43, vcc, s12, v49
	v_add_u32_e32 v18, -4, v16
	v_addc_co_u32_e32 v44, vcc, v23, v50, vcc
	v_lshlrev_b64 v[14:15], 3, v[18:19]
	v_add_co_u32_e32 v49, vcc, s14, v12
	v_add_u32_e32 v18, 5, v45
	v_addc_co_u32_e32 v50, vcc, v24, v13, vcc
	v_lshlrev_b64 v[51:52], 3, v[18:19]
	v_add_u32_e32 v18, 6, v45
	v_add_co_u32_e32 v45, vcc, s12, v14
	v_addc_co_u32_e32 v46, vcc, v23, v15, vcc
	v_lshlrev_b64 v[17:18], 3, v[18:19]
	v_add_u32_e32 v16, 0x380, v16
	s_waitcnt vmcnt(0)
	v_fma_f64 v[37:38], v[8:9], v[41:42], v[37:38]
	v_fma_f64 v[39:40], v[10:11], v[41:42], v[39:40]
	global_load_dwordx4 v[8:11], v[43:44], off
	global_load_dwordx4 v[12:15], v[43:44], off offset:16
	global_load_dwordx2 v[53:54], v[49:50], off
	v_fma_f64 v[43:44], v[25:26], v[41:42], v[29:30]
	v_add_co_u32_e32 v29, vcc, s14, v51
	v_fma_f64 v[41:42], v[27:28], v[41:42], v[31:32]
	v_addc_co_u32_e32 v30, vcc, v24, v52, vcc
	global_load_dwordx4 v[25:28], v[45:46], off
	v_add_co_u32_e32 v17, vcc, s14, v17
	v_addc_co_u32_e32 v18, vcc, v24, v18, vcc
	v_cmp_ge_i32_e32 vcc, v20, v22
	s_or_b64 s[8:9], vcc, s[8:9]
	s_waitcnt vmcnt(1)
	v_fma_f64 v[37:38], v[8:9], v[53:54], v[37:38]
	v_fma_f64 v[39:40], v[10:11], v[53:54], v[39:40]
	global_load_dwordx4 v[8:11], v[45:46], off offset:16
	global_load_dwordx2 v[49:50], v[29:30], off
	s_nop 0
	global_load_dwordx4 v[29:32], v[47:48], off offset:16
	global_load_dwordx2 v[45:46], v[17:18], off
	v_fma_f64 v[12:13], v[12:13], v[53:54], v[43:44]
	v_fma_f64 v[14:15], v[14:15], v[53:54], v[41:42]
	s_waitcnt vmcnt(2)
	v_fma_f64 v[17:18], v[25:26], v[49:50], v[37:38]
	v_fma_f64 v[25:26], v[27:28], v[49:50], v[39:40]
	;; [unrolled: 1-line block ×4, first 2 shown]
	s_waitcnt vmcnt(0)
	v_fma_f64 v[12:13], v[33:34], v[45:46], v[17:18]
	v_fma_f64 v[14:15], v[35:36], v[45:46], v[25:26]
	;; [unrolled: 1-line block ×4, first 2 shown]
	s_andn2_b64 exec, exec, s[8:9]
	s_cbranch_execnz .LBB65_9
; %bb.10:
	s_or_b64 exec, exec, s[8:9]
.LBB65_11:
	s_or_b64 exec, exec, s[6:7]
	s_cbranch_execz .LBB65_13
	s_branch .LBB65_18
.LBB65_12:
                                        ; implicit-def: $vgpr12_vgpr13
                                        ; implicit-def: $vgpr8_vgpr9
                                        ; implicit-def: $vgpr10_vgpr11
                                        ; implicit-def: $vgpr14_vgpr15
.LBB65_13:
	v_mov_b32_e32 v12, 0
	v_mov_b32_e32 v8, 0
	;; [unrolled: 1-line block ×8, first 2 shown]
	s_and_saveexec_b64 s[6:7], s[0:1]
	s_cbranch_execz .LBB65_17
; %bb.14:
	v_mad_u64_u32 v[16:17], s[0:1], v6, 28, 27
	v_mov_b32_e32 v12, 0
	v_mov_b32_e32 v8, 0
	;; [unrolled: 1-line block ×5, first 2 shown]
	s_mov_b64 s[0:1], 0
	v_mov_b32_e32 v20, s11
	v_mov_b32_e32 v19, 0
	;; [unrolled: 1-line block ×7, first 2 shown]
.LBB65_15:                              ; =>This Inner Loop Header: Depth=1
	v_ashrrev_i32_e32 v7, 31, v6
	v_lshlrev_b64 v[30:31], 2, v[6:7]
	v_subrev_u32_e32 v18, 27, v16
	v_add_co_u32_e32 v30, vcc, s10, v30
	v_addc_co_u32_e32 v31, vcc, v20, v31, vcc
	global_load_dword v7, v[30:31], off
	v_lshlrev_b64 v[32:33], 3, v[18:19]
	v_subrev_u32_e32 v24, 20, v16
	v_mov_b32_e32 v25, v19
	v_lshlrev_b64 v[24:25], 3, v[24:25]
	v_add_co_u32_e32 v32, vcc, s12, v32
	v_add_u32_e32 v26, -13, v16
	v_mov_b32_e32 v27, v19
	v_addc_co_u32_e32 v33, vcc, v21, v33, vcc
	v_lshlrev_b64 v[26:27], 3, v[26:27]
	v_add_co_u32_e32 v24, vcc, s12, v24
	v_add_u32_e32 v28, -6, v16
	v_mov_b32_e32 v29, v19
	v_addc_co_u32_e32 v25, vcc, v21, v25, vcc
	v_lshlrev_b64 v[28:29], 3, v[28:29]
	v_add_co_u32_e32 v26, vcc, s12, v26
	v_mov_b32_e32 v17, v19
	v_addc_co_u32_e32 v27, vcc, v21, v27, vcc
	v_lshlrev_b64 v[17:18], 3, v[16:17]
	v_add_co_u32_e32 v28, vcc, s12, v28
	v_addc_co_u32_e32 v29, vcc, v21, v29, vcc
	v_add_co_u32_e32 v34, vcc, s12, v17
	v_addc_co_u32_e32 v35, vcc, v21, v18, vcc
	v_mov_b32_e32 v18, v19
	v_add_u32_e32 v6, 32, v6
	s_waitcnt vmcnt(0)
	v_subrev_u32_e32 v7, s2, v7
	v_mul_lo_u32 v17, v7, 7
	v_lshlrev_b64 v[30:31], 3, v[17:18]
	v_add_u32_e32 v18, 1, v17
	v_add_co_u32_e32 v30, vcc, s14, v30
	v_addc_co_u32_e32 v31, vcc, v23, v31, vcc
	global_load_dwordx2 v[38:39], v[24:25], off
	global_load_dwordx2 v[40:41], v[26:27], off
	;; [unrolled: 1-line block ×4, first 2 shown]
	v_lshlrev_b64 v[36:37], 3, v[18:19]
	v_subrev_u32_e32 v18, 19, v16
	v_add_co_u32_e32 v36, vcc, s14, v36
	v_addc_co_u32_e32 v37, vcc, v23, v37, vcc
	s_waitcnt vmcnt(0)
	v_fma_f64 v[28:29], v[40:41], v[44:45], v[10:11]
	v_fma_f64 v[30:31], v[42:43], v[44:45], v[8:9]
	global_load_dwordx4 v[7:10], v[32:33], off
	global_load_dwordx4 v[24:27], v[32:33], off offset:16
	v_fma_f64 v[14:15], v[38:39], v[44:45], v[14:15]
	s_waitcnt vmcnt(1)
	v_fma_f64 v[7:8], v[7:8], v[44:45], v[12:13]
	global_load_dwordx2 v[11:12], v[36:37], off
	s_waitcnt vmcnt(0)
	v_fma_f64 v[7:8], v[9:10], v[11:12], v[7:8]
	v_lshlrev_b64 v[9:10], 3, v[18:19]
	v_add_u32_e32 v18, -12, v16
	v_add_co_u32_e32 v9, vcc, s12, v9
	v_lshlrev_b64 v[32:33], 3, v[18:19]
	v_addc_co_u32_e32 v10, vcc, v21, v10, vcc
	v_add_u32_e32 v18, -5, v16
	v_add_co_u32_e32 v32, vcc, s12, v32
	v_lshlrev_b64 v[36:37], 3, v[18:19]
	v_addc_co_u32_e32 v33, vcc, v21, v33, vcc
	v_add_co_u32_e32 v36, vcc, s12, v36
	v_addc_co_u32_e32 v37, vcc, v21, v37, vcc
	global_load_dwordx2 v[38:39], v[9:10], off
	global_load_dwordx2 v[40:41], v[32:33], off
	global_load_dwordx2 v[42:43], v[36:37], off
	v_add_u32_e32 v18, 2, v17
	s_waitcnt vmcnt(2)
	v_fma_f64 v[9:10], v[38:39], v[11:12], v[14:15]
	s_waitcnt vmcnt(1)
	v_fma_f64 v[13:14], v[40:41], v[11:12], v[28:29]
	v_lshlrev_b64 v[28:29], 3, v[18:19]
	v_subrev_u32_e32 v18, 18, v16
	s_waitcnt vmcnt(0)
	v_fma_f64 v[11:12], v[42:43], v[11:12], v[30:31]
	v_lshlrev_b64 v[30:31], 3, v[18:19]
	v_add_co_u32_e32 v28, vcc, s14, v28
	v_add_u32_e32 v18, -11, v16
	v_addc_co_u32_e32 v29, vcc, v23, v29, vcc
	v_add_co_u32_e32 v30, vcc, s12, v30
	v_lshlrev_b64 v[32:33], 3, v[18:19]
	v_addc_co_u32_e32 v31, vcc, v21, v31, vcc
	v_add_u32_e32 v18, -4, v16
	v_add_co_u32_e32 v32, vcc, s12, v32
	v_lshlrev_b64 v[36:37], 3, v[18:19]
	v_addc_co_u32_e32 v33, vcc, v21, v33, vcc
	v_add_co_u32_e32 v36, vcc, s12, v36
	v_addc_co_u32_e32 v37, vcc, v21, v37, vcc
	v_add_u32_e32 v18, 3, v17
	global_load_dwordx2 v[42:43], v[28:29], off
	global_load_dwordx2 v[44:45], v[30:31], off
	;; [unrolled: 1-line block ×4, first 2 shown]
	v_lshlrev_b64 v[38:39], 3, v[18:19]
	v_subrev_u32_e32 v18, 17, v16
	v_add_co_u32_e32 v38, vcc, s14, v38
	v_addc_co_u32_e32 v39, vcc, v23, v39, vcc
	global_load_dwordx2 v[28:29], v[38:39], off
	v_lshlrev_b64 v[40:41], 3, v[18:19]
	v_add_u32_e32 v18, -10, v16
	v_add_co_u32_e32 v40, vcc, s12, v40
	v_addc_co_u32_e32 v41, vcc, v21, v41, vcc
	s_waitcnt vmcnt(4)
	v_fma_f64 v[7:8], v[24:25], v[42:43], v[7:8]
	v_lshlrev_b64 v[24:25], 3, v[18:19]
	v_add_u32_e32 v18, -3, v16
	v_add_co_u32_e32 v24, vcc, s12, v24
	v_addc_co_u32_e32 v25, vcc, v21, v25, vcc
	s_waitcnt vmcnt(3)
	v_fma_f64 v[9:10], v[44:45], v[42:43], v[9:10]
	s_waitcnt vmcnt(2)
	v_fma_f64 v[13:14], v[46:47], v[42:43], v[13:14]
	;; [unrolled: 2-line block ×4, first 2 shown]
	v_lshlrev_b64 v[26:27], 3, v[18:19]
	v_subrev_u32_e32 v18, 23, v16
	v_add_co_u32_e32 v26, vcc, s12, v26
	v_lshlrev_b64 v[30:31], 3, v[18:19]
	v_addc_co_u32_e32 v27, vcc, v21, v27, vcc
	v_add_co_u32_e32 v30, vcc, s12, v30
	v_addc_co_u32_e32 v31, vcc, v21, v31, vcc
	global_load_dwordx2 v[36:37], v[40:41], off
	global_load_dwordx2 v[38:39], v[24:25], off
	;; [unrolled: 1-line block ×4, first 2 shown]
	v_add_u32_e32 v18, 4, v17
	v_lshlrev_b64 v[32:33], 3, v[18:19]
	v_add_u32_e32 v18, -16, v16
	v_add_co_u32_e32 v32, vcc, s14, v32
	v_addc_co_u32_e32 v33, vcc, v23, v33, vcc
	global_load_dwordx2 v[32:33], v[32:33], off
	v_lshlrev_b64 v[24:25], 3, v[18:19]
	v_add_u32_e32 v18, -9, v16
	v_lshlrev_b64 v[26:27], 3, v[18:19]
	v_add_co_u32_e32 v24, vcc, s12, v24
	v_add_u32_e32 v18, -2, v16
	v_addc_co_u32_e32 v25, vcc, v21, v25, vcc
	v_add_co_u32_e32 v26, vcc, s12, v26
	v_addc_co_u32_e32 v27, vcc, v21, v27, vcc
	s_waitcnt vmcnt(4)
	v_fma_f64 v[9:10], v[36:37], v[28:29], v[9:10]
	s_waitcnt vmcnt(3)
	v_fma_f64 v[13:14], v[38:39], v[28:29], v[13:14]
	;; [unrolled: 2-line block ×3, first 2 shown]
	v_lshlrev_b64 v[28:29], 3, v[18:19]
	v_subrev_u32_e32 v18, 22, v16
	v_add_co_u32_e32 v28, vcc, s12, v28
	v_lshlrev_b64 v[30:31], 3, v[18:19]
	v_addc_co_u32_e32 v29, vcc, v21, v29, vcc
	v_add_u32_e32 v18, 5, v17
	v_add_co_u32_e32 v30, vcc, s12, v30
	v_lshlrev_b64 v[36:37], 3, v[18:19]
	v_addc_co_u32_e32 v31, vcc, v21, v31, vcc
	v_add_co_u32_e32 v36, vcc, s14, v36
	v_addc_co_u32_e32 v37, vcc, v23, v37, vcc
	s_waitcnt vmcnt(0)
	v_fma_f64 v[7:8], v[44:45], v[32:33], v[7:8]
	global_load_dwordx2 v[38:39], v[24:25], off
	global_load_dwordx2 v[40:41], v[26:27], off
	;; [unrolled: 1-line block ×4, first 2 shown]
	v_add_u32_e32 v18, -15, v16
	global_load_dwordx2 v[36:37], v[36:37], off
	v_lshlrev_b64 v[24:25], 3, v[18:19]
	v_add_u32_e32 v18, -8, v16
	v_lshlrev_b64 v[26:27], 3, v[18:19]
	v_add_co_u32_e32 v24, vcc, s12, v24
	v_add_u32_e32 v18, -1, v16
	v_addc_co_u32_e32 v25, vcc, v21, v25, vcc
	v_add_co_u32_e32 v26, vcc, s12, v26
	v_lshlrev_b64 v[28:29], 3, v[18:19]
	v_addc_co_u32_e32 v27, vcc, v21, v27, vcc
	v_subrev_u32_e32 v18, 21, v16
	v_lshlrev_b64 v[30:31], 3, v[18:19]
	v_add_co_u32_e32 v28, vcc, s12, v28
	v_addc_co_u32_e32 v29, vcc, v21, v29, vcc
	v_add_co_u32_e32 v30, vcc, s12, v30
	v_addc_co_u32_e32 v31, vcc, v21, v31, vcc
	v_add_u32_e32 v18, 6, v17
	v_lshlrev_b64 v[17:18], 3, v[18:19]
	s_waitcnt vmcnt(4)
	v_fma_f64 v[9:10], v[38:39], v[32:33], v[9:10]
	s_waitcnt vmcnt(3)
	v_fma_f64 v[13:14], v[40:41], v[32:33], v[13:14]
	;; [unrolled: 2-line block ×3, first 2 shown]
	v_add_co_u32_e32 v32, vcc, s14, v17
	s_waitcnt vmcnt(0)
	v_fma_f64 v[7:8], v[44:45], v[36:37], v[7:8]
	global_load_dwordx2 v[40:41], v[24:25], off
	global_load_dwordx2 v[42:43], v[26:27], off
	;; [unrolled: 1-line block ×4, first 2 shown]
	v_addc_co_u32_e32 v33, vcc, v23, v18, vcc
	v_add_u32_e32 v18, -14, v16
	v_lshlrev_b64 v[17:18], 3, v[18:19]
	v_add_co_u32_e32 v38, vcc, s12, v17
	v_addc_co_u32_e32 v39, vcc, v21, v18, vcc
	v_add_u32_e32 v18, -7, v16
	v_lshlrev_b64 v[17:18], 3, v[18:19]
	v_add_u32_e32 v16, 0x380, v16
	v_add_co_u32_e32 v17, vcc, s12, v17
	v_addc_co_u32_e32 v18, vcc, v21, v18, vcc
	v_cmp_ge_i32_e32 vcc, v6, v22
	s_or_b64 s[0:1], vcc, s[0:1]
	s_waitcnt vmcnt(3)
	v_fma_f64 v[9:10], v[40:41], v[36:37], v[9:10]
	s_waitcnt vmcnt(2)
	v_fma_f64 v[24:25], v[42:43], v[36:37], v[13:14]
	global_load_dwordx2 v[26:27], v[32:33], off
	global_load_dwordx2 v[14:15], v[38:39], off
	;; [unrolled: 1-line block ×4, first 2 shown]
	s_waitcnt vmcnt(5)
	v_fma_f64 v[17:18], v[44:45], v[36:37], v[11:12]
	s_waitcnt vmcnt(3)
	v_fma_f64 v[12:13], v[46:47], v[26:27], v[7:8]
	;; [unrolled: 2-line block ×5, first 2 shown]
	s_andn2_b64 exec, exec, s[0:1]
	s_cbranch_execnz .LBB65_15
; %bb.16:
	s_or_b64 exec, exec, s[0:1]
.LBB65_17:
	s_or_b64 exec, exec, s[6:7]
.LBB65_18:
	v_mov_b32_dpp v6, v12 row_shr:1 row_mask:0xf bank_mask:0xf
	v_mov_b32_dpp v7, v13 row_shr:1 row_mask:0xf bank_mask:0xf
	v_add_f64 v[6:7], v[12:13], v[6:7]
	v_mov_b32_dpp v12, v14 row_shr:1 row_mask:0xf bank_mask:0xf
	v_mov_b32_dpp v13, v15 row_shr:1 row_mask:0xf bank_mask:0xf
	v_add_f64 v[12:13], v[14:15], v[12:13]
	;; [unrolled: 3-line block ×3, first 2 shown]
	v_cmp_eq_u32_e32 vcc, 31, v0
	v_mov_b32_dpp v14, v6 row_shr:2 row_mask:0xf bank_mask:0xf
	v_mov_b32_dpp v15, v7 row_shr:2 row_mask:0xf bank_mask:0xf
	v_add_f64 v[6:7], v[6:7], v[14:15]
	v_mov_b32_dpp v14, v8 row_shr:1 row_mask:0xf bank_mask:0xf
	v_mov_b32_dpp v15, v9 row_shr:1 row_mask:0xf bank_mask:0xf
	v_add_f64 v[8:9], v[8:9], v[14:15]
	;; [unrolled: 3-line block ×4, first 2 shown]
	v_mov_b32_dpp v16, v10 row_shr:2 row_mask:0xf bank_mask:0xf
	v_mov_b32_dpp v17, v11 row_shr:2 row_mask:0xf bank_mask:0xf
	;; [unrolled: 1-line block ×3, first 2 shown]
	v_add_f64 v[10:11], v[10:11], v[16:17]
	v_mov_b32_dpp v15, v9 row_shr:2 row_mask:0xf bank_mask:0xf
	v_add_f64 v[8:9], v[8:9], v[14:15]
	v_mov_b32_dpp v16, v12 row_shr:4 row_mask:0xf bank_mask:0xe
	v_mov_b32_dpp v17, v13 row_shr:4 row_mask:0xf bank_mask:0xe
	v_add_f64 v[12:13], v[12:13], v[16:17]
	v_mov_b32_dpp v14, v6 row_shr:8 row_mask:0xf bank_mask:0xc
	v_mov_b32_dpp v15, v7 row_shr:8 row_mask:0xf bank_mask:0xc
	;; [unrolled: 1-line block ×4, first 2 shown]
	v_add_f64 v[10:11], v[10:11], v[16:17]
	v_mov_b32_dpp v16, v8 row_shr:4 row_mask:0xf bank_mask:0xe
	v_mov_b32_dpp v17, v9 row_shr:4 row_mask:0xf bank_mask:0xe
	v_add_f64 v[16:17], v[8:9], v[16:17]
	v_mov_b32_dpp v8, v12 row_shr:8 row_mask:0xf bank_mask:0xc
	v_mov_b32_dpp v9, v13 row_shr:8 row_mask:0xf bank_mask:0xc
	v_add_f64 v[8:9], v[12:13], v[8:9]
	v_add_f64 v[6:7], v[6:7], v[14:15]
	v_mov_b32_dpp v12, v10 row_shr:8 row_mask:0xf bank_mask:0xc
	v_mov_b32_dpp v13, v11 row_shr:8 row_mask:0xf bank_mask:0xc
	v_add_f64 v[14:15], v[10:11], v[12:13]
	v_mov_b32_dpp v10, v16 row_shr:8 row_mask:0xf bank_mask:0xc
	v_mov_b32_dpp v11, v17 row_shr:8 row_mask:0xf bank_mask:0xc
	v_add_f64 v[16:17], v[16:17], v[10:11]
	v_mov_b32_dpp v10, v8 row_bcast:15 row_mask:0xa bank_mask:0xf
	v_mov_b32_dpp v12, v6 row_bcast:15 row_mask:0xa bank_mask:0xf
	;; [unrolled: 1-line block ×8, first 2 shown]
	s_and_b64 exec, exec, vcc
	s_cbranch_execz .LBB65_23
; %bb.19:
	v_add_f64 v[12:13], v[6:7], v[12:13]
	v_add_f64 v[10:11], v[8:9], v[10:11]
	;; [unrolled: 1-line block ×4, first 2 shown]
	v_cmp_eq_f64_e32 vcc, 0, v[3:4]
	s_load_dwordx2 s[0:1], s[4:5], 0x38
	s_and_saveexec_b64 s[2:3], vcc
	s_xor_b64 s[2:3], exec, s[2:3]
	s_cbranch_execz .LBB65_21
; %bb.20:
	v_mul_f64 v[12:13], v[1:2], v[12:13]
	v_mul_f64 v[14:15], v[1:2], v[10:11]
	v_lshlrev_b32_e32 v16, 2, v5
	v_mul_f64 v[3:4], v[1:2], v[6:7]
	v_mul_f64 v[5:6], v[1:2], v[8:9]
	v_ashrrev_i32_e32 v17, 31, v16
	v_lshlrev_b64 v[0:1], 3, v[16:17]
	s_waitcnt lgkmcnt(0)
	v_mov_b32_e32 v2, s1
	v_add_co_u32_e32 v0, vcc, s0, v0
	v_addc_co_u32_e32 v1, vcc, v2, v1, vcc
	global_store_dwordx4 v[0:1], v[12:15], off
	global_store_dwordx4 v[0:1], v[3:6], off offset:16
                                        ; implicit-def: $vgpr5
                                        ; implicit-def: $vgpr1_vgpr2
                                        ; implicit-def: $vgpr12_vgpr13
                                        ; implicit-def: $vgpr3_vgpr4
                                        ; implicit-def: $vgpr10_vgpr11
                                        ; implicit-def: $vgpr6_vgpr7
                                        ; implicit-def: $vgpr8_vgpr9
.LBB65_21:
	s_andn2_saveexec_b64 s[2:3], s[2:3]
	s_cbranch_execz .LBB65_23
; %bb.22:
	v_lshlrev_b32_e32 v14, 2, v5
	v_ashrrev_i32_e32 v15, 31, v14
	v_lshlrev_b64 v[14:15], 3, v[14:15]
	s_waitcnt lgkmcnt(0)
	v_mov_b32_e32 v0, s1
	v_add_co_u32_e32 v22, vcc, s0, v14
	v_addc_co_u32_e32 v23, vcc, v0, v15, vcc
	global_load_dwordx4 v[14:17], v[22:23], off
	global_load_dwordx4 v[18:21], v[22:23], off offset:16
	v_mul_f64 v[12:13], v[1:2], v[12:13]
	v_mul_f64 v[10:11], v[1:2], v[10:11]
	;; [unrolled: 1-line block ×4, first 2 shown]
	s_waitcnt vmcnt(1)
	v_fma_f64 v[5:6], v[3:4], v[14:15], v[12:13]
	v_fma_f64 v[7:8], v[3:4], v[16:17], v[10:11]
	s_waitcnt vmcnt(0)
	v_fma_f64 v[0:1], v[3:4], v[18:19], v[24:25]
	v_fma_f64 v[2:3], v[3:4], v[20:21], v[26:27]
	global_store_dwordx4 v[22:23], v[5:8], off
	global_store_dwordx4 v[22:23], v[0:3], off offset:16
.LBB65_23:
	s_endpgm
	.section	.rodata,"a",@progbits
	.p2align	6, 0x0
	.amdhsa_kernel _ZN9rocsparseL19gebsrmvn_4xn_kernelILj128ELj7ELj32EdEEvi20rocsparse_direction_NS_24const_host_device_scalarIT2_EEPKiS6_PKS3_S8_S4_PS3_21rocsparse_index_base_b
		.amdhsa_group_segment_fixed_size 0
		.amdhsa_private_segment_fixed_size 0
		.amdhsa_kernarg_size 72
		.amdhsa_user_sgpr_count 6
		.amdhsa_user_sgpr_private_segment_buffer 1
		.amdhsa_user_sgpr_dispatch_ptr 0
		.amdhsa_user_sgpr_queue_ptr 0
		.amdhsa_user_sgpr_kernarg_segment_ptr 1
		.amdhsa_user_sgpr_dispatch_id 0
		.amdhsa_user_sgpr_flat_scratch_init 0
		.amdhsa_user_sgpr_private_segment_size 0
		.amdhsa_uses_dynamic_stack 0
		.amdhsa_system_sgpr_private_segment_wavefront_offset 0
		.amdhsa_system_sgpr_workgroup_id_x 1
		.amdhsa_system_sgpr_workgroup_id_y 0
		.amdhsa_system_sgpr_workgroup_id_z 0
		.amdhsa_system_sgpr_workgroup_info 0
		.amdhsa_system_vgpr_workitem_id 0
		.amdhsa_next_free_vgpr 55
		.amdhsa_next_free_sgpr 16
		.amdhsa_reserve_vcc 1
		.amdhsa_reserve_flat_scratch 0
		.amdhsa_float_round_mode_32 0
		.amdhsa_float_round_mode_16_64 0
		.amdhsa_float_denorm_mode_32 3
		.amdhsa_float_denorm_mode_16_64 3
		.amdhsa_dx10_clamp 1
		.amdhsa_ieee_mode 1
		.amdhsa_fp16_overflow 0
		.amdhsa_exception_fp_ieee_invalid_op 0
		.amdhsa_exception_fp_denorm_src 0
		.amdhsa_exception_fp_ieee_div_zero 0
		.amdhsa_exception_fp_ieee_overflow 0
		.amdhsa_exception_fp_ieee_underflow 0
		.amdhsa_exception_fp_ieee_inexact 0
		.amdhsa_exception_int_div_zero 0
	.end_amdhsa_kernel
	.section	.text._ZN9rocsparseL19gebsrmvn_4xn_kernelILj128ELj7ELj32EdEEvi20rocsparse_direction_NS_24const_host_device_scalarIT2_EEPKiS6_PKS3_S8_S4_PS3_21rocsparse_index_base_b,"axG",@progbits,_ZN9rocsparseL19gebsrmvn_4xn_kernelILj128ELj7ELj32EdEEvi20rocsparse_direction_NS_24const_host_device_scalarIT2_EEPKiS6_PKS3_S8_S4_PS3_21rocsparse_index_base_b,comdat
.Lfunc_end65:
	.size	_ZN9rocsparseL19gebsrmvn_4xn_kernelILj128ELj7ELj32EdEEvi20rocsparse_direction_NS_24const_host_device_scalarIT2_EEPKiS6_PKS3_S8_S4_PS3_21rocsparse_index_base_b, .Lfunc_end65-_ZN9rocsparseL19gebsrmvn_4xn_kernelILj128ELj7ELj32EdEEvi20rocsparse_direction_NS_24const_host_device_scalarIT2_EEPKiS6_PKS3_S8_S4_PS3_21rocsparse_index_base_b
                                        ; -- End function
	.set _ZN9rocsparseL19gebsrmvn_4xn_kernelILj128ELj7ELj32EdEEvi20rocsparse_direction_NS_24const_host_device_scalarIT2_EEPKiS6_PKS3_S8_S4_PS3_21rocsparse_index_base_b.num_vgpr, 55
	.set _ZN9rocsparseL19gebsrmvn_4xn_kernelILj128ELj7ELj32EdEEvi20rocsparse_direction_NS_24const_host_device_scalarIT2_EEPKiS6_PKS3_S8_S4_PS3_21rocsparse_index_base_b.num_agpr, 0
	.set _ZN9rocsparseL19gebsrmvn_4xn_kernelILj128ELj7ELj32EdEEvi20rocsparse_direction_NS_24const_host_device_scalarIT2_EEPKiS6_PKS3_S8_S4_PS3_21rocsparse_index_base_b.numbered_sgpr, 16
	.set _ZN9rocsparseL19gebsrmvn_4xn_kernelILj128ELj7ELj32EdEEvi20rocsparse_direction_NS_24const_host_device_scalarIT2_EEPKiS6_PKS3_S8_S4_PS3_21rocsparse_index_base_b.num_named_barrier, 0
	.set _ZN9rocsparseL19gebsrmvn_4xn_kernelILj128ELj7ELj32EdEEvi20rocsparse_direction_NS_24const_host_device_scalarIT2_EEPKiS6_PKS3_S8_S4_PS3_21rocsparse_index_base_b.private_seg_size, 0
	.set _ZN9rocsparseL19gebsrmvn_4xn_kernelILj128ELj7ELj32EdEEvi20rocsparse_direction_NS_24const_host_device_scalarIT2_EEPKiS6_PKS3_S8_S4_PS3_21rocsparse_index_base_b.uses_vcc, 1
	.set _ZN9rocsparseL19gebsrmvn_4xn_kernelILj128ELj7ELj32EdEEvi20rocsparse_direction_NS_24const_host_device_scalarIT2_EEPKiS6_PKS3_S8_S4_PS3_21rocsparse_index_base_b.uses_flat_scratch, 0
	.set _ZN9rocsparseL19gebsrmvn_4xn_kernelILj128ELj7ELj32EdEEvi20rocsparse_direction_NS_24const_host_device_scalarIT2_EEPKiS6_PKS3_S8_S4_PS3_21rocsparse_index_base_b.has_dyn_sized_stack, 0
	.set _ZN9rocsparseL19gebsrmvn_4xn_kernelILj128ELj7ELj32EdEEvi20rocsparse_direction_NS_24const_host_device_scalarIT2_EEPKiS6_PKS3_S8_S4_PS3_21rocsparse_index_base_b.has_recursion, 0
	.set _ZN9rocsparseL19gebsrmvn_4xn_kernelILj128ELj7ELj32EdEEvi20rocsparse_direction_NS_24const_host_device_scalarIT2_EEPKiS6_PKS3_S8_S4_PS3_21rocsparse_index_base_b.has_indirect_call, 0
	.section	.AMDGPU.csdata,"",@progbits
; Kernel info:
; codeLenInByte = 3312
; TotalNumSgprs: 20
; NumVgprs: 55
; ScratchSize: 0
; MemoryBound: 1
; FloatMode: 240
; IeeeMode: 1
; LDSByteSize: 0 bytes/workgroup (compile time only)
; SGPRBlocks: 2
; VGPRBlocks: 13
; NumSGPRsForWavesPerEU: 20
; NumVGPRsForWavesPerEU: 55
; Occupancy: 4
; WaveLimiterHint : 1
; COMPUTE_PGM_RSRC2:SCRATCH_EN: 0
; COMPUTE_PGM_RSRC2:USER_SGPR: 6
; COMPUTE_PGM_RSRC2:TRAP_HANDLER: 0
; COMPUTE_PGM_RSRC2:TGID_X_EN: 1
; COMPUTE_PGM_RSRC2:TGID_Y_EN: 0
; COMPUTE_PGM_RSRC2:TGID_Z_EN: 0
; COMPUTE_PGM_RSRC2:TIDIG_COMP_CNT: 0
	.section	.text._ZN9rocsparseL19gebsrmvn_4xn_kernelILj128ELj7ELj64EdEEvi20rocsparse_direction_NS_24const_host_device_scalarIT2_EEPKiS6_PKS3_S8_S4_PS3_21rocsparse_index_base_b,"axG",@progbits,_ZN9rocsparseL19gebsrmvn_4xn_kernelILj128ELj7ELj64EdEEvi20rocsparse_direction_NS_24const_host_device_scalarIT2_EEPKiS6_PKS3_S8_S4_PS3_21rocsparse_index_base_b,comdat
	.globl	_ZN9rocsparseL19gebsrmvn_4xn_kernelILj128ELj7ELj64EdEEvi20rocsparse_direction_NS_24const_host_device_scalarIT2_EEPKiS6_PKS3_S8_S4_PS3_21rocsparse_index_base_b ; -- Begin function _ZN9rocsparseL19gebsrmvn_4xn_kernelILj128ELj7ELj64EdEEvi20rocsparse_direction_NS_24const_host_device_scalarIT2_EEPKiS6_PKS3_S8_S4_PS3_21rocsparse_index_base_b
	.p2align	8
	.type	_ZN9rocsparseL19gebsrmvn_4xn_kernelILj128ELj7ELj64EdEEvi20rocsparse_direction_NS_24const_host_device_scalarIT2_EEPKiS6_PKS3_S8_S4_PS3_21rocsparse_index_base_b,@function
_ZN9rocsparseL19gebsrmvn_4xn_kernelILj128ELj7ELj64EdEEvi20rocsparse_direction_NS_24const_host_device_scalarIT2_EEPKiS6_PKS3_S8_S4_PS3_21rocsparse_index_base_b: ; @_ZN9rocsparseL19gebsrmvn_4xn_kernelILj128ELj7ELj64EdEEvi20rocsparse_direction_NS_24const_host_device_scalarIT2_EEPKiS6_PKS3_S8_S4_PS3_21rocsparse_index_base_b
; %bb.0:
	s_load_dwordx2 s[2:3], s[4:5], 0x40
	s_load_dwordx2 s[10:11], s[4:5], 0x8
	;; [unrolled: 1-line block ×3, first 2 shown]
	s_waitcnt lgkmcnt(0)
	s_bitcmp1_b32 s3, 0
	s_cselect_b64 s[12:13], -1, 0
	v_mov_b32_e32 v1, s10
	s_xor_b64 s[8:9], s[12:13], -1
	s_and_b64 vcc, exec, s[12:13]
	v_mov_b32_e32 v2, s11
	s_cbranch_vccnz .LBB66_2
; %bb.1:
	v_mov_b32_e32 v1, s10
	v_mov_b32_e32 v2, s11
	flat_load_dwordx2 v[1:2], v[1:2]
.LBB66_2:
	v_mov_b32_e32 v4, s1
	s_andn2_b64 vcc, exec, s[8:9]
	v_mov_b32_e32 v3, s0
	s_cbranch_vccnz .LBB66_4
; %bb.3:
	v_mov_b32_e32 v4, s1
	v_mov_b32_e32 v3, s0
	flat_load_dwordx2 v[3:4], v[3:4]
.LBB66_4:
	s_waitcnt vmcnt(0) lgkmcnt(0)
	v_cmp_neq_f64_e32 vcc, 0, v[1:2]
	v_cmp_neq_f64_e64 s[0:1], 1.0, v[3:4]
	s_or_b64 s[0:1], vcc, s[0:1]
	s_and_saveexec_b64 s[8:9], s[0:1]
	s_cbranch_execz .LBB66_23
; %bb.5:
	s_load_dwordx2 s[0:1], s[4:5], 0x0
	v_lshrrev_b32_e32 v5, 6, v0
	v_lshl_or_b32 v5, s6, 1, v5
	s_waitcnt lgkmcnt(0)
	v_cmp_gt_i32_e32 vcc, s0, v5
	s_and_b64 exec, exec, vcc
	s_cbranch_execz .LBB66_23
; %bb.6:
	s_load_dwordx8 s[8:15], s[4:5], 0x10
	v_ashrrev_i32_e32 v6, 31, v5
	v_lshlrev_b64 v[6:7], 2, v[5:6]
	v_and_b32_e32 v0, 63, v0
	s_cmp_lg_u32 s1, 0
	s_waitcnt lgkmcnt(0)
	v_mov_b32_e32 v8, s9
	v_add_co_u32_e32 v6, vcc, s8, v6
	v_addc_co_u32_e32 v7, vcc, v8, v7, vcc
	global_load_dwordx2 v[6:7], v[6:7], off
	s_waitcnt vmcnt(0)
	v_subrev_u32_e32 v6, s2, v6
	v_subrev_u32_e32 v22, s2, v7
	v_add_u32_e32 v6, v6, v0
	v_cmp_lt_i32_e64 s[0:1], v6, v22
	s_cbranch_scc0 .LBB66_12
; %bb.7:
	v_mov_b32_e32 v12, 0
	v_mov_b32_e32 v8, 0
	v_mov_b32_e32 v10, 0
	v_mov_b32_e32 v14, 0
	v_mov_b32_e32 v13, 0
	v_mov_b32_e32 v9, 0
	v_mov_b32_e32 v11, 0
	v_mov_b32_e32 v15, 0
	s_and_saveexec_b64 s[6:7], s[0:1]
	s_cbranch_execz .LBB66_11
; %bb.8:
	v_mad_u64_u32 v[16:17], s[8:9], v6, 28, 24
	v_mov_b32_e32 v12, 0
	v_mov_b32_e32 v8, 0
	v_mov_b32_e32 v10, 0
	v_mov_b32_e32 v14, 0
	v_mov_b32_e32 v13, 0
	s_mov_b64 s[8:9], 0
	v_mov_b32_e32 v7, s11
	v_mov_b32_e32 v19, 0
	;; [unrolled: 1-line block ×8, first 2 shown]
.LBB66_9:                               ; =>This Inner Loop Header: Depth=1
	v_ashrrev_i32_e32 v21, 31, v20
	v_lshlrev_b64 v[25:26], 2, v[20:21]
	v_subrev_u32_e32 v18, 24, v16
	v_lshlrev_b64 v[27:28], 3, v[18:19]
	v_add_co_u32_e32 v33, vcc, s10, v25
	v_mov_b32_e32 v17, v19
	v_addc_co_u32_e32 v34, vcc, v7, v26, vcc
	v_lshlrev_b64 v[29:30], 3, v[16:17]
	v_add_co_u32_e32 v35, vcc, s12, v27
	v_addc_co_u32_e32 v36, vcc, v23, v28, vcc
	v_add_co_u32_e32 v47, vcc, s12, v29
	v_addc_co_u32_e32 v48, vcc, v23, v30, vcc
	global_load_dword v21, v[33:34], off
	global_load_dwordx4 v[25:28], v[35:36], off
	global_load_dwordx4 v[29:32], v[35:36], off offset:16
	v_subrev_u32_e32 v18, 20, v16
	v_lshlrev_b64 v[17:18], 3, v[18:19]
	v_mov_b32_e32 v46, v19
	v_add_co_u32_e32 v17, vcc, s12, v17
	v_addc_co_u32_e32 v18, vcc, v23, v18, vcc
	global_load_dwordx4 v[33:36], v[47:48], off
	global_load_dwordx4 v[37:40], v[17:18], off
	v_add_u32_e32 v20, 64, v20
	s_waitcnt vmcnt(4)
	v_subrev_u32_e32 v21, s2, v21
	v_mul_lo_u32 v45, v21, 7
	v_lshlrev_b64 v[41:42], 3, v[45:46]
	v_add_co_u32_e32 v49, vcc, s14, v41
	v_addc_co_u32_e32 v50, vcc, v24, v42, vcc
	global_load_dwordx2 v[49:50], v[49:50], off
	s_waitcnt vmcnt(0)
	v_fma_f64 v[12:13], v[25:26], v[49:50], v[12:13]
	global_load_dwordx4 v[41:44], v[17:18], off offset:16
	v_add_u32_e32 v18, 1, v45
	v_lshlrev_b64 v[25:26], 3, v[18:19]
	v_fma_f64 v[14:15], v[27:28], v[49:50], v[14:15]
	v_add_co_u32_e32 v25, vcc, s14, v25
	v_addc_co_u32_e32 v26, vcc, v24, v26, vcc
	global_load_dwordx2 v[25:26], v[25:26], off
	v_fma_f64 v[29:30], v[29:30], v[49:50], v[10:11]
	v_add_u32_e32 v18, -16, v16
	v_lshlrev_b64 v[27:28], 3, v[18:19]
	v_add_u32_e32 v18, 2, v45
	v_fma_f64 v[31:32], v[31:32], v[49:50], v[8:9]
	v_lshlrev_b64 v[8:9], 3, v[18:19]
	v_add_co_u32_e32 v27, vcc, s12, v27
	v_addc_co_u32_e32 v28, vcc, v23, v28, vcc
	v_add_co_u32_e32 v51, vcc, s14, v8
	v_addc_co_u32_e32 v52, vcc, v24, v9, vcc
	v_add_u32_e32 v18, -12, v16
	v_lshlrev_b64 v[49:50], 3, v[18:19]
	v_add_u32_e32 v18, 3, v45
	s_waitcnt vmcnt(0)
	v_fma_f64 v[37:38], v[37:38], v[25:26], v[12:13]
	v_fma_f64 v[39:40], v[39:40], v[25:26], v[14:15]
	global_load_dwordx4 v[8:11], v[27:28], off
	global_load_dwordx4 v[12:15], v[27:28], off offset:16
	v_fma_f64 v[29:30], v[41:42], v[25:26], v[29:30]
	global_load_dwordx2 v[41:42], v[51:52], off
	v_fma_f64 v[31:32], v[43:44], v[25:26], v[31:32]
	v_lshlrev_b64 v[25:26], 3, v[18:19]
	v_add_co_u32_e32 v43, vcc, s12, v49
	v_addc_co_u32_e32 v44, vcc, v23, v50, vcc
	v_add_co_u32_e32 v51, vcc, s14, v25
	v_addc_co_u32_e32 v52, vcc, v24, v26, vcc
	v_add_u32_e32 v18, -8, v16
	v_lshlrev_b64 v[49:50], 3, v[18:19]
	v_add_u32_e32 v18, 4, v45
	s_waitcnt vmcnt(0)
	v_fma_f64 v[37:38], v[8:9], v[41:42], v[37:38]
	v_fma_f64 v[39:40], v[10:11], v[41:42], v[39:40]
	global_load_dwordx4 v[8:11], v[43:44], off
	global_load_dwordx4 v[25:28], v[43:44], off offset:16
	v_fma_f64 v[29:30], v[12:13], v[41:42], v[29:30]
	v_fma_f64 v[31:32], v[14:15], v[41:42], v[31:32]
	global_load_dwordx2 v[41:42], v[51:52], off
	v_lshlrev_b64 v[12:13], 3, v[18:19]
	v_add_co_u32_e32 v43, vcc, s12, v49
	v_add_u32_e32 v18, -4, v16
	v_addc_co_u32_e32 v44, vcc, v23, v50, vcc
	v_lshlrev_b64 v[14:15], 3, v[18:19]
	v_add_co_u32_e32 v49, vcc, s14, v12
	v_add_u32_e32 v18, 5, v45
	v_addc_co_u32_e32 v50, vcc, v24, v13, vcc
	v_lshlrev_b64 v[51:52], 3, v[18:19]
	v_add_u32_e32 v18, 6, v45
	v_add_co_u32_e32 v45, vcc, s12, v14
	v_addc_co_u32_e32 v46, vcc, v23, v15, vcc
	v_lshlrev_b64 v[17:18], 3, v[18:19]
	v_add_u32_e32 v16, 0x700, v16
	s_waitcnt vmcnt(0)
	v_fma_f64 v[37:38], v[8:9], v[41:42], v[37:38]
	v_fma_f64 v[39:40], v[10:11], v[41:42], v[39:40]
	global_load_dwordx4 v[8:11], v[43:44], off
	global_load_dwordx4 v[12:15], v[43:44], off offset:16
	global_load_dwordx2 v[53:54], v[49:50], off
	v_fma_f64 v[43:44], v[25:26], v[41:42], v[29:30]
	v_add_co_u32_e32 v29, vcc, s14, v51
	v_fma_f64 v[41:42], v[27:28], v[41:42], v[31:32]
	v_addc_co_u32_e32 v30, vcc, v24, v52, vcc
	global_load_dwordx4 v[25:28], v[45:46], off
	v_add_co_u32_e32 v17, vcc, s14, v17
	v_addc_co_u32_e32 v18, vcc, v24, v18, vcc
	v_cmp_ge_i32_e32 vcc, v20, v22
	s_or_b64 s[8:9], vcc, s[8:9]
	s_waitcnt vmcnt(1)
	v_fma_f64 v[37:38], v[8:9], v[53:54], v[37:38]
	v_fma_f64 v[39:40], v[10:11], v[53:54], v[39:40]
	global_load_dwordx4 v[8:11], v[45:46], off offset:16
	global_load_dwordx2 v[49:50], v[29:30], off
	s_nop 0
	global_load_dwordx4 v[29:32], v[47:48], off offset:16
	global_load_dwordx2 v[45:46], v[17:18], off
	v_fma_f64 v[12:13], v[12:13], v[53:54], v[43:44]
	v_fma_f64 v[14:15], v[14:15], v[53:54], v[41:42]
	s_waitcnt vmcnt(2)
	v_fma_f64 v[17:18], v[25:26], v[49:50], v[37:38]
	v_fma_f64 v[25:26], v[27:28], v[49:50], v[39:40]
	;; [unrolled: 1-line block ×4, first 2 shown]
	s_waitcnt vmcnt(0)
	v_fma_f64 v[12:13], v[33:34], v[45:46], v[17:18]
	v_fma_f64 v[14:15], v[35:36], v[45:46], v[25:26]
	;; [unrolled: 1-line block ×4, first 2 shown]
	s_andn2_b64 exec, exec, s[8:9]
	s_cbranch_execnz .LBB66_9
; %bb.10:
	s_or_b64 exec, exec, s[8:9]
.LBB66_11:
	s_or_b64 exec, exec, s[6:7]
	s_cbranch_execz .LBB66_13
	s_branch .LBB66_18
.LBB66_12:
                                        ; implicit-def: $vgpr12_vgpr13
                                        ; implicit-def: $vgpr8_vgpr9
                                        ; implicit-def: $vgpr10_vgpr11
                                        ; implicit-def: $vgpr14_vgpr15
.LBB66_13:
	v_mov_b32_e32 v12, 0
	v_mov_b32_e32 v8, 0
	v_mov_b32_e32 v10, 0
	v_mov_b32_e32 v14, 0
	v_mov_b32_e32 v13, 0
	v_mov_b32_e32 v9, 0
	v_mov_b32_e32 v11, 0
	v_mov_b32_e32 v15, 0
	s_and_saveexec_b64 s[6:7], s[0:1]
	s_cbranch_execz .LBB66_17
; %bb.14:
	v_mad_u64_u32 v[16:17], s[0:1], v6, 28, 27
	v_mov_b32_e32 v12, 0
	v_mov_b32_e32 v8, 0
	;; [unrolled: 1-line block ×5, first 2 shown]
	s_mov_b64 s[0:1], 0
	v_mov_b32_e32 v20, s11
	v_mov_b32_e32 v19, 0
	;; [unrolled: 1-line block ×7, first 2 shown]
.LBB66_15:                              ; =>This Inner Loop Header: Depth=1
	v_ashrrev_i32_e32 v7, 31, v6
	v_lshlrev_b64 v[30:31], 2, v[6:7]
	v_subrev_u32_e32 v18, 27, v16
	v_add_co_u32_e32 v30, vcc, s10, v30
	v_addc_co_u32_e32 v31, vcc, v20, v31, vcc
	global_load_dword v7, v[30:31], off
	v_lshlrev_b64 v[32:33], 3, v[18:19]
	v_subrev_u32_e32 v24, 20, v16
	v_mov_b32_e32 v25, v19
	v_lshlrev_b64 v[24:25], 3, v[24:25]
	v_add_co_u32_e32 v32, vcc, s12, v32
	v_add_u32_e32 v26, -13, v16
	v_mov_b32_e32 v27, v19
	v_addc_co_u32_e32 v33, vcc, v21, v33, vcc
	v_lshlrev_b64 v[26:27], 3, v[26:27]
	v_add_co_u32_e32 v24, vcc, s12, v24
	v_add_u32_e32 v28, -6, v16
	v_mov_b32_e32 v29, v19
	v_addc_co_u32_e32 v25, vcc, v21, v25, vcc
	v_lshlrev_b64 v[28:29], 3, v[28:29]
	v_add_co_u32_e32 v26, vcc, s12, v26
	v_mov_b32_e32 v17, v19
	v_addc_co_u32_e32 v27, vcc, v21, v27, vcc
	v_lshlrev_b64 v[17:18], 3, v[16:17]
	v_add_co_u32_e32 v28, vcc, s12, v28
	v_addc_co_u32_e32 v29, vcc, v21, v29, vcc
	v_add_co_u32_e32 v34, vcc, s12, v17
	v_addc_co_u32_e32 v35, vcc, v21, v18, vcc
	v_mov_b32_e32 v18, v19
	v_add_u32_e32 v6, 64, v6
	s_waitcnt vmcnt(0)
	v_subrev_u32_e32 v7, s2, v7
	v_mul_lo_u32 v17, v7, 7
	v_lshlrev_b64 v[30:31], 3, v[17:18]
	v_add_u32_e32 v18, 1, v17
	v_add_co_u32_e32 v30, vcc, s14, v30
	v_addc_co_u32_e32 v31, vcc, v23, v31, vcc
	global_load_dwordx2 v[38:39], v[24:25], off
	global_load_dwordx2 v[40:41], v[26:27], off
	;; [unrolled: 1-line block ×4, first 2 shown]
	v_lshlrev_b64 v[36:37], 3, v[18:19]
	v_subrev_u32_e32 v18, 19, v16
	v_add_co_u32_e32 v36, vcc, s14, v36
	v_addc_co_u32_e32 v37, vcc, v23, v37, vcc
	s_waitcnt vmcnt(0)
	v_fma_f64 v[28:29], v[40:41], v[44:45], v[10:11]
	v_fma_f64 v[30:31], v[42:43], v[44:45], v[8:9]
	global_load_dwordx4 v[7:10], v[32:33], off
	global_load_dwordx4 v[24:27], v[32:33], off offset:16
	v_fma_f64 v[14:15], v[38:39], v[44:45], v[14:15]
	s_waitcnt vmcnt(1)
	v_fma_f64 v[7:8], v[7:8], v[44:45], v[12:13]
	global_load_dwordx2 v[11:12], v[36:37], off
	s_waitcnt vmcnt(0)
	v_fma_f64 v[7:8], v[9:10], v[11:12], v[7:8]
	v_lshlrev_b64 v[9:10], 3, v[18:19]
	v_add_u32_e32 v18, -12, v16
	v_add_co_u32_e32 v9, vcc, s12, v9
	v_lshlrev_b64 v[32:33], 3, v[18:19]
	v_addc_co_u32_e32 v10, vcc, v21, v10, vcc
	v_add_u32_e32 v18, -5, v16
	v_add_co_u32_e32 v32, vcc, s12, v32
	v_lshlrev_b64 v[36:37], 3, v[18:19]
	v_addc_co_u32_e32 v33, vcc, v21, v33, vcc
	v_add_co_u32_e32 v36, vcc, s12, v36
	v_addc_co_u32_e32 v37, vcc, v21, v37, vcc
	global_load_dwordx2 v[38:39], v[9:10], off
	global_load_dwordx2 v[40:41], v[32:33], off
	;; [unrolled: 1-line block ×3, first 2 shown]
	v_add_u32_e32 v18, 2, v17
	s_waitcnt vmcnt(2)
	v_fma_f64 v[9:10], v[38:39], v[11:12], v[14:15]
	s_waitcnt vmcnt(1)
	v_fma_f64 v[13:14], v[40:41], v[11:12], v[28:29]
	v_lshlrev_b64 v[28:29], 3, v[18:19]
	v_subrev_u32_e32 v18, 18, v16
	s_waitcnt vmcnt(0)
	v_fma_f64 v[11:12], v[42:43], v[11:12], v[30:31]
	v_lshlrev_b64 v[30:31], 3, v[18:19]
	v_add_co_u32_e32 v28, vcc, s14, v28
	v_add_u32_e32 v18, -11, v16
	v_addc_co_u32_e32 v29, vcc, v23, v29, vcc
	v_add_co_u32_e32 v30, vcc, s12, v30
	v_lshlrev_b64 v[32:33], 3, v[18:19]
	v_addc_co_u32_e32 v31, vcc, v21, v31, vcc
	v_add_u32_e32 v18, -4, v16
	v_add_co_u32_e32 v32, vcc, s12, v32
	v_lshlrev_b64 v[36:37], 3, v[18:19]
	v_addc_co_u32_e32 v33, vcc, v21, v33, vcc
	v_add_co_u32_e32 v36, vcc, s12, v36
	v_addc_co_u32_e32 v37, vcc, v21, v37, vcc
	v_add_u32_e32 v18, 3, v17
	global_load_dwordx2 v[42:43], v[28:29], off
	global_load_dwordx2 v[44:45], v[30:31], off
	;; [unrolled: 1-line block ×4, first 2 shown]
	v_lshlrev_b64 v[38:39], 3, v[18:19]
	v_subrev_u32_e32 v18, 17, v16
	v_add_co_u32_e32 v38, vcc, s14, v38
	v_addc_co_u32_e32 v39, vcc, v23, v39, vcc
	global_load_dwordx2 v[28:29], v[38:39], off
	v_lshlrev_b64 v[40:41], 3, v[18:19]
	v_add_u32_e32 v18, -10, v16
	v_add_co_u32_e32 v40, vcc, s12, v40
	v_addc_co_u32_e32 v41, vcc, v21, v41, vcc
	s_waitcnt vmcnt(4)
	v_fma_f64 v[7:8], v[24:25], v[42:43], v[7:8]
	v_lshlrev_b64 v[24:25], 3, v[18:19]
	v_add_u32_e32 v18, -3, v16
	v_add_co_u32_e32 v24, vcc, s12, v24
	v_addc_co_u32_e32 v25, vcc, v21, v25, vcc
	s_waitcnt vmcnt(3)
	v_fma_f64 v[9:10], v[44:45], v[42:43], v[9:10]
	s_waitcnt vmcnt(2)
	v_fma_f64 v[13:14], v[46:47], v[42:43], v[13:14]
	;; [unrolled: 2-line block ×4, first 2 shown]
	v_lshlrev_b64 v[26:27], 3, v[18:19]
	v_subrev_u32_e32 v18, 23, v16
	v_add_co_u32_e32 v26, vcc, s12, v26
	v_lshlrev_b64 v[30:31], 3, v[18:19]
	v_addc_co_u32_e32 v27, vcc, v21, v27, vcc
	v_add_co_u32_e32 v30, vcc, s12, v30
	v_addc_co_u32_e32 v31, vcc, v21, v31, vcc
	global_load_dwordx2 v[36:37], v[40:41], off
	global_load_dwordx2 v[38:39], v[24:25], off
	;; [unrolled: 1-line block ×4, first 2 shown]
	v_add_u32_e32 v18, 4, v17
	v_lshlrev_b64 v[32:33], 3, v[18:19]
	v_add_u32_e32 v18, -16, v16
	v_add_co_u32_e32 v32, vcc, s14, v32
	v_addc_co_u32_e32 v33, vcc, v23, v33, vcc
	global_load_dwordx2 v[32:33], v[32:33], off
	v_lshlrev_b64 v[24:25], 3, v[18:19]
	v_add_u32_e32 v18, -9, v16
	v_lshlrev_b64 v[26:27], 3, v[18:19]
	v_add_co_u32_e32 v24, vcc, s12, v24
	v_add_u32_e32 v18, -2, v16
	v_addc_co_u32_e32 v25, vcc, v21, v25, vcc
	v_add_co_u32_e32 v26, vcc, s12, v26
	v_addc_co_u32_e32 v27, vcc, v21, v27, vcc
	s_waitcnt vmcnt(4)
	v_fma_f64 v[9:10], v[36:37], v[28:29], v[9:10]
	s_waitcnt vmcnt(3)
	v_fma_f64 v[13:14], v[38:39], v[28:29], v[13:14]
	;; [unrolled: 2-line block ×3, first 2 shown]
	v_lshlrev_b64 v[28:29], 3, v[18:19]
	v_subrev_u32_e32 v18, 22, v16
	v_add_co_u32_e32 v28, vcc, s12, v28
	v_lshlrev_b64 v[30:31], 3, v[18:19]
	v_addc_co_u32_e32 v29, vcc, v21, v29, vcc
	v_add_u32_e32 v18, 5, v17
	v_add_co_u32_e32 v30, vcc, s12, v30
	v_lshlrev_b64 v[36:37], 3, v[18:19]
	v_addc_co_u32_e32 v31, vcc, v21, v31, vcc
	v_add_co_u32_e32 v36, vcc, s14, v36
	v_addc_co_u32_e32 v37, vcc, v23, v37, vcc
	s_waitcnt vmcnt(0)
	v_fma_f64 v[7:8], v[44:45], v[32:33], v[7:8]
	global_load_dwordx2 v[38:39], v[24:25], off
	global_load_dwordx2 v[40:41], v[26:27], off
	;; [unrolled: 1-line block ×4, first 2 shown]
	v_add_u32_e32 v18, -15, v16
	global_load_dwordx2 v[36:37], v[36:37], off
	v_lshlrev_b64 v[24:25], 3, v[18:19]
	v_add_u32_e32 v18, -8, v16
	v_lshlrev_b64 v[26:27], 3, v[18:19]
	v_add_co_u32_e32 v24, vcc, s12, v24
	v_add_u32_e32 v18, -1, v16
	v_addc_co_u32_e32 v25, vcc, v21, v25, vcc
	v_add_co_u32_e32 v26, vcc, s12, v26
	v_lshlrev_b64 v[28:29], 3, v[18:19]
	v_addc_co_u32_e32 v27, vcc, v21, v27, vcc
	v_subrev_u32_e32 v18, 21, v16
	v_lshlrev_b64 v[30:31], 3, v[18:19]
	v_add_co_u32_e32 v28, vcc, s12, v28
	v_addc_co_u32_e32 v29, vcc, v21, v29, vcc
	v_add_co_u32_e32 v30, vcc, s12, v30
	v_addc_co_u32_e32 v31, vcc, v21, v31, vcc
	v_add_u32_e32 v18, 6, v17
	v_lshlrev_b64 v[17:18], 3, v[18:19]
	s_waitcnt vmcnt(4)
	v_fma_f64 v[9:10], v[38:39], v[32:33], v[9:10]
	s_waitcnt vmcnt(3)
	v_fma_f64 v[13:14], v[40:41], v[32:33], v[13:14]
	;; [unrolled: 2-line block ×3, first 2 shown]
	v_add_co_u32_e32 v32, vcc, s14, v17
	s_waitcnt vmcnt(0)
	v_fma_f64 v[7:8], v[44:45], v[36:37], v[7:8]
	global_load_dwordx2 v[40:41], v[24:25], off
	global_load_dwordx2 v[42:43], v[26:27], off
	;; [unrolled: 1-line block ×4, first 2 shown]
	v_addc_co_u32_e32 v33, vcc, v23, v18, vcc
	v_add_u32_e32 v18, -14, v16
	v_lshlrev_b64 v[17:18], 3, v[18:19]
	v_add_co_u32_e32 v38, vcc, s12, v17
	v_addc_co_u32_e32 v39, vcc, v21, v18, vcc
	v_add_u32_e32 v18, -7, v16
	v_lshlrev_b64 v[17:18], 3, v[18:19]
	v_add_u32_e32 v16, 0x700, v16
	v_add_co_u32_e32 v17, vcc, s12, v17
	v_addc_co_u32_e32 v18, vcc, v21, v18, vcc
	v_cmp_ge_i32_e32 vcc, v6, v22
	s_or_b64 s[0:1], vcc, s[0:1]
	s_waitcnt vmcnt(3)
	v_fma_f64 v[9:10], v[40:41], v[36:37], v[9:10]
	s_waitcnt vmcnt(2)
	v_fma_f64 v[24:25], v[42:43], v[36:37], v[13:14]
	global_load_dwordx2 v[26:27], v[32:33], off
	global_load_dwordx2 v[14:15], v[38:39], off
	global_load_dwordx2 v[28:29], v[17:18], off
	global_load_dwordx2 v[30:31], v[34:35], off
	s_waitcnt vmcnt(5)
	v_fma_f64 v[17:18], v[44:45], v[36:37], v[11:12]
	s_waitcnt vmcnt(3)
	v_fma_f64 v[12:13], v[46:47], v[26:27], v[7:8]
	;; [unrolled: 2-line block ×5, first 2 shown]
	s_andn2_b64 exec, exec, s[0:1]
	s_cbranch_execnz .LBB66_15
; %bb.16:
	s_or_b64 exec, exec, s[0:1]
.LBB66_17:
	s_or_b64 exec, exec, s[6:7]
.LBB66_18:
	v_mov_b32_dpp v6, v12 row_shr:1 row_mask:0xf bank_mask:0xf
	v_mov_b32_dpp v7, v13 row_shr:1 row_mask:0xf bank_mask:0xf
	v_add_f64 v[6:7], v[12:13], v[6:7]
	v_mov_b32_dpp v12, v14 row_shr:1 row_mask:0xf bank_mask:0xf
	v_mov_b32_dpp v13, v15 row_shr:1 row_mask:0xf bank_mask:0xf
	v_add_f64 v[12:13], v[14:15], v[12:13]
	;; [unrolled: 3-line block ×3, first 2 shown]
	v_cmp_eq_u32_e32 vcc, 63, v0
	v_mov_b32_dpp v14, v6 row_shr:2 row_mask:0xf bank_mask:0xf
	v_mov_b32_dpp v15, v7 row_shr:2 row_mask:0xf bank_mask:0xf
	v_add_f64 v[6:7], v[6:7], v[14:15]
	v_mov_b32_dpp v14, v10 row_shr:1 row_mask:0xf bank_mask:0xf
	v_mov_b32_dpp v15, v11 row_shr:1 row_mask:0xf bank_mask:0xf
	v_add_f64 v[10:11], v[10:11], v[14:15]
	v_mov_b32_dpp v14, v12 row_shr:2 row_mask:0xf bank_mask:0xf
	v_mov_b32_dpp v15, v6 row_shr:4 row_mask:0xf bank_mask:0xe
	v_mov_b32_dpp v16, v7 row_shr:4 row_mask:0xf bank_mask:0xe
	v_add_f64 v[6:7], v[6:7], v[15:16]
	v_mov_b32_dpp v15, v13 row_shr:2 row_mask:0xf bank_mask:0xf
	;; [unrolled: 4-line block ×3, first 2 shown]
	v_add_f64 v[10:11], v[10:11], v[16:17]
	v_mov_b32_dpp v15, v9 row_shr:2 row_mask:0xf bank_mask:0xf
	v_add_f64 v[8:9], v[8:9], v[14:15]
	v_mov_b32_dpp v16, v6 row_shr:8 row_mask:0xf bank_mask:0xc
	v_mov_b32_dpp v17, v7 row_shr:8 row_mask:0xf bank_mask:0xc
	v_add_f64 v[6:7], v[6:7], v[16:17]
	v_mov_b32_dpp v14, v12 row_shr:4 row_mask:0xf bank_mask:0xe
	v_mov_b32_dpp v15, v13 row_shr:4 row_mask:0xf bank_mask:0xe
	v_mov_b32_dpp v16, v10 row_shr:4 row_mask:0xf bank_mask:0xe
	v_add_f64 v[12:13], v[12:13], v[14:15]
	v_mov_b32_dpp v17, v11 row_shr:4 row_mask:0xf bank_mask:0xe
	v_add_f64 v[10:11], v[10:11], v[16:17]
	v_mov_b32_dpp v15, v8 row_shr:4 row_mask:0xf bank_mask:0xe
	v_mov_b32_dpp v16, v9 row_shr:4 row_mask:0xf bank_mask:0xe
	v_add_f64 v[8:9], v[8:9], v[15:16]
	v_mov_b32_dpp v14, v6 row_bcast:15 row_mask:0xa bank_mask:0xf
	v_mov_b32_dpp v15, v7 row_bcast:15 row_mask:0xa bank_mask:0xf
	v_mov_b32_dpp v16, v12 row_shr:8 row_mask:0xf bank_mask:0xc
	v_mov_b32_dpp v17, v13 row_shr:8 row_mask:0xf bank_mask:0xc
	v_add_f64 v[12:13], v[12:13], v[16:17]
	v_mov_b32_dpp v16, v10 row_shr:8 row_mask:0xf bank_mask:0xc
	v_mov_b32_dpp v17, v11 row_shr:8 row_mask:0xf bank_mask:0xc
	v_add_f64 v[10:11], v[10:11], v[16:17]
	;; [unrolled: 3-line block ×3, first 2 shown]
	v_add_f64 v[6:7], v[6:7], v[14:15]
	v_mov_b32_dpp v8, v12 row_bcast:15 row_mask:0xa bank_mask:0xf
	v_mov_b32_dpp v9, v13 row_bcast:15 row_mask:0xa bank_mask:0xf
	v_add_f64 v[8:9], v[12:13], v[8:9]
	v_mov_b32_dpp v12, v10 row_bcast:15 row_mask:0xa bank_mask:0xf
	v_mov_b32_dpp v13, v11 row_bcast:15 row_mask:0xa bank_mask:0xf
	;; [unrolled: 3-line block ×4, first 2 shown]
	v_mov_b32_dpp v10, v8 row_bcast:31 row_mask:0xc bank_mask:0xf
	v_mov_b32_dpp v11, v9 row_bcast:31 row_mask:0xc bank_mask:0xf
	;; [unrolled: 1-line block ×6, first 2 shown]
	s_and_b64 exec, exec, vcc
	s_cbranch_execz .LBB66_23
; %bb.19:
	v_add_f64 v[12:13], v[6:7], v[12:13]
	v_add_f64 v[10:11], v[8:9], v[10:11]
	;; [unrolled: 1-line block ×4, first 2 shown]
	v_cmp_eq_f64_e32 vcc, 0, v[3:4]
	s_load_dwordx2 s[0:1], s[4:5], 0x38
	s_and_saveexec_b64 s[2:3], vcc
	s_xor_b64 s[2:3], exec, s[2:3]
	s_cbranch_execz .LBB66_21
; %bb.20:
	v_mul_f64 v[12:13], v[1:2], v[12:13]
	v_mul_f64 v[14:15], v[1:2], v[10:11]
	v_lshlrev_b32_e32 v16, 2, v5
	v_mul_f64 v[3:4], v[1:2], v[6:7]
	v_mul_f64 v[5:6], v[1:2], v[8:9]
	v_ashrrev_i32_e32 v17, 31, v16
	v_lshlrev_b64 v[0:1], 3, v[16:17]
	s_waitcnt lgkmcnt(0)
	v_mov_b32_e32 v2, s1
	v_add_co_u32_e32 v0, vcc, s0, v0
	v_addc_co_u32_e32 v1, vcc, v2, v1, vcc
	global_store_dwordx4 v[0:1], v[12:15], off
	global_store_dwordx4 v[0:1], v[3:6], off offset:16
                                        ; implicit-def: $vgpr5
                                        ; implicit-def: $vgpr1_vgpr2
                                        ; implicit-def: $vgpr12_vgpr13
                                        ; implicit-def: $vgpr3_vgpr4
                                        ; implicit-def: $vgpr10_vgpr11
                                        ; implicit-def: $vgpr6_vgpr7
                                        ; implicit-def: $vgpr8_vgpr9
.LBB66_21:
	s_andn2_saveexec_b64 s[2:3], s[2:3]
	s_cbranch_execz .LBB66_23
; %bb.22:
	v_lshlrev_b32_e32 v14, 2, v5
	v_ashrrev_i32_e32 v15, 31, v14
	v_lshlrev_b64 v[14:15], 3, v[14:15]
	s_waitcnt lgkmcnt(0)
	v_mov_b32_e32 v0, s1
	v_add_co_u32_e32 v22, vcc, s0, v14
	v_addc_co_u32_e32 v23, vcc, v0, v15, vcc
	global_load_dwordx4 v[14:17], v[22:23], off
	global_load_dwordx4 v[18:21], v[22:23], off offset:16
	v_mul_f64 v[12:13], v[1:2], v[12:13]
	v_mul_f64 v[10:11], v[1:2], v[10:11]
	v_mul_f64 v[24:25], v[1:2], v[6:7]
	v_mul_f64 v[26:27], v[1:2], v[8:9]
	s_waitcnt vmcnt(1)
	v_fma_f64 v[5:6], v[3:4], v[14:15], v[12:13]
	v_fma_f64 v[7:8], v[3:4], v[16:17], v[10:11]
	s_waitcnt vmcnt(0)
	v_fma_f64 v[0:1], v[3:4], v[18:19], v[24:25]
	v_fma_f64 v[2:3], v[3:4], v[20:21], v[26:27]
	global_store_dwordx4 v[22:23], v[5:8], off
	global_store_dwordx4 v[22:23], v[0:3], off offset:16
.LBB66_23:
	s_endpgm
	.section	.rodata,"a",@progbits
	.p2align	6, 0x0
	.amdhsa_kernel _ZN9rocsparseL19gebsrmvn_4xn_kernelILj128ELj7ELj64EdEEvi20rocsparse_direction_NS_24const_host_device_scalarIT2_EEPKiS6_PKS3_S8_S4_PS3_21rocsparse_index_base_b
		.amdhsa_group_segment_fixed_size 0
		.amdhsa_private_segment_fixed_size 0
		.amdhsa_kernarg_size 72
		.amdhsa_user_sgpr_count 6
		.amdhsa_user_sgpr_private_segment_buffer 1
		.amdhsa_user_sgpr_dispatch_ptr 0
		.amdhsa_user_sgpr_queue_ptr 0
		.amdhsa_user_sgpr_kernarg_segment_ptr 1
		.amdhsa_user_sgpr_dispatch_id 0
		.amdhsa_user_sgpr_flat_scratch_init 0
		.amdhsa_user_sgpr_private_segment_size 0
		.amdhsa_uses_dynamic_stack 0
		.amdhsa_system_sgpr_private_segment_wavefront_offset 0
		.amdhsa_system_sgpr_workgroup_id_x 1
		.amdhsa_system_sgpr_workgroup_id_y 0
		.amdhsa_system_sgpr_workgroup_id_z 0
		.amdhsa_system_sgpr_workgroup_info 0
		.amdhsa_system_vgpr_workitem_id 0
		.amdhsa_next_free_vgpr 55
		.amdhsa_next_free_sgpr 16
		.amdhsa_reserve_vcc 1
		.amdhsa_reserve_flat_scratch 0
		.amdhsa_float_round_mode_32 0
		.amdhsa_float_round_mode_16_64 0
		.amdhsa_float_denorm_mode_32 3
		.amdhsa_float_denorm_mode_16_64 3
		.amdhsa_dx10_clamp 1
		.amdhsa_ieee_mode 1
		.amdhsa_fp16_overflow 0
		.amdhsa_exception_fp_ieee_invalid_op 0
		.amdhsa_exception_fp_denorm_src 0
		.amdhsa_exception_fp_ieee_div_zero 0
		.amdhsa_exception_fp_ieee_overflow 0
		.amdhsa_exception_fp_ieee_underflow 0
		.amdhsa_exception_fp_ieee_inexact 0
		.amdhsa_exception_int_div_zero 0
	.end_amdhsa_kernel
	.section	.text._ZN9rocsparseL19gebsrmvn_4xn_kernelILj128ELj7ELj64EdEEvi20rocsparse_direction_NS_24const_host_device_scalarIT2_EEPKiS6_PKS3_S8_S4_PS3_21rocsparse_index_base_b,"axG",@progbits,_ZN9rocsparseL19gebsrmvn_4xn_kernelILj128ELj7ELj64EdEEvi20rocsparse_direction_NS_24const_host_device_scalarIT2_EEPKiS6_PKS3_S8_S4_PS3_21rocsparse_index_base_b,comdat
.Lfunc_end66:
	.size	_ZN9rocsparseL19gebsrmvn_4xn_kernelILj128ELj7ELj64EdEEvi20rocsparse_direction_NS_24const_host_device_scalarIT2_EEPKiS6_PKS3_S8_S4_PS3_21rocsparse_index_base_b, .Lfunc_end66-_ZN9rocsparseL19gebsrmvn_4xn_kernelILj128ELj7ELj64EdEEvi20rocsparse_direction_NS_24const_host_device_scalarIT2_EEPKiS6_PKS3_S8_S4_PS3_21rocsparse_index_base_b
                                        ; -- End function
	.set _ZN9rocsparseL19gebsrmvn_4xn_kernelILj128ELj7ELj64EdEEvi20rocsparse_direction_NS_24const_host_device_scalarIT2_EEPKiS6_PKS3_S8_S4_PS3_21rocsparse_index_base_b.num_vgpr, 55
	.set _ZN9rocsparseL19gebsrmvn_4xn_kernelILj128ELj7ELj64EdEEvi20rocsparse_direction_NS_24const_host_device_scalarIT2_EEPKiS6_PKS3_S8_S4_PS3_21rocsparse_index_base_b.num_agpr, 0
	.set _ZN9rocsparseL19gebsrmvn_4xn_kernelILj128ELj7ELj64EdEEvi20rocsparse_direction_NS_24const_host_device_scalarIT2_EEPKiS6_PKS3_S8_S4_PS3_21rocsparse_index_base_b.numbered_sgpr, 16
	.set _ZN9rocsparseL19gebsrmvn_4xn_kernelILj128ELj7ELj64EdEEvi20rocsparse_direction_NS_24const_host_device_scalarIT2_EEPKiS6_PKS3_S8_S4_PS3_21rocsparse_index_base_b.num_named_barrier, 0
	.set _ZN9rocsparseL19gebsrmvn_4xn_kernelILj128ELj7ELj64EdEEvi20rocsparse_direction_NS_24const_host_device_scalarIT2_EEPKiS6_PKS3_S8_S4_PS3_21rocsparse_index_base_b.private_seg_size, 0
	.set _ZN9rocsparseL19gebsrmvn_4xn_kernelILj128ELj7ELj64EdEEvi20rocsparse_direction_NS_24const_host_device_scalarIT2_EEPKiS6_PKS3_S8_S4_PS3_21rocsparse_index_base_b.uses_vcc, 1
	.set _ZN9rocsparseL19gebsrmvn_4xn_kernelILj128ELj7ELj64EdEEvi20rocsparse_direction_NS_24const_host_device_scalarIT2_EEPKiS6_PKS3_S8_S4_PS3_21rocsparse_index_base_b.uses_flat_scratch, 0
	.set _ZN9rocsparseL19gebsrmvn_4xn_kernelILj128ELj7ELj64EdEEvi20rocsparse_direction_NS_24const_host_device_scalarIT2_EEPKiS6_PKS3_S8_S4_PS3_21rocsparse_index_base_b.has_dyn_sized_stack, 0
	.set _ZN9rocsparseL19gebsrmvn_4xn_kernelILj128ELj7ELj64EdEEvi20rocsparse_direction_NS_24const_host_device_scalarIT2_EEPKiS6_PKS3_S8_S4_PS3_21rocsparse_index_base_b.has_recursion, 0
	.set _ZN9rocsparseL19gebsrmvn_4xn_kernelILj128ELj7ELj64EdEEvi20rocsparse_direction_NS_24const_host_device_scalarIT2_EEPKiS6_PKS3_S8_S4_PS3_21rocsparse_index_base_b.has_indirect_call, 0
	.section	.AMDGPU.csdata,"",@progbits
; Kernel info:
; codeLenInByte = 3408
; TotalNumSgprs: 20
; NumVgprs: 55
; ScratchSize: 0
; MemoryBound: 1
; FloatMode: 240
; IeeeMode: 1
; LDSByteSize: 0 bytes/workgroup (compile time only)
; SGPRBlocks: 2
; VGPRBlocks: 13
; NumSGPRsForWavesPerEU: 20
; NumVGPRsForWavesPerEU: 55
; Occupancy: 4
; WaveLimiterHint : 1
; COMPUTE_PGM_RSRC2:SCRATCH_EN: 0
; COMPUTE_PGM_RSRC2:USER_SGPR: 6
; COMPUTE_PGM_RSRC2:TRAP_HANDLER: 0
; COMPUTE_PGM_RSRC2:TGID_X_EN: 1
; COMPUTE_PGM_RSRC2:TGID_Y_EN: 0
; COMPUTE_PGM_RSRC2:TGID_Z_EN: 0
; COMPUTE_PGM_RSRC2:TIDIG_COMP_CNT: 0
	.section	.text._ZN9rocsparseL19gebsrmvn_4xn_kernelILj128ELj8ELj4EdEEvi20rocsparse_direction_NS_24const_host_device_scalarIT2_EEPKiS6_PKS3_S8_S4_PS3_21rocsparse_index_base_b,"axG",@progbits,_ZN9rocsparseL19gebsrmvn_4xn_kernelILj128ELj8ELj4EdEEvi20rocsparse_direction_NS_24const_host_device_scalarIT2_EEPKiS6_PKS3_S8_S4_PS3_21rocsparse_index_base_b,comdat
	.globl	_ZN9rocsparseL19gebsrmvn_4xn_kernelILj128ELj8ELj4EdEEvi20rocsparse_direction_NS_24const_host_device_scalarIT2_EEPKiS6_PKS3_S8_S4_PS3_21rocsparse_index_base_b ; -- Begin function _ZN9rocsparseL19gebsrmvn_4xn_kernelILj128ELj8ELj4EdEEvi20rocsparse_direction_NS_24const_host_device_scalarIT2_EEPKiS6_PKS3_S8_S4_PS3_21rocsparse_index_base_b
	.p2align	8
	.type	_ZN9rocsparseL19gebsrmvn_4xn_kernelILj128ELj8ELj4EdEEvi20rocsparse_direction_NS_24const_host_device_scalarIT2_EEPKiS6_PKS3_S8_S4_PS3_21rocsparse_index_base_b,@function
_ZN9rocsparseL19gebsrmvn_4xn_kernelILj128ELj8ELj4EdEEvi20rocsparse_direction_NS_24const_host_device_scalarIT2_EEPKiS6_PKS3_S8_S4_PS3_21rocsparse_index_base_b: ; @_ZN9rocsparseL19gebsrmvn_4xn_kernelILj128ELj8ELj4EdEEvi20rocsparse_direction_NS_24const_host_device_scalarIT2_EEPKiS6_PKS3_S8_S4_PS3_21rocsparse_index_base_b
; %bb.0:
	s_load_dwordx2 s[2:3], s[4:5], 0x40
	s_load_dwordx2 s[10:11], s[4:5], 0x8
	s_load_dwordx2 s[0:1], s[4:5], 0x30
	s_waitcnt lgkmcnt(0)
	s_bitcmp1_b32 s3, 0
	s_cselect_b64 s[12:13], -1, 0
	v_mov_b32_e32 v1, s10
	s_xor_b64 s[8:9], s[12:13], -1
	s_and_b64 vcc, exec, s[12:13]
	v_mov_b32_e32 v2, s11
	s_cbranch_vccnz .LBB67_2
; %bb.1:
	v_mov_b32_e32 v1, s10
	v_mov_b32_e32 v2, s11
	flat_load_dwordx2 v[1:2], v[1:2]
.LBB67_2:
	v_mov_b32_e32 v4, s1
	s_andn2_b64 vcc, exec, s[8:9]
	v_mov_b32_e32 v3, s0
	s_cbranch_vccnz .LBB67_4
; %bb.3:
	v_mov_b32_e32 v4, s1
	v_mov_b32_e32 v3, s0
	flat_load_dwordx2 v[3:4], v[3:4]
.LBB67_4:
	s_waitcnt vmcnt(0) lgkmcnt(0)
	v_cmp_neq_f64_e32 vcc, 0, v[1:2]
	v_cmp_neq_f64_e64 s[0:1], 1.0, v[3:4]
	s_or_b64 s[0:1], vcc, s[0:1]
	s_and_saveexec_b64 s[8:9], s[0:1]
	s_cbranch_execz .LBB67_23
; %bb.5:
	s_load_dwordx2 s[0:1], s[4:5], 0x0
	v_lshrrev_b32_e32 v5, 2, v0
	v_lshl_or_b32 v5, s6, 5, v5
	s_waitcnt lgkmcnt(0)
	v_cmp_gt_i32_e32 vcc, s0, v5
	s_and_b64 exec, exec, vcc
	s_cbranch_execz .LBB67_23
; %bb.6:
	s_load_dwordx8 s[8:15], s[4:5], 0x10
	v_ashrrev_i32_e32 v6, 31, v5
	v_lshlrev_b64 v[6:7], 2, v[5:6]
	v_and_b32_e32 v0, 3, v0
	s_cmp_lg_u32 s1, 0
	s_waitcnt lgkmcnt(0)
	v_mov_b32_e32 v8, s9
	v_add_co_u32_e32 v6, vcc, s8, v6
	v_addc_co_u32_e32 v7, vcc, v8, v7, vcc
	global_load_dwordx2 v[6:7], v[6:7], off
	s_waitcnt vmcnt(0)
	v_subrev_u32_e32 v6, s2, v6
	v_subrev_u32_e32 v20, s2, v7
	v_add_u32_e32 v6, v6, v0
	v_cmp_lt_i32_e64 s[0:1], v6, v20
	s_cbranch_scc0 .LBB67_12
; %bb.7:
	v_mov_b32_e32 v12, 0
	v_mov_b32_e32 v8, 0
	;; [unrolled: 1-line block ×8, first 2 shown]
	s_and_saveexec_b64 s[6:7], s[0:1]
	s_cbranch_execz .LBB67_11
; %bb.8:
	v_mov_b32_e32 v12, 0
	v_mov_b32_e32 v8, 0
	;; [unrolled: 1-line block ×4, first 2 shown]
	v_lshlrev_b32_e32 v16, 5, v6
	v_mov_b32_e32 v13, 0
	s_mov_b64 s[8:9], 0
	v_mov_b32_e32 v7, s11
	v_mov_b32_e32 v17, 0
	;; [unrolled: 1-line block ×8, first 2 shown]
.LBB67_9:                               ; =>This Inner Loop Header: Depth=1
	v_lshlrev_b64 v[23:24], 3, v[16:17]
	v_ashrrev_i32_e32 v19, 31, v18
	v_lshlrev_b64 v[26:27], 2, v[18:19]
	v_add_co_u32_e32 v31, vcc, s12, v23
	v_addc_co_u32_e32 v32, vcc, v21, v24, vcc
	v_add_co_u32_e32 v23, vcc, s10, v26
	v_addc_co_u32_e32 v24, vcc, v7, v27, vcc
	global_load_dword v19, v[23:24], off
	v_mov_b32_e32 v25, v17
	v_add_u32_e32 v18, 4, v18
	v_add_u32_e32 v16, 0x80, v16
	s_waitcnt vmcnt(0)
	v_subrev_u32_e32 v19, s2, v19
	v_lshlrev_b32_e32 v24, 3, v19
	v_lshlrev_b64 v[23:24], 3, v[24:25]
	v_add_co_u32_e32 v33, vcc, s14, v23
	v_addc_co_u32_e32 v34, vcc, v22, v24, vcc
	global_load_dwordx4 v[23:26], v[31:32], off
	global_load_dwordx4 v[27:30], v[33:34], off
	v_cmp_ge_i32_e32 vcc, v18, v20
	s_or_b64 s[8:9], vcc, s[8:9]
	s_waitcnt vmcnt(0)
	v_fma_f64 v[23:24], v[23:24], v[27:28], v[12:13]
	v_fma_f64 v[25:26], v[25:26], v[27:28], v[14:15]
	global_load_dwordx4 v[12:15], v[31:32], off offset:16
	s_waitcnt vmcnt(0)
	v_fma_f64 v[12:13], v[12:13], v[27:28], v[10:11]
	v_fma_f64 v[14:15], v[14:15], v[27:28], v[8:9]
	global_load_dwordx4 v[8:11], v[31:32], off offset:32
	s_waitcnt vmcnt(0)
	v_fma_f64 v[23:24], v[8:9], v[29:30], v[23:24]
	v_fma_f64 v[25:26], v[10:11], v[29:30], v[25:26]
	global_load_dwordx4 v[8:11], v[31:32], off offset:48
	s_waitcnt vmcnt(0)
	v_fma_f64 v[27:28], v[8:9], v[29:30], v[12:13]
	v_fma_f64 v[29:30], v[10:11], v[29:30], v[14:15]
	global_load_dwordx4 v[8:11], v[31:32], off offset:64
	global_load_dwordx4 v[12:15], v[33:34], off offset:16
	s_waitcnt vmcnt(0)
	v_fma_f64 v[23:24], v[8:9], v[12:13], v[23:24]
	v_fma_f64 v[25:26], v[10:11], v[12:13], v[25:26]
	global_load_dwordx4 v[8:11], v[31:32], off offset:80
	s_waitcnt vmcnt(0)
	v_fma_f64 v[27:28], v[8:9], v[12:13], v[27:28]
	v_fma_f64 v[12:13], v[10:11], v[12:13], v[29:30]
	global_load_dwordx4 v[8:11], v[31:32], off offset:96
	s_waitcnt vmcnt(0)
	v_fma_f64 v[23:24], v[8:9], v[14:15], v[23:24]
	v_fma_f64 v[25:26], v[10:11], v[14:15], v[25:26]
	global_load_dwordx4 v[8:11], v[31:32], off offset:112
	s_waitcnt vmcnt(0)
	v_fma_f64 v[27:28], v[8:9], v[14:15], v[27:28]
	v_fma_f64 v[29:30], v[10:11], v[14:15], v[12:13]
	global_load_dwordx4 v[8:11], v[31:32], off offset:128
	global_load_dwordx4 v[12:15], v[33:34], off offset:32
	;; [unrolled: 17-line block ×3, first 2 shown]
	s_waitcnt vmcnt(0)
	v_fma_f64 v[14:15], v[8:9], v[23:24], v[29:30]
	v_fma_f64 v[29:30], v[10:11], v[23:24], v[35:36]
	global_load_dwordx4 v[8:11], v[31:32], off offset:208
	s_waitcnt vmcnt(0)
	v_fma_f64 v[33:34], v[8:9], v[23:24], v[27:28]
	v_fma_f64 v[23:24], v[10:11], v[23:24], v[12:13]
	global_load_dwordx4 v[8:11], v[31:32], off offset:224
	;; [unrolled: 4-line block ×3, first 2 shown]
	s_waitcnt vmcnt(0)
	v_fma_f64 v[10:11], v[27:28], v[25:26], v[33:34]
	v_fma_f64 v[8:9], v[29:30], v[25:26], v[23:24]
	s_andn2_b64 exec, exec, s[8:9]
	s_cbranch_execnz .LBB67_9
; %bb.10:
	s_or_b64 exec, exec, s[8:9]
.LBB67_11:
	s_or_b64 exec, exec, s[6:7]
	s_cbranch_execz .LBB67_13
	s_branch .LBB67_18
.LBB67_12:
                                        ; implicit-def: $vgpr12_vgpr13
                                        ; implicit-def: $vgpr8_vgpr9
                                        ; implicit-def: $vgpr10_vgpr11
                                        ; implicit-def: $vgpr14_vgpr15
.LBB67_13:
	v_mov_b32_e32 v12, 0
	v_mov_b32_e32 v8, 0
	;; [unrolled: 1-line block ×8, first 2 shown]
	s_and_saveexec_b64 s[6:7], s[0:1]
	s_cbranch_execz .LBB67_17
; %bb.14:
	v_mov_b32_e32 v12, 0
	v_mov_b32_e32 v8, 0
	;; [unrolled: 1-line block ×4, first 2 shown]
	v_lshlrev_b32_e32 v16, 5, v6
	v_mov_b32_e32 v13, 0
	s_mov_b64 s[0:1], 0
	v_mov_b32_e32 v18, s11
	v_mov_b32_e32 v17, 0
	;; [unrolled: 1-line block ×7, first 2 shown]
.LBB67_15:                              ; =>This Inner Loop Header: Depth=1
	v_lshlrev_b64 v[22:23], 3, v[16:17]
	v_ashrrev_i32_e32 v7, 31, v6
	v_lshlrev_b64 v[24:25], 2, v[6:7]
	v_add_co_u32_e32 v46, vcc, s12, v22
	v_addc_co_u32_e32 v47, vcc, v19, v23, vcc
	v_add_co_u32_e32 v32, vcc, s10, v24
	v_addc_co_u32_e32 v33, vcc, v18, v25, vcc
	global_load_dwordx4 v[22:25], v[46:47], off
	global_load_dwordx4 v[26:29], v[46:47], off offset:16
	global_load_dword v7, v[32:33], off
	v_mov_b32_e32 v31, v17
	v_add_u32_e32 v6, 4, v6
	v_add_u32_e32 v16, 0x80, v16
	s_waitcnt vmcnt(0)
	v_subrev_u32_e32 v7, s2, v7
	v_lshlrev_b32_e32 v30, 3, v7
	v_lshlrev_b64 v[30:31], 3, v[30:31]
	v_add_co_u32_e32 v48, vcc, s14, v30
	v_addc_co_u32_e32 v49, vcc, v21, v31, vcc
	global_load_dwordx4 v[30:33], v[48:49], off
	global_load_dwordx4 v[34:37], v[48:49], off offset:16
	v_cmp_ge_i32_e32 vcc, v6, v20
	s_or_b64 s[0:1], vcc, s[0:1]
	s_waitcnt vmcnt(1)
	v_fma_f64 v[12:13], v[22:23], v[30:31], v[12:13]
	v_fma_f64 v[50:51], v[24:25], v[32:33], v[12:13]
	global_load_dwordx4 v[22:25], v[46:47], off offset:64
	global_load_dwordx4 v[38:41], v[46:47], off offset:80
	s_waitcnt vmcnt(1)
	v_fma_f64 v[12:13], v[22:23], v[30:31], v[14:15]
	v_fma_f64 v[52:53], v[24:25], v[32:33], v[12:13]
	global_load_dwordx4 v[12:15], v[46:47], off offset:128
	global_load_dwordx4 v[22:25], v[46:47], off offset:144
	;; [unrolled: 5-line block ×3, first 2 shown]
	s_waitcnt vmcnt(1)
	v_fma_f64 v[7:8], v[10:11], v[30:31], v[8:9]
	v_fma_f64 v[11:12], v[12:13], v[32:33], v[7:8]
	;; [unrolled: 1-line block ×3, first 2 shown]
	s_waitcnt vmcnt(0)
	v_fma_f64 v[11:12], v[42:43], v[34:35], v[11:12]
	v_fma_f64 v[30:31], v[28:29], v[36:37], v[7:8]
	;; [unrolled: 1-line block ×7, first 2 shown]
	global_load_dwordx4 v[7:10], v[46:47], off offset:32
	global_load_dwordx4 v[11:14], v[46:47], off offset:48
	;; [unrolled: 1-line block ×4, first 2 shown]
	s_waitcnt vmcnt(1)
	v_fma_f64 v[7:8], v[7:8], v[22:23], v[30:31]
	v_fma_f64 v[44:45], v[9:10], v[24:25], v[7:8]
	global_load_dwordx4 v[7:10], v[46:47], off offset:96
	global_load_dwordx4 v[30:33], v[46:47], off offset:112
	s_waitcnt vmcnt(1)
	v_fma_f64 v[7:8], v[7:8], v[22:23], v[38:39]
	v_fma_f64 v[48:49], v[9:10], v[24:25], v[7:8]
	global_load_dwordx4 v[7:10], v[46:47], off offset:160
	global_load_dwordx4 v[34:37], v[46:47], off offset:176
	;; [unrolled: 5-line block ×3, first 2 shown]
	s_waitcnt vmcnt(1)
	v_fma_f64 v[7:8], v[7:8], v[22:23], v[42:43]
	v_fma_f64 v[22:23], v[34:35], v[26:27], v[50:51]
	v_fma_f64 v[7:8], v[9:10], v[24:25], v[7:8]
	v_fma_f64 v[9:10], v[11:12], v[26:27], v[44:45]
	s_waitcnt vmcnt(0)
	v_fma_f64 v[7:8], v[38:39], v[26:27], v[7:8]
	v_fma_f64 v[12:13], v[13:14], v[28:29], v[9:10]
	;; [unrolled: 1-line block ×6, first 2 shown]
	s_andn2_b64 exec, exec, s[0:1]
	s_cbranch_execnz .LBB67_15
; %bb.16:
	s_or_b64 exec, exec, s[0:1]
.LBB67_17:
	s_or_b64 exec, exec, s[6:7]
.LBB67_18:
	v_mov_b32_dpp v6, v12 row_shr:1 row_mask:0xf bank_mask:0xf
	v_mov_b32_dpp v7, v13 row_shr:1 row_mask:0xf bank_mask:0xf
	v_add_f64 v[6:7], v[12:13], v[6:7]
	v_mov_b32_dpp v12, v14 row_shr:1 row_mask:0xf bank_mask:0xf
	v_mov_b32_dpp v13, v15 row_shr:1 row_mask:0xf bank_mask:0xf
	v_add_f64 v[14:15], v[14:15], v[12:13]
	;; [unrolled: 3-line block ×4, first 2 shown]
	v_mov_b32_dpp v12, v6 row_shr:2 row_mask:0xf bank_mask:0xf
	v_mov_b32_dpp v13, v7 row_shr:2 row_mask:0xf bank_mask:0xf
	;; [unrolled: 1-line block ×6, first 2 shown]
	v_cmp_eq_u32_e32 vcc, 3, v0
	v_mov_b32_dpp v18, v8 row_shr:2 row_mask:0xf bank_mask:0xf
	v_mov_b32_dpp v19, v9 row_shr:2 row_mask:0xf bank_mask:0xf
	s_and_b64 exec, exec, vcc
	s_cbranch_execz .LBB67_23
; %bb.19:
	v_add_f64 v[12:13], v[6:7], v[12:13]
	v_add_f64 v[10:11], v[14:15], v[10:11]
	;; [unrolled: 1-line block ×4, first 2 shown]
	v_cmp_eq_f64_e32 vcc, 0, v[3:4]
	s_load_dwordx2 s[0:1], s[4:5], 0x38
	s_and_saveexec_b64 s[2:3], vcc
	s_xor_b64 s[2:3], exec, s[2:3]
	s_cbranch_execz .LBB67_21
; %bb.20:
	v_mul_f64 v[12:13], v[1:2], v[12:13]
	v_mul_f64 v[14:15], v[1:2], v[10:11]
	v_lshlrev_b32_e32 v16, 2, v5
	v_mul_f64 v[3:4], v[1:2], v[6:7]
	v_mul_f64 v[5:6], v[1:2], v[8:9]
	v_ashrrev_i32_e32 v17, 31, v16
	v_lshlrev_b64 v[0:1], 3, v[16:17]
	s_waitcnt lgkmcnt(0)
	v_mov_b32_e32 v2, s1
	v_add_co_u32_e32 v0, vcc, s0, v0
	v_addc_co_u32_e32 v1, vcc, v2, v1, vcc
	global_store_dwordx4 v[0:1], v[12:15], off
	global_store_dwordx4 v[0:1], v[3:6], off offset:16
                                        ; implicit-def: $vgpr5
                                        ; implicit-def: $vgpr1_vgpr2
                                        ; implicit-def: $vgpr12_vgpr13
                                        ; implicit-def: $vgpr3_vgpr4
                                        ; implicit-def: $vgpr10_vgpr11
                                        ; implicit-def: $vgpr6_vgpr7
                                        ; implicit-def: $vgpr8_vgpr9
.LBB67_21:
	s_andn2_saveexec_b64 s[2:3], s[2:3]
	s_cbranch_execz .LBB67_23
; %bb.22:
	v_lshlrev_b32_e32 v14, 2, v5
	v_ashrrev_i32_e32 v15, 31, v14
	v_lshlrev_b64 v[14:15], 3, v[14:15]
	s_waitcnt lgkmcnt(0)
	v_mov_b32_e32 v0, s1
	v_add_co_u32_e32 v22, vcc, s0, v14
	v_addc_co_u32_e32 v23, vcc, v0, v15, vcc
	global_load_dwordx4 v[14:17], v[22:23], off
	global_load_dwordx4 v[18:21], v[22:23], off offset:16
	v_mul_f64 v[12:13], v[1:2], v[12:13]
	v_mul_f64 v[10:11], v[1:2], v[10:11]
	;; [unrolled: 1-line block ×4, first 2 shown]
	s_waitcnt vmcnt(1)
	v_fma_f64 v[5:6], v[3:4], v[14:15], v[12:13]
	v_fma_f64 v[7:8], v[3:4], v[16:17], v[10:11]
	s_waitcnt vmcnt(0)
	v_fma_f64 v[0:1], v[3:4], v[18:19], v[24:25]
	v_fma_f64 v[2:3], v[3:4], v[20:21], v[26:27]
	global_store_dwordx4 v[22:23], v[5:8], off
	global_store_dwordx4 v[22:23], v[0:3], off offset:16
.LBB67_23:
	s_endpgm
	.section	.rodata,"a",@progbits
	.p2align	6, 0x0
	.amdhsa_kernel _ZN9rocsparseL19gebsrmvn_4xn_kernelILj128ELj8ELj4EdEEvi20rocsparse_direction_NS_24const_host_device_scalarIT2_EEPKiS6_PKS3_S8_S4_PS3_21rocsparse_index_base_b
		.amdhsa_group_segment_fixed_size 0
		.amdhsa_private_segment_fixed_size 0
		.amdhsa_kernarg_size 72
		.amdhsa_user_sgpr_count 6
		.amdhsa_user_sgpr_private_segment_buffer 1
		.amdhsa_user_sgpr_dispatch_ptr 0
		.amdhsa_user_sgpr_queue_ptr 0
		.amdhsa_user_sgpr_kernarg_segment_ptr 1
		.amdhsa_user_sgpr_dispatch_id 0
		.amdhsa_user_sgpr_flat_scratch_init 0
		.amdhsa_user_sgpr_private_segment_size 0
		.amdhsa_uses_dynamic_stack 0
		.amdhsa_system_sgpr_private_segment_wavefront_offset 0
		.amdhsa_system_sgpr_workgroup_id_x 1
		.amdhsa_system_sgpr_workgroup_id_y 0
		.amdhsa_system_sgpr_workgroup_id_z 0
		.amdhsa_system_sgpr_workgroup_info 0
		.amdhsa_system_vgpr_workitem_id 0
		.amdhsa_next_free_vgpr 54
		.amdhsa_next_free_sgpr 16
		.amdhsa_reserve_vcc 1
		.amdhsa_reserve_flat_scratch 0
		.amdhsa_float_round_mode_32 0
		.amdhsa_float_round_mode_16_64 0
		.amdhsa_float_denorm_mode_32 3
		.amdhsa_float_denorm_mode_16_64 3
		.amdhsa_dx10_clamp 1
		.amdhsa_ieee_mode 1
		.amdhsa_fp16_overflow 0
		.amdhsa_exception_fp_ieee_invalid_op 0
		.amdhsa_exception_fp_denorm_src 0
		.amdhsa_exception_fp_ieee_div_zero 0
		.amdhsa_exception_fp_ieee_overflow 0
		.amdhsa_exception_fp_ieee_underflow 0
		.amdhsa_exception_fp_ieee_inexact 0
		.amdhsa_exception_int_div_zero 0
	.end_amdhsa_kernel
	.section	.text._ZN9rocsparseL19gebsrmvn_4xn_kernelILj128ELj8ELj4EdEEvi20rocsparse_direction_NS_24const_host_device_scalarIT2_EEPKiS6_PKS3_S8_S4_PS3_21rocsparse_index_base_b,"axG",@progbits,_ZN9rocsparseL19gebsrmvn_4xn_kernelILj128ELj8ELj4EdEEvi20rocsparse_direction_NS_24const_host_device_scalarIT2_EEPKiS6_PKS3_S8_S4_PS3_21rocsparse_index_base_b,comdat
.Lfunc_end67:
	.size	_ZN9rocsparseL19gebsrmvn_4xn_kernelILj128ELj8ELj4EdEEvi20rocsparse_direction_NS_24const_host_device_scalarIT2_EEPKiS6_PKS3_S8_S4_PS3_21rocsparse_index_base_b, .Lfunc_end67-_ZN9rocsparseL19gebsrmvn_4xn_kernelILj128ELj8ELj4EdEEvi20rocsparse_direction_NS_24const_host_device_scalarIT2_EEPKiS6_PKS3_S8_S4_PS3_21rocsparse_index_base_b
                                        ; -- End function
	.set _ZN9rocsparseL19gebsrmvn_4xn_kernelILj128ELj8ELj4EdEEvi20rocsparse_direction_NS_24const_host_device_scalarIT2_EEPKiS6_PKS3_S8_S4_PS3_21rocsparse_index_base_b.num_vgpr, 54
	.set _ZN9rocsparseL19gebsrmvn_4xn_kernelILj128ELj8ELj4EdEEvi20rocsparse_direction_NS_24const_host_device_scalarIT2_EEPKiS6_PKS3_S8_S4_PS3_21rocsparse_index_base_b.num_agpr, 0
	.set _ZN9rocsparseL19gebsrmvn_4xn_kernelILj128ELj8ELj4EdEEvi20rocsparse_direction_NS_24const_host_device_scalarIT2_EEPKiS6_PKS3_S8_S4_PS3_21rocsparse_index_base_b.numbered_sgpr, 16
	.set _ZN9rocsparseL19gebsrmvn_4xn_kernelILj128ELj8ELj4EdEEvi20rocsparse_direction_NS_24const_host_device_scalarIT2_EEPKiS6_PKS3_S8_S4_PS3_21rocsparse_index_base_b.num_named_barrier, 0
	.set _ZN9rocsparseL19gebsrmvn_4xn_kernelILj128ELj8ELj4EdEEvi20rocsparse_direction_NS_24const_host_device_scalarIT2_EEPKiS6_PKS3_S8_S4_PS3_21rocsparse_index_base_b.private_seg_size, 0
	.set _ZN9rocsparseL19gebsrmvn_4xn_kernelILj128ELj8ELj4EdEEvi20rocsparse_direction_NS_24const_host_device_scalarIT2_EEPKiS6_PKS3_S8_S4_PS3_21rocsparse_index_base_b.uses_vcc, 1
	.set _ZN9rocsparseL19gebsrmvn_4xn_kernelILj128ELj8ELj4EdEEvi20rocsparse_direction_NS_24const_host_device_scalarIT2_EEPKiS6_PKS3_S8_S4_PS3_21rocsparse_index_base_b.uses_flat_scratch, 0
	.set _ZN9rocsparseL19gebsrmvn_4xn_kernelILj128ELj8ELj4EdEEvi20rocsparse_direction_NS_24const_host_device_scalarIT2_EEPKiS6_PKS3_S8_S4_PS3_21rocsparse_index_base_b.has_dyn_sized_stack, 0
	.set _ZN9rocsparseL19gebsrmvn_4xn_kernelILj128ELj8ELj4EdEEvi20rocsparse_direction_NS_24const_host_device_scalarIT2_EEPKiS6_PKS3_S8_S4_PS3_21rocsparse_index_base_b.has_recursion, 0
	.set _ZN9rocsparseL19gebsrmvn_4xn_kernelILj128ELj8ELj4EdEEvi20rocsparse_direction_NS_24const_host_device_scalarIT2_EEPKiS6_PKS3_S8_S4_PS3_21rocsparse_index_base_b.has_indirect_call, 0
	.section	.AMDGPU.csdata,"",@progbits
; Kernel info:
; codeLenInByte = 2068
; TotalNumSgprs: 20
; NumVgprs: 54
; ScratchSize: 0
; MemoryBound: 1
; FloatMode: 240
; IeeeMode: 1
; LDSByteSize: 0 bytes/workgroup (compile time only)
; SGPRBlocks: 2
; VGPRBlocks: 13
; NumSGPRsForWavesPerEU: 20
; NumVGPRsForWavesPerEU: 54
; Occupancy: 4
; WaveLimiterHint : 1
; COMPUTE_PGM_RSRC2:SCRATCH_EN: 0
; COMPUTE_PGM_RSRC2:USER_SGPR: 6
; COMPUTE_PGM_RSRC2:TRAP_HANDLER: 0
; COMPUTE_PGM_RSRC2:TGID_X_EN: 1
; COMPUTE_PGM_RSRC2:TGID_Y_EN: 0
; COMPUTE_PGM_RSRC2:TGID_Z_EN: 0
; COMPUTE_PGM_RSRC2:TIDIG_COMP_CNT: 0
	.section	.text._ZN9rocsparseL19gebsrmvn_4xn_kernelILj128ELj8ELj8EdEEvi20rocsparse_direction_NS_24const_host_device_scalarIT2_EEPKiS6_PKS3_S8_S4_PS3_21rocsparse_index_base_b,"axG",@progbits,_ZN9rocsparseL19gebsrmvn_4xn_kernelILj128ELj8ELj8EdEEvi20rocsparse_direction_NS_24const_host_device_scalarIT2_EEPKiS6_PKS3_S8_S4_PS3_21rocsparse_index_base_b,comdat
	.globl	_ZN9rocsparseL19gebsrmvn_4xn_kernelILj128ELj8ELj8EdEEvi20rocsparse_direction_NS_24const_host_device_scalarIT2_EEPKiS6_PKS3_S8_S4_PS3_21rocsparse_index_base_b ; -- Begin function _ZN9rocsparseL19gebsrmvn_4xn_kernelILj128ELj8ELj8EdEEvi20rocsparse_direction_NS_24const_host_device_scalarIT2_EEPKiS6_PKS3_S8_S4_PS3_21rocsparse_index_base_b
	.p2align	8
	.type	_ZN9rocsparseL19gebsrmvn_4xn_kernelILj128ELj8ELj8EdEEvi20rocsparse_direction_NS_24const_host_device_scalarIT2_EEPKiS6_PKS3_S8_S4_PS3_21rocsparse_index_base_b,@function
_ZN9rocsparseL19gebsrmvn_4xn_kernelILj128ELj8ELj8EdEEvi20rocsparse_direction_NS_24const_host_device_scalarIT2_EEPKiS6_PKS3_S8_S4_PS3_21rocsparse_index_base_b: ; @_ZN9rocsparseL19gebsrmvn_4xn_kernelILj128ELj8ELj8EdEEvi20rocsparse_direction_NS_24const_host_device_scalarIT2_EEPKiS6_PKS3_S8_S4_PS3_21rocsparse_index_base_b
; %bb.0:
	s_load_dwordx2 s[2:3], s[4:5], 0x40
	s_load_dwordx2 s[10:11], s[4:5], 0x8
	;; [unrolled: 1-line block ×3, first 2 shown]
	s_waitcnt lgkmcnt(0)
	s_bitcmp1_b32 s3, 0
	s_cselect_b64 s[12:13], -1, 0
	v_mov_b32_e32 v1, s10
	s_xor_b64 s[8:9], s[12:13], -1
	s_and_b64 vcc, exec, s[12:13]
	v_mov_b32_e32 v2, s11
	s_cbranch_vccnz .LBB68_2
; %bb.1:
	v_mov_b32_e32 v1, s10
	v_mov_b32_e32 v2, s11
	flat_load_dwordx2 v[1:2], v[1:2]
.LBB68_2:
	v_mov_b32_e32 v4, s1
	s_andn2_b64 vcc, exec, s[8:9]
	v_mov_b32_e32 v3, s0
	s_cbranch_vccnz .LBB68_4
; %bb.3:
	v_mov_b32_e32 v4, s1
	v_mov_b32_e32 v3, s0
	flat_load_dwordx2 v[3:4], v[3:4]
.LBB68_4:
	s_waitcnt vmcnt(0) lgkmcnt(0)
	v_cmp_neq_f64_e32 vcc, 0, v[1:2]
	v_cmp_neq_f64_e64 s[0:1], 1.0, v[3:4]
	s_or_b64 s[0:1], vcc, s[0:1]
	s_and_saveexec_b64 s[8:9], s[0:1]
	s_cbranch_execz .LBB68_23
; %bb.5:
	s_load_dwordx2 s[0:1], s[4:5], 0x0
	v_lshrrev_b32_e32 v5, 3, v0
	v_lshl_or_b32 v5, s6, 4, v5
	s_waitcnt lgkmcnt(0)
	v_cmp_gt_i32_e32 vcc, s0, v5
	s_and_b64 exec, exec, vcc
	s_cbranch_execz .LBB68_23
; %bb.6:
	s_load_dwordx8 s[8:15], s[4:5], 0x10
	v_ashrrev_i32_e32 v6, 31, v5
	v_lshlrev_b64 v[6:7], 2, v[5:6]
	v_and_b32_e32 v0, 7, v0
	s_cmp_lg_u32 s1, 0
	s_waitcnt lgkmcnt(0)
	v_mov_b32_e32 v8, s9
	v_add_co_u32_e32 v6, vcc, s8, v6
	v_addc_co_u32_e32 v7, vcc, v8, v7, vcc
	global_load_dwordx2 v[6:7], v[6:7], off
	s_waitcnt vmcnt(0)
	v_subrev_u32_e32 v6, s2, v6
	v_subrev_u32_e32 v20, s2, v7
	v_add_u32_e32 v6, v6, v0
	v_cmp_lt_i32_e64 s[0:1], v6, v20
	s_cbranch_scc0 .LBB68_12
; %bb.7:
	v_mov_b32_e32 v12, 0
	v_mov_b32_e32 v8, 0
	;; [unrolled: 1-line block ×8, first 2 shown]
	s_and_saveexec_b64 s[6:7], s[0:1]
	s_cbranch_execz .LBB68_11
; %bb.8:
	v_mov_b32_e32 v12, 0
	v_mov_b32_e32 v8, 0
	;; [unrolled: 1-line block ×4, first 2 shown]
	v_lshlrev_b32_e32 v16, 5, v6
	v_mov_b32_e32 v13, 0
	s_mov_b64 s[8:9], 0
	v_mov_b32_e32 v7, s11
	v_mov_b32_e32 v17, 0
	;; [unrolled: 1-line block ×8, first 2 shown]
.LBB68_9:                               ; =>This Inner Loop Header: Depth=1
	v_lshlrev_b64 v[23:24], 3, v[16:17]
	v_ashrrev_i32_e32 v19, 31, v18
	v_lshlrev_b64 v[26:27], 2, v[18:19]
	v_add_co_u32_e32 v31, vcc, s12, v23
	v_addc_co_u32_e32 v32, vcc, v21, v24, vcc
	v_add_co_u32_e32 v23, vcc, s10, v26
	v_addc_co_u32_e32 v24, vcc, v7, v27, vcc
	global_load_dword v19, v[23:24], off
	v_mov_b32_e32 v25, v17
	v_add_u32_e32 v18, 8, v18
	v_add_u32_e32 v16, 0x100, v16
	s_waitcnt vmcnt(0)
	v_subrev_u32_e32 v19, s2, v19
	v_lshlrev_b32_e32 v24, 3, v19
	v_lshlrev_b64 v[23:24], 3, v[24:25]
	v_add_co_u32_e32 v33, vcc, s14, v23
	v_addc_co_u32_e32 v34, vcc, v22, v24, vcc
	global_load_dwordx4 v[23:26], v[31:32], off
	global_load_dwordx4 v[27:30], v[33:34], off
	v_cmp_ge_i32_e32 vcc, v18, v20
	s_or_b64 s[8:9], vcc, s[8:9]
	s_waitcnt vmcnt(0)
	v_fma_f64 v[23:24], v[23:24], v[27:28], v[12:13]
	v_fma_f64 v[25:26], v[25:26], v[27:28], v[14:15]
	global_load_dwordx4 v[12:15], v[31:32], off offset:16
	s_waitcnt vmcnt(0)
	v_fma_f64 v[12:13], v[12:13], v[27:28], v[10:11]
	v_fma_f64 v[14:15], v[14:15], v[27:28], v[8:9]
	global_load_dwordx4 v[8:11], v[31:32], off offset:32
	s_waitcnt vmcnt(0)
	v_fma_f64 v[23:24], v[8:9], v[29:30], v[23:24]
	v_fma_f64 v[25:26], v[10:11], v[29:30], v[25:26]
	global_load_dwordx4 v[8:11], v[31:32], off offset:48
	s_waitcnt vmcnt(0)
	v_fma_f64 v[27:28], v[8:9], v[29:30], v[12:13]
	v_fma_f64 v[29:30], v[10:11], v[29:30], v[14:15]
	global_load_dwordx4 v[8:11], v[31:32], off offset:64
	global_load_dwordx4 v[12:15], v[33:34], off offset:16
	s_waitcnt vmcnt(0)
	v_fma_f64 v[23:24], v[8:9], v[12:13], v[23:24]
	v_fma_f64 v[25:26], v[10:11], v[12:13], v[25:26]
	global_load_dwordx4 v[8:11], v[31:32], off offset:80
	s_waitcnt vmcnt(0)
	v_fma_f64 v[27:28], v[8:9], v[12:13], v[27:28]
	v_fma_f64 v[12:13], v[10:11], v[12:13], v[29:30]
	global_load_dwordx4 v[8:11], v[31:32], off offset:96
	s_waitcnt vmcnt(0)
	v_fma_f64 v[23:24], v[8:9], v[14:15], v[23:24]
	v_fma_f64 v[25:26], v[10:11], v[14:15], v[25:26]
	global_load_dwordx4 v[8:11], v[31:32], off offset:112
	s_waitcnt vmcnt(0)
	v_fma_f64 v[27:28], v[8:9], v[14:15], v[27:28]
	v_fma_f64 v[29:30], v[10:11], v[14:15], v[12:13]
	global_load_dwordx4 v[8:11], v[31:32], off offset:128
	global_load_dwordx4 v[12:15], v[33:34], off offset:32
	;; [unrolled: 17-line block ×3, first 2 shown]
	s_waitcnt vmcnt(0)
	v_fma_f64 v[14:15], v[8:9], v[23:24], v[29:30]
	v_fma_f64 v[29:30], v[10:11], v[23:24], v[35:36]
	global_load_dwordx4 v[8:11], v[31:32], off offset:208
	s_waitcnt vmcnt(0)
	v_fma_f64 v[33:34], v[8:9], v[23:24], v[27:28]
	v_fma_f64 v[23:24], v[10:11], v[23:24], v[12:13]
	global_load_dwordx4 v[8:11], v[31:32], off offset:224
	;; [unrolled: 4-line block ×3, first 2 shown]
	s_waitcnt vmcnt(0)
	v_fma_f64 v[10:11], v[27:28], v[25:26], v[33:34]
	v_fma_f64 v[8:9], v[29:30], v[25:26], v[23:24]
	s_andn2_b64 exec, exec, s[8:9]
	s_cbranch_execnz .LBB68_9
; %bb.10:
	s_or_b64 exec, exec, s[8:9]
.LBB68_11:
	s_or_b64 exec, exec, s[6:7]
	s_cbranch_execz .LBB68_13
	s_branch .LBB68_18
.LBB68_12:
                                        ; implicit-def: $vgpr12_vgpr13
                                        ; implicit-def: $vgpr8_vgpr9
                                        ; implicit-def: $vgpr10_vgpr11
                                        ; implicit-def: $vgpr14_vgpr15
.LBB68_13:
	v_mov_b32_e32 v12, 0
	v_mov_b32_e32 v8, 0
	v_mov_b32_e32 v10, 0
	v_mov_b32_e32 v14, 0
	v_mov_b32_e32 v13, 0
	v_mov_b32_e32 v9, 0
	v_mov_b32_e32 v11, 0
	v_mov_b32_e32 v15, 0
	s_and_saveexec_b64 s[6:7], s[0:1]
	s_cbranch_execz .LBB68_17
; %bb.14:
	v_mov_b32_e32 v12, 0
	v_mov_b32_e32 v8, 0
	;; [unrolled: 1-line block ×4, first 2 shown]
	v_lshlrev_b32_e32 v16, 5, v6
	v_mov_b32_e32 v13, 0
	s_mov_b64 s[0:1], 0
	v_mov_b32_e32 v18, s11
	v_mov_b32_e32 v17, 0
	;; [unrolled: 1-line block ×7, first 2 shown]
.LBB68_15:                              ; =>This Inner Loop Header: Depth=1
	v_lshlrev_b64 v[22:23], 3, v[16:17]
	v_ashrrev_i32_e32 v7, 31, v6
	v_lshlrev_b64 v[24:25], 2, v[6:7]
	v_add_co_u32_e32 v46, vcc, s12, v22
	v_addc_co_u32_e32 v47, vcc, v19, v23, vcc
	v_add_co_u32_e32 v32, vcc, s10, v24
	v_addc_co_u32_e32 v33, vcc, v18, v25, vcc
	global_load_dwordx4 v[22:25], v[46:47], off
	global_load_dwordx4 v[26:29], v[46:47], off offset:16
	global_load_dword v7, v[32:33], off
	v_mov_b32_e32 v31, v17
	v_add_u32_e32 v6, 8, v6
	v_add_u32_e32 v16, 0x100, v16
	s_waitcnt vmcnt(0)
	v_subrev_u32_e32 v7, s2, v7
	v_lshlrev_b32_e32 v30, 3, v7
	v_lshlrev_b64 v[30:31], 3, v[30:31]
	v_add_co_u32_e32 v48, vcc, s14, v30
	v_addc_co_u32_e32 v49, vcc, v21, v31, vcc
	global_load_dwordx4 v[30:33], v[48:49], off
	global_load_dwordx4 v[34:37], v[48:49], off offset:16
	v_cmp_ge_i32_e32 vcc, v6, v20
	s_or_b64 s[0:1], vcc, s[0:1]
	s_waitcnt vmcnt(1)
	v_fma_f64 v[12:13], v[22:23], v[30:31], v[12:13]
	v_fma_f64 v[50:51], v[24:25], v[32:33], v[12:13]
	global_load_dwordx4 v[22:25], v[46:47], off offset:64
	global_load_dwordx4 v[38:41], v[46:47], off offset:80
	s_waitcnt vmcnt(1)
	v_fma_f64 v[12:13], v[22:23], v[30:31], v[14:15]
	v_fma_f64 v[52:53], v[24:25], v[32:33], v[12:13]
	global_load_dwordx4 v[12:15], v[46:47], off offset:128
	global_load_dwordx4 v[22:25], v[46:47], off offset:144
	;; [unrolled: 5-line block ×3, first 2 shown]
	s_waitcnt vmcnt(1)
	v_fma_f64 v[7:8], v[10:11], v[30:31], v[8:9]
	v_fma_f64 v[11:12], v[12:13], v[32:33], v[7:8]
	;; [unrolled: 1-line block ×3, first 2 shown]
	s_waitcnt vmcnt(0)
	v_fma_f64 v[11:12], v[42:43], v[34:35], v[11:12]
	v_fma_f64 v[30:31], v[28:29], v[36:37], v[7:8]
	;; [unrolled: 1-line block ×7, first 2 shown]
	global_load_dwordx4 v[7:10], v[46:47], off offset:32
	global_load_dwordx4 v[11:14], v[46:47], off offset:48
	global_load_dwordx4 v[22:25], v[48:49], off offset:32
	global_load_dwordx4 v[26:29], v[48:49], off offset:48
	s_waitcnt vmcnt(1)
	v_fma_f64 v[7:8], v[7:8], v[22:23], v[30:31]
	v_fma_f64 v[44:45], v[9:10], v[24:25], v[7:8]
	global_load_dwordx4 v[7:10], v[46:47], off offset:96
	global_load_dwordx4 v[30:33], v[46:47], off offset:112
	s_waitcnt vmcnt(1)
	v_fma_f64 v[7:8], v[7:8], v[22:23], v[38:39]
	v_fma_f64 v[48:49], v[9:10], v[24:25], v[7:8]
	global_load_dwordx4 v[7:10], v[46:47], off offset:160
	global_load_dwordx4 v[34:37], v[46:47], off offset:176
	s_waitcnt vmcnt(1)
	v_fma_f64 v[7:8], v[7:8], v[22:23], v[40:41]
	v_fma_f64 v[50:51], v[9:10], v[24:25], v[7:8]
	global_load_dwordx4 v[7:10], v[46:47], off offset:224
	global_load_dwordx4 v[38:41], v[46:47], off offset:240
	s_waitcnt vmcnt(1)
	v_fma_f64 v[7:8], v[7:8], v[22:23], v[42:43]
	v_fma_f64 v[22:23], v[34:35], v[26:27], v[50:51]
	;; [unrolled: 1-line block ×4, first 2 shown]
	s_waitcnt vmcnt(0)
	v_fma_f64 v[7:8], v[38:39], v[26:27], v[7:8]
	v_fma_f64 v[12:13], v[13:14], v[28:29], v[9:10]
	;; [unrolled: 1-line block ×6, first 2 shown]
	s_andn2_b64 exec, exec, s[0:1]
	s_cbranch_execnz .LBB68_15
; %bb.16:
	s_or_b64 exec, exec, s[0:1]
.LBB68_17:
	s_or_b64 exec, exec, s[6:7]
.LBB68_18:
	v_mov_b32_dpp v6, v12 row_shr:1 row_mask:0xf bank_mask:0xf
	v_mov_b32_dpp v7, v13 row_shr:1 row_mask:0xf bank_mask:0xf
	v_add_f64 v[6:7], v[12:13], v[6:7]
	v_mov_b32_dpp v12, v14 row_shr:1 row_mask:0xf bank_mask:0xf
	v_mov_b32_dpp v13, v15 row_shr:1 row_mask:0xf bank_mask:0xf
	;; [unrolled: 1-line block ×4, first 2 shown]
	v_add_f64 v[12:13], v[14:15], v[12:13]
	v_add_f64 v[10:11], v[10:11], v[16:17]
	v_mov_b32_dpp v16, v8 row_shr:1 row_mask:0xf bank_mask:0xf
	v_mov_b32_dpp v17, v9 row_shr:1 row_mask:0xf bank_mask:0xf
	v_add_f64 v[16:17], v[8:9], v[16:17]
	v_mov_b32_dpp v14, v6 row_shr:2 row_mask:0xf bank_mask:0xf
	v_mov_b32_dpp v15, v7 row_shr:2 row_mask:0xf bank_mask:0xf
	v_add_f64 v[6:7], v[6:7], v[14:15]
	v_mov_b32_dpp v8, v12 row_shr:2 row_mask:0xf bank_mask:0xf
	v_mov_b32_dpp v9, v13 row_shr:2 row_mask:0xf bank_mask:0xf
	v_add_f64 v[8:9], v[12:13], v[8:9]
	v_mov_b32_dpp v12, v10 row_shr:2 row_mask:0xf bank_mask:0xf
	v_mov_b32_dpp v13, v11 row_shr:2 row_mask:0xf bank_mask:0xf
	v_add_f64 v[14:15], v[10:11], v[12:13]
	v_mov_b32_dpp v10, v16 row_shr:2 row_mask:0xf bank_mask:0xf
	v_mov_b32_dpp v11, v17 row_shr:2 row_mask:0xf bank_mask:0xf
	v_add_f64 v[16:17], v[16:17], v[10:11]
	v_mov_b32_dpp v12, v6 row_shr:4 row_mask:0xf bank_mask:0xe
	v_mov_b32_dpp v13, v7 row_shr:4 row_mask:0xf bank_mask:0xe
	v_mov_b32_dpp v10, v8 row_shr:4 row_mask:0xf bank_mask:0xe
	v_mov_b32_dpp v11, v9 row_shr:4 row_mask:0xf bank_mask:0xe
	;; [unrolled: 1-line block ×4, first 2 shown]
	v_cmp_eq_u32_e32 vcc, 7, v0
	v_mov_b32_dpp v18, v16 row_shr:4 row_mask:0xf bank_mask:0xe
	v_mov_b32_dpp v19, v17 row_shr:4 row_mask:0xf bank_mask:0xe
	s_and_b64 exec, exec, vcc
	s_cbranch_execz .LBB68_23
; %bb.19:
	v_add_f64 v[12:13], v[6:7], v[12:13]
	v_add_f64 v[10:11], v[8:9], v[10:11]
	;; [unrolled: 1-line block ×4, first 2 shown]
	v_cmp_eq_f64_e32 vcc, 0, v[3:4]
	s_load_dwordx2 s[0:1], s[4:5], 0x38
	s_and_saveexec_b64 s[2:3], vcc
	s_xor_b64 s[2:3], exec, s[2:3]
	s_cbranch_execz .LBB68_21
; %bb.20:
	v_mul_f64 v[12:13], v[1:2], v[12:13]
	v_mul_f64 v[14:15], v[1:2], v[10:11]
	v_lshlrev_b32_e32 v16, 2, v5
	v_mul_f64 v[3:4], v[1:2], v[6:7]
	v_mul_f64 v[5:6], v[1:2], v[8:9]
	v_ashrrev_i32_e32 v17, 31, v16
	v_lshlrev_b64 v[0:1], 3, v[16:17]
	s_waitcnt lgkmcnt(0)
	v_mov_b32_e32 v2, s1
	v_add_co_u32_e32 v0, vcc, s0, v0
	v_addc_co_u32_e32 v1, vcc, v2, v1, vcc
	global_store_dwordx4 v[0:1], v[12:15], off
	global_store_dwordx4 v[0:1], v[3:6], off offset:16
                                        ; implicit-def: $vgpr5
                                        ; implicit-def: $vgpr1_vgpr2
                                        ; implicit-def: $vgpr12_vgpr13
                                        ; implicit-def: $vgpr3_vgpr4
                                        ; implicit-def: $vgpr10_vgpr11
                                        ; implicit-def: $vgpr6_vgpr7
                                        ; implicit-def: $vgpr8_vgpr9
.LBB68_21:
	s_andn2_saveexec_b64 s[2:3], s[2:3]
	s_cbranch_execz .LBB68_23
; %bb.22:
	v_lshlrev_b32_e32 v14, 2, v5
	v_ashrrev_i32_e32 v15, 31, v14
	v_lshlrev_b64 v[14:15], 3, v[14:15]
	s_waitcnt lgkmcnt(0)
	v_mov_b32_e32 v0, s1
	v_add_co_u32_e32 v22, vcc, s0, v14
	v_addc_co_u32_e32 v23, vcc, v0, v15, vcc
	global_load_dwordx4 v[14:17], v[22:23], off
	global_load_dwordx4 v[18:21], v[22:23], off offset:16
	v_mul_f64 v[12:13], v[1:2], v[12:13]
	v_mul_f64 v[10:11], v[1:2], v[10:11]
	v_mul_f64 v[24:25], v[1:2], v[6:7]
	v_mul_f64 v[26:27], v[1:2], v[8:9]
	s_waitcnt vmcnt(1)
	v_fma_f64 v[5:6], v[3:4], v[14:15], v[12:13]
	v_fma_f64 v[7:8], v[3:4], v[16:17], v[10:11]
	s_waitcnt vmcnt(0)
	v_fma_f64 v[0:1], v[3:4], v[18:19], v[24:25]
	v_fma_f64 v[2:3], v[3:4], v[20:21], v[26:27]
	global_store_dwordx4 v[22:23], v[5:8], off
	global_store_dwordx4 v[22:23], v[0:3], off offset:16
.LBB68_23:
	s_endpgm
	.section	.rodata,"a",@progbits
	.p2align	6, 0x0
	.amdhsa_kernel _ZN9rocsparseL19gebsrmvn_4xn_kernelILj128ELj8ELj8EdEEvi20rocsparse_direction_NS_24const_host_device_scalarIT2_EEPKiS6_PKS3_S8_S4_PS3_21rocsparse_index_base_b
		.amdhsa_group_segment_fixed_size 0
		.amdhsa_private_segment_fixed_size 0
		.amdhsa_kernarg_size 72
		.amdhsa_user_sgpr_count 6
		.amdhsa_user_sgpr_private_segment_buffer 1
		.amdhsa_user_sgpr_dispatch_ptr 0
		.amdhsa_user_sgpr_queue_ptr 0
		.amdhsa_user_sgpr_kernarg_segment_ptr 1
		.amdhsa_user_sgpr_dispatch_id 0
		.amdhsa_user_sgpr_flat_scratch_init 0
		.amdhsa_user_sgpr_private_segment_size 0
		.amdhsa_uses_dynamic_stack 0
		.amdhsa_system_sgpr_private_segment_wavefront_offset 0
		.amdhsa_system_sgpr_workgroup_id_x 1
		.amdhsa_system_sgpr_workgroup_id_y 0
		.amdhsa_system_sgpr_workgroup_id_z 0
		.amdhsa_system_sgpr_workgroup_info 0
		.amdhsa_system_vgpr_workitem_id 0
		.amdhsa_next_free_vgpr 54
		.amdhsa_next_free_sgpr 16
		.amdhsa_reserve_vcc 1
		.amdhsa_reserve_flat_scratch 0
		.amdhsa_float_round_mode_32 0
		.amdhsa_float_round_mode_16_64 0
		.amdhsa_float_denorm_mode_32 3
		.amdhsa_float_denorm_mode_16_64 3
		.amdhsa_dx10_clamp 1
		.amdhsa_ieee_mode 1
		.amdhsa_fp16_overflow 0
		.amdhsa_exception_fp_ieee_invalid_op 0
		.amdhsa_exception_fp_denorm_src 0
		.amdhsa_exception_fp_ieee_div_zero 0
		.amdhsa_exception_fp_ieee_overflow 0
		.amdhsa_exception_fp_ieee_underflow 0
		.amdhsa_exception_fp_ieee_inexact 0
		.amdhsa_exception_int_div_zero 0
	.end_amdhsa_kernel
	.section	.text._ZN9rocsparseL19gebsrmvn_4xn_kernelILj128ELj8ELj8EdEEvi20rocsparse_direction_NS_24const_host_device_scalarIT2_EEPKiS6_PKS3_S8_S4_PS3_21rocsparse_index_base_b,"axG",@progbits,_ZN9rocsparseL19gebsrmvn_4xn_kernelILj128ELj8ELj8EdEEvi20rocsparse_direction_NS_24const_host_device_scalarIT2_EEPKiS6_PKS3_S8_S4_PS3_21rocsparse_index_base_b,comdat
.Lfunc_end68:
	.size	_ZN9rocsparseL19gebsrmvn_4xn_kernelILj128ELj8ELj8EdEEvi20rocsparse_direction_NS_24const_host_device_scalarIT2_EEPKiS6_PKS3_S8_S4_PS3_21rocsparse_index_base_b, .Lfunc_end68-_ZN9rocsparseL19gebsrmvn_4xn_kernelILj128ELj8ELj8EdEEvi20rocsparse_direction_NS_24const_host_device_scalarIT2_EEPKiS6_PKS3_S8_S4_PS3_21rocsparse_index_base_b
                                        ; -- End function
	.set _ZN9rocsparseL19gebsrmvn_4xn_kernelILj128ELj8ELj8EdEEvi20rocsparse_direction_NS_24const_host_device_scalarIT2_EEPKiS6_PKS3_S8_S4_PS3_21rocsparse_index_base_b.num_vgpr, 54
	.set _ZN9rocsparseL19gebsrmvn_4xn_kernelILj128ELj8ELj8EdEEvi20rocsparse_direction_NS_24const_host_device_scalarIT2_EEPKiS6_PKS3_S8_S4_PS3_21rocsparse_index_base_b.num_agpr, 0
	.set _ZN9rocsparseL19gebsrmvn_4xn_kernelILj128ELj8ELj8EdEEvi20rocsparse_direction_NS_24const_host_device_scalarIT2_EEPKiS6_PKS3_S8_S4_PS3_21rocsparse_index_base_b.numbered_sgpr, 16
	.set _ZN9rocsparseL19gebsrmvn_4xn_kernelILj128ELj8ELj8EdEEvi20rocsparse_direction_NS_24const_host_device_scalarIT2_EEPKiS6_PKS3_S8_S4_PS3_21rocsparse_index_base_b.num_named_barrier, 0
	.set _ZN9rocsparseL19gebsrmvn_4xn_kernelILj128ELj8ELj8EdEEvi20rocsparse_direction_NS_24const_host_device_scalarIT2_EEPKiS6_PKS3_S8_S4_PS3_21rocsparse_index_base_b.private_seg_size, 0
	.set _ZN9rocsparseL19gebsrmvn_4xn_kernelILj128ELj8ELj8EdEEvi20rocsparse_direction_NS_24const_host_device_scalarIT2_EEPKiS6_PKS3_S8_S4_PS3_21rocsparse_index_base_b.uses_vcc, 1
	.set _ZN9rocsparseL19gebsrmvn_4xn_kernelILj128ELj8ELj8EdEEvi20rocsparse_direction_NS_24const_host_device_scalarIT2_EEPKiS6_PKS3_S8_S4_PS3_21rocsparse_index_base_b.uses_flat_scratch, 0
	.set _ZN9rocsparseL19gebsrmvn_4xn_kernelILj128ELj8ELj8EdEEvi20rocsparse_direction_NS_24const_host_device_scalarIT2_EEPKiS6_PKS3_S8_S4_PS3_21rocsparse_index_base_b.has_dyn_sized_stack, 0
	.set _ZN9rocsparseL19gebsrmvn_4xn_kernelILj128ELj8ELj8EdEEvi20rocsparse_direction_NS_24const_host_device_scalarIT2_EEPKiS6_PKS3_S8_S4_PS3_21rocsparse_index_base_b.has_recursion, 0
	.set _ZN9rocsparseL19gebsrmvn_4xn_kernelILj128ELj8ELj8EdEEvi20rocsparse_direction_NS_24const_host_device_scalarIT2_EEPKiS6_PKS3_S8_S4_PS3_21rocsparse_index_base_b.has_indirect_call, 0
	.section	.AMDGPU.csdata,"",@progbits
; Kernel info:
; codeLenInByte = 2164
; TotalNumSgprs: 20
; NumVgprs: 54
; ScratchSize: 0
; MemoryBound: 1
; FloatMode: 240
; IeeeMode: 1
; LDSByteSize: 0 bytes/workgroup (compile time only)
; SGPRBlocks: 2
; VGPRBlocks: 13
; NumSGPRsForWavesPerEU: 20
; NumVGPRsForWavesPerEU: 54
; Occupancy: 4
; WaveLimiterHint : 1
; COMPUTE_PGM_RSRC2:SCRATCH_EN: 0
; COMPUTE_PGM_RSRC2:USER_SGPR: 6
; COMPUTE_PGM_RSRC2:TRAP_HANDLER: 0
; COMPUTE_PGM_RSRC2:TGID_X_EN: 1
; COMPUTE_PGM_RSRC2:TGID_Y_EN: 0
; COMPUTE_PGM_RSRC2:TGID_Z_EN: 0
; COMPUTE_PGM_RSRC2:TIDIG_COMP_CNT: 0
	.section	.text._ZN9rocsparseL19gebsrmvn_4xn_kernelILj128ELj8ELj16EdEEvi20rocsparse_direction_NS_24const_host_device_scalarIT2_EEPKiS6_PKS3_S8_S4_PS3_21rocsparse_index_base_b,"axG",@progbits,_ZN9rocsparseL19gebsrmvn_4xn_kernelILj128ELj8ELj16EdEEvi20rocsparse_direction_NS_24const_host_device_scalarIT2_EEPKiS6_PKS3_S8_S4_PS3_21rocsparse_index_base_b,comdat
	.globl	_ZN9rocsparseL19gebsrmvn_4xn_kernelILj128ELj8ELj16EdEEvi20rocsparse_direction_NS_24const_host_device_scalarIT2_EEPKiS6_PKS3_S8_S4_PS3_21rocsparse_index_base_b ; -- Begin function _ZN9rocsparseL19gebsrmvn_4xn_kernelILj128ELj8ELj16EdEEvi20rocsparse_direction_NS_24const_host_device_scalarIT2_EEPKiS6_PKS3_S8_S4_PS3_21rocsparse_index_base_b
	.p2align	8
	.type	_ZN9rocsparseL19gebsrmvn_4xn_kernelILj128ELj8ELj16EdEEvi20rocsparse_direction_NS_24const_host_device_scalarIT2_EEPKiS6_PKS3_S8_S4_PS3_21rocsparse_index_base_b,@function
_ZN9rocsparseL19gebsrmvn_4xn_kernelILj128ELj8ELj16EdEEvi20rocsparse_direction_NS_24const_host_device_scalarIT2_EEPKiS6_PKS3_S8_S4_PS3_21rocsparse_index_base_b: ; @_ZN9rocsparseL19gebsrmvn_4xn_kernelILj128ELj8ELj16EdEEvi20rocsparse_direction_NS_24const_host_device_scalarIT2_EEPKiS6_PKS3_S8_S4_PS3_21rocsparse_index_base_b
; %bb.0:
	s_load_dwordx2 s[2:3], s[4:5], 0x40
	s_load_dwordx2 s[10:11], s[4:5], 0x8
	;; [unrolled: 1-line block ×3, first 2 shown]
	s_waitcnt lgkmcnt(0)
	s_bitcmp1_b32 s3, 0
	s_cselect_b64 s[12:13], -1, 0
	v_mov_b32_e32 v1, s10
	s_xor_b64 s[8:9], s[12:13], -1
	s_and_b64 vcc, exec, s[12:13]
	v_mov_b32_e32 v2, s11
	s_cbranch_vccnz .LBB69_2
; %bb.1:
	v_mov_b32_e32 v1, s10
	v_mov_b32_e32 v2, s11
	flat_load_dwordx2 v[1:2], v[1:2]
.LBB69_2:
	v_mov_b32_e32 v4, s1
	s_andn2_b64 vcc, exec, s[8:9]
	v_mov_b32_e32 v3, s0
	s_cbranch_vccnz .LBB69_4
; %bb.3:
	v_mov_b32_e32 v4, s1
	v_mov_b32_e32 v3, s0
	flat_load_dwordx2 v[3:4], v[3:4]
.LBB69_4:
	s_waitcnt vmcnt(0) lgkmcnt(0)
	v_cmp_neq_f64_e32 vcc, 0, v[1:2]
	v_cmp_neq_f64_e64 s[0:1], 1.0, v[3:4]
	s_or_b64 s[0:1], vcc, s[0:1]
	s_and_saveexec_b64 s[8:9], s[0:1]
	s_cbranch_execz .LBB69_23
; %bb.5:
	s_load_dwordx2 s[0:1], s[4:5], 0x0
	v_lshrrev_b32_e32 v5, 4, v0
	v_lshl_or_b32 v5, s6, 3, v5
	s_waitcnt lgkmcnt(0)
	v_cmp_gt_i32_e32 vcc, s0, v5
	s_and_b64 exec, exec, vcc
	s_cbranch_execz .LBB69_23
; %bb.6:
	s_load_dwordx8 s[8:15], s[4:5], 0x10
	v_ashrrev_i32_e32 v6, 31, v5
	v_lshlrev_b64 v[6:7], 2, v[5:6]
	v_and_b32_e32 v0, 15, v0
	s_cmp_lg_u32 s1, 0
	s_waitcnt lgkmcnt(0)
	v_mov_b32_e32 v8, s9
	v_add_co_u32_e32 v6, vcc, s8, v6
	v_addc_co_u32_e32 v7, vcc, v8, v7, vcc
	global_load_dwordx2 v[6:7], v[6:7], off
	s_waitcnt vmcnt(0)
	v_subrev_u32_e32 v6, s2, v6
	v_subrev_u32_e32 v20, s2, v7
	v_add_u32_e32 v6, v6, v0
	v_cmp_lt_i32_e64 s[0:1], v6, v20
	s_cbranch_scc0 .LBB69_12
; %bb.7:
	v_mov_b32_e32 v14, 0
	v_mov_b32_e32 v8, 0
	;; [unrolled: 1-line block ×8, first 2 shown]
	s_and_saveexec_b64 s[6:7], s[0:1]
	s_cbranch_execz .LBB69_11
; %bb.8:
	v_mov_b32_e32 v14, 0
	v_mov_b32_e32 v8, 0
	;; [unrolled: 1-line block ×4, first 2 shown]
	v_lshlrev_b32_e32 v16, 5, v6
	v_mov_b32_e32 v15, 0
	s_mov_b64 s[8:9], 0
	v_mov_b32_e32 v7, s11
	v_mov_b32_e32 v17, 0
	;; [unrolled: 1-line block ×8, first 2 shown]
.LBB69_9:                               ; =>This Inner Loop Header: Depth=1
	v_lshlrev_b64 v[23:24], 3, v[16:17]
	v_ashrrev_i32_e32 v19, 31, v18
	v_lshlrev_b64 v[26:27], 2, v[18:19]
	v_add_co_u32_e32 v31, vcc, s12, v23
	v_addc_co_u32_e32 v32, vcc, v21, v24, vcc
	v_add_co_u32_e32 v23, vcc, s10, v26
	v_addc_co_u32_e32 v24, vcc, v7, v27, vcc
	global_load_dword v19, v[23:24], off
	v_mov_b32_e32 v25, v17
	v_add_u32_e32 v18, 16, v18
	v_add_u32_e32 v16, 0x200, v16
	s_waitcnt vmcnt(0)
	v_subrev_u32_e32 v19, s2, v19
	v_lshlrev_b32_e32 v24, 3, v19
	v_lshlrev_b64 v[23:24], 3, v[24:25]
	v_add_co_u32_e32 v33, vcc, s14, v23
	v_addc_co_u32_e32 v34, vcc, v22, v24, vcc
	global_load_dwordx4 v[23:26], v[31:32], off
	global_load_dwordx4 v[27:30], v[33:34], off
	v_cmp_ge_i32_e32 vcc, v18, v20
	s_or_b64 s[8:9], vcc, s[8:9]
	s_waitcnt vmcnt(0)
	v_fma_f64 v[23:24], v[23:24], v[27:28], v[14:15]
	v_fma_f64 v[25:26], v[25:26], v[27:28], v[12:13]
	global_load_dwordx4 v[12:15], v[31:32], off offset:16
	s_waitcnt vmcnt(0)
	v_fma_f64 v[12:13], v[12:13], v[27:28], v[10:11]
	v_fma_f64 v[14:15], v[14:15], v[27:28], v[8:9]
	global_load_dwordx4 v[8:11], v[31:32], off offset:32
	s_waitcnt vmcnt(0)
	v_fma_f64 v[23:24], v[8:9], v[29:30], v[23:24]
	v_fma_f64 v[25:26], v[10:11], v[29:30], v[25:26]
	global_load_dwordx4 v[8:11], v[31:32], off offset:48
	s_waitcnt vmcnt(0)
	v_fma_f64 v[27:28], v[8:9], v[29:30], v[12:13]
	v_fma_f64 v[29:30], v[10:11], v[29:30], v[14:15]
	global_load_dwordx4 v[8:11], v[31:32], off offset:64
	global_load_dwordx4 v[12:15], v[33:34], off offset:16
	s_waitcnt vmcnt(0)
	v_fma_f64 v[23:24], v[8:9], v[12:13], v[23:24]
	v_fma_f64 v[25:26], v[10:11], v[12:13], v[25:26]
	global_load_dwordx4 v[8:11], v[31:32], off offset:80
	s_waitcnt vmcnt(0)
	v_fma_f64 v[27:28], v[8:9], v[12:13], v[27:28]
	v_fma_f64 v[12:13], v[10:11], v[12:13], v[29:30]
	global_load_dwordx4 v[8:11], v[31:32], off offset:96
	s_waitcnt vmcnt(0)
	v_fma_f64 v[23:24], v[8:9], v[14:15], v[23:24]
	v_fma_f64 v[25:26], v[10:11], v[14:15], v[25:26]
	global_load_dwordx4 v[8:11], v[31:32], off offset:112
	s_waitcnt vmcnt(0)
	v_fma_f64 v[27:28], v[8:9], v[14:15], v[27:28]
	v_fma_f64 v[29:30], v[10:11], v[14:15], v[12:13]
	global_load_dwordx4 v[8:11], v[31:32], off offset:128
	global_load_dwordx4 v[12:15], v[33:34], off offset:32
	;; [unrolled: 17-line block ×3, first 2 shown]
	s_waitcnt vmcnt(0)
	v_fma_f64 v[14:15], v[8:9], v[23:24], v[29:30]
	v_fma_f64 v[29:30], v[10:11], v[23:24], v[35:36]
	global_load_dwordx4 v[8:11], v[31:32], off offset:208
	s_waitcnt vmcnt(0)
	v_fma_f64 v[33:34], v[8:9], v[23:24], v[27:28]
	v_fma_f64 v[23:24], v[10:11], v[23:24], v[12:13]
	global_load_dwordx4 v[8:11], v[31:32], off offset:224
	s_waitcnt vmcnt(0)
	v_fma_f64 v[12:13], v[10:11], v[25:26], v[29:30]
	global_load_dwordx4 v[27:30], v[31:32], off offset:240
	v_fma_f64 v[14:15], v[8:9], v[25:26], v[14:15]
	s_waitcnt vmcnt(0)
	v_fma_f64 v[10:11], v[27:28], v[25:26], v[33:34]
	v_fma_f64 v[8:9], v[29:30], v[25:26], v[23:24]
	s_andn2_b64 exec, exec, s[8:9]
	s_cbranch_execnz .LBB69_9
; %bb.10:
	s_or_b64 exec, exec, s[8:9]
.LBB69_11:
	s_or_b64 exec, exec, s[6:7]
	s_cbranch_execz .LBB69_13
	s_branch .LBB69_18
.LBB69_12:
                                        ; implicit-def: $vgpr14_vgpr15
                                        ; implicit-def: $vgpr8_vgpr9
                                        ; implicit-def: $vgpr10_vgpr11
                                        ; implicit-def: $vgpr12_vgpr13
.LBB69_13:
	v_mov_b32_e32 v14, 0
	v_mov_b32_e32 v8, 0
	;; [unrolled: 1-line block ×8, first 2 shown]
	s_and_saveexec_b64 s[6:7], s[0:1]
	s_cbranch_execz .LBB69_17
; %bb.14:
	v_mov_b32_e32 v14, 0
	v_mov_b32_e32 v8, 0
	v_mov_b32_e32 v10, 0
	v_mov_b32_e32 v12, 0
	v_lshlrev_b32_e32 v16, 5, v6
	v_mov_b32_e32 v15, 0
	s_mov_b64 s[0:1], 0
	v_mov_b32_e32 v18, s11
	v_mov_b32_e32 v17, 0
	v_mov_b32_e32 v19, s13
	v_mov_b32_e32 v9, 0
	v_mov_b32_e32 v11, 0
	v_mov_b32_e32 v13, 0
	v_mov_b32_e32 v21, s15
.LBB69_15:                              ; =>This Inner Loop Header: Depth=1
	v_lshlrev_b64 v[22:23], 3, v[16:17]
	v_ashrrev_i32_e32 v7, 31, v6
	v_lshlrev_b64 v[24:25], 2, v[6:7]
	v_add_co_u32_e32 v46, vcc, s12, v22
	v_addc_co_u32_e32 v47, vcc, v19, v23, vcc
	v_add_co_u32_e32 v32, vcc, s10, v24
	v_addc_co_u32_e32 v33, vcc, v18, v25, vcc
	global_load_dwordx4 v[22:25], v[46:47], off
	global_load_dwordx4 v[26:29], v[46:47], off offset:16
	global_load_dword v7, v[32:33], off
	v_mov_b32_e32 v31, v17
	v_add_u32_e32 v6, 16, v6
	v_add_u32_e32 v16, 0x200, v16
	s_waitcnt vmcnt(0)
	v_subrev_u32_e32 v7, s2, v7
	v_lshlrev_b32_e32 v30, 3, v7
	v_lshlrev_b64 v[30:31], 3, v[30:31]
	v_add_co_u32_e32 v48, vcc, s14, v30
	v_addc_co_u32_e32 v49, vcc, v21, v31, vcc
	global_load_dwordx4 v[30:33], v[48:49], off
	global_load_dwordx4 v[34:37], v[48:49], off offset:16
	v_cmp_ge_i32_e32 vcc, v6, v20
	s_or_b64 s[0:1], vcc, s[0:1]
	s_waitcnt vmcnt(1)
	v_fma_f64 v[14:15], v[22:23], v[30:31], v[14:15]
	v_fma_f64 v[50:51], v[24:25], v[32:33], v[14:15]
	global_load_dwordx4 v[22:25], v[46:47], off offset:64
	global_load_dwordx4 v[38:41], v[46:47], off offset:80
	s_waitcnt vmcnt(1)
	v_fma_f64 v[12:13], v[22:23], v[30:31], v[12:13]
	v_fma_f64 v[52:53], v[24:25], v[32:33], v[12:13]
	global_load_dwordx4 v[12:15], v[46:47], off offset:128
	global_load_dwordx4 v[22:25], v[46:47], off offset:144
	;; [unrolled: 5-line block ×3, first 2 shown]
	s_waitcnt vmcnt(1)
	v_fma_f64 v[7:8], v[10:11], v[30:31], v[8:9]
	v_fma_f64 v[11:12], v[12:13], v[32:33], v[7:8]
	;; [unrolled: 1-line block ×3, first 2 shown]
	s_waitcnt vmcnt(0)
	v_fma_f64 v[11:12], v[42:43], v[34:35], v[11:12]
	v_fma_f64 v[30:31], v[28:29], v[36:37], v[7:8]
	;; [unrolled: 1-line block ×7, first 2 shown]
	global_load_dwordx4 v[7:10], v[46:47], off offset:32
	global_load_dwordx4 v[11:14], v[46:47], off offset:48
	;; [unrolled: 1-line block ×4, first 2 shown]
	s_waitcnt vmcnt(1)
	v_fma_f64 v[7:8], v[7:8], v[22:23], v[30:31]
	v_fma_f64 v[44:45], v[9:10], v[24:25], v[7:8]
	global_load_dwordx4 v[7:10], v[46:47], off offset:96
	global_load_dwordx4 v[30:33], v[46:47], off offset:112
	s_waitcnt vmcnt(1)
	v_fma_f64 v[7:8], v[7:8], v[22:23], v[38:39]
	v_fma_f64 v[48:49], v[9:10], v[24:25], v[7:8]
	global_load_dwordx4 v[7:10], v[46:47], off offset:160
	global_load_dwordx4 v[34:37], v[46:47], off offset:176
	;; [unrolled: 5-line block ×3, first 2 shown]
	s_waitcnt vmcnt(1)
	v_fma_f64 v[7:8], v[7:8], v[22:23], v[42:43]
	v_fma_f64 v[22:23], v[34:35], v[26:27], v[50:51]
	v_fma_f64 v[7:8], v[9:10], v[24:25], v[7:8]
	v_fma_f64 v[9:10], v[11:12], v[26:27], v[44:45]
	s_waitcnt vmcnt(0)
	v_fma_f64 v[7:8], v[38:39], v[26:27], v[7:8]
	v_fma_f64 v[14:15], v[13:14], v[28:29], v[9:10]
	;; [unrolled: 1-line block ×6, first 2 shown]
	s_andn2_b64 exec, exec, s[0:1]
	s_cbranch_execnz .LBB69_15
; %bb.16:
	s_or_b64 exec, exec, s[0:1]
.LBB69_17:
	s_or_b64 exec, exec, s[6:7]
.LBB69_18:
	v_mov_b32_dpp v6, v14 row_shr:1 row_mask:0xf bank_mask:0xf
	v_mov_b32_dpp v7, v15 row_shr:1 row_mask:0xf bank_mask:0xf
	v_add_f64 v[6:7], v[14:15], v[6:7]
	v_mov_b32_dpp v14, v12 row_shr:1 row_mask:0xf bank_mask:0xf
	v_mov_b32_dpp v15, v13 row_shr:1 row_mask:0xf bank_mask:0xf
	;; [unrolled: 1-line block ×3, first 2 shown]
	v_add_f64 v[12:13], v[12:13], v[14:15]
	v_mov_b32_dpp v17, v11 row_shr:1 row_mask:0xf bank_mask:0xf
	v_add_f64 v[10:11], v[10:11], v[16:17]
	v_cmp_eq_u32_e32 vcc, 15, v0
	v_mov_b32_dpp v14, v6 row_shr:2 row_mask:0xf bank_mask:0xf
	v_mov_b32_dpp v15, v7 row_shr:2 row_mask:0xf bank_mask:0xf
	v_add_f64 v[6:7], v[6:7], v[14:15]
	v_mov_b32_dpp v14, v8 row_shr:1 row_mask:0xf bank_mask:0xf
	v_mov_b32_dpp v15, v9 row_shr:1 row_mask:0xf bank_mask:0xf
	v_add_f64 v[8:9], v[8:9], v[14:15]
	;; [unrolled: 3-line block ×4, first 2 shown]
	v_mov_b32_dpp v16, v6 row_shr:4 row_mask:0xf bank_mask:0xe
	v_mov_b32_dpp v14, v8 row_shr:2 row_mask:0xf bank_mask:0xf
	;; [unrolled: 1-line block ×3, first 2 shown]
	v_add_f64 v[18:19], v[8:9], v[14:15]
	v_mov_b32_dpp v8, v12 row_shr:4 row_mask:0xf bank_mask:0xe
	v_mov_b32_dpp v9, v13 row_shr:4 row_mask:0xf bank_mask:0xe
	v_add_f64 v[8:9], v[12:13], v[8:9]
	v_mov_b32_dpp v12, v10 row_shr:4 row_mask:0xf bank_mask:0xe
	v_mov_b32_dpp v13, v11 row_shr:4 row_mask:0xf bank_mask:0xe
	;; [unrolled: 1-line block ×3, first 2 shown]
	v_add_f64 v[14:15], v[10:11], v[12:13]
	v_mov_b32_dpp v10, v18 row_shr:4 row_mask:0xf bank_mask:0xe
	v_mov_b32_dpp v11, v19 row_shr:4 row_mask:0xf bank_mask:0xe
	v_add_f64 v[6:7], v[6:7], v[16:17]
	v_add_f64 v[16:17], v[18:19], v[10:11]
	v_mov_b32_dpp v10, v8 row_shr:8 row_mask:0xf bank_mask:0xc
	v_mov_b32_dpp v11, v9 row_shr:8 row_mask:0xf bank_mask:0xc
	;; [unrolled: 1-line block ×8, first 2 shown]
	s_and_b64 exec, exec, vcc
	s_cbranch_execz .LBB69_23
; %bb.19:
	v_add_f64 v[12:13], v[6:7], v[12:13]
	v_add_f64 v[10:11], v[8:9], v[10:11]
	;; [unrolled: 1-line block ×4, first 2 shown]
	v_cmp_eq_f64_e32 vcc, 0, v[3:4]
	s_load_dwordx2 s[0:1], s[4:5], 0x38
	s_and_saveexec_b64 s[2:3], vcc
	s_xor_b64 s[2:3], exec, s[2:3]
	s_cbranch_execz .LBB69_21
; %bb.20:
	v_mul_f64 v[12:13], v[1:2], v[12:13]
	v_mul_f64 v[14:15], v[1:2], v[10:11]
	v_lshlrev_b32_e32 v16, 2, v5
	v_mul_f64 v[3:4], v[1:2], v[6:7]
	v_mul_f64 v[5:6], v[1:2], v[8:9]
	v_ashrrev_i32_e32 v17, 31, v16
	v_lshlrev_b64 v[0:1], 3, v[16:17]
	s_waitcnt lgkmcnt(0)
	v_mov_b32_e32 v2, s1
	v_add_co_u32_e32 v0, vcc, s0, v0
	v_addc_co_u32_e32 v1, vcc, v2, v1, vcc
	global_store_dwordx4 v[0:1], v[12:15], off
	global_store_dwordx4 v[0:1], v[3:6], off offset:16
                                        ; implicit-def: $vgpr5
                                        ; implicit-def: $vgpr1_vgpr2
                                        ; implicit-def: $vgpr12_vgpr13
                                        ; implicit-def: $vgpr3_vgpr4
                                        ; implicit-def: $vgpr10_vgpr11
                                        ; implicit-def: $vgpr6_vgpr7
                                        ; implicit-def: $vgpr8_vgpr9
.LBB69_21:
	s_andn2_saveexec_b64 s[2:3], s[2:3]
	s_cbranch_execz .LBB69_23
; %bb.22:
	v_lshlrev_b32_e32 v14, 2, v5
	v_ashrrev_i32_e32 v15, 31, v14
	v_lshlrev_b64 v[14:15], 3, v[14:15]
	s_waitcnt lgkmcnt(0)
	v_mov_b32_e32 v0, s1
	v_add_co_u32_e32 v22, vcc, s0, v14
	v_addc_co_u32_e32 v23, vcc, v0, v15, vcc
	global_load_dwordx4 v[14:17], v[22:23], off
	global_load_dwordx4 v[18:21], v[22:23], off offset:16
	v_mul_f64 v[12:13], v[1:2], v[12:13]
	v_mul_f64 v[10:11], v[1:2], v[10:11]
	;; [unrolled: 1-line block ×4, first 2 shown]
	s_waitcnt vmcnt(1)
	v_fma_f64 v[5:6], v[3:4], v[14:15], v[12:13]
	v_fma_f64 v[7:8], v[3:4], v[16:17], v[10:11]
	s_waitcnt vmcnt(0)
	v_fma_f64 v[0:1], v[3:4], v[18:19], v[24:25]
	v_fma_f64 v[2:3], v[3:4], v[20:21], v[26:27]
	global_store_dwordx4 v[22:23], v[5:8], off
	global_store_dwordx4 v[22:23], v[0:3], off offset:16
.LBB69_23:
	s_endpgm
	.section	.rodata,"a",@progbits
	.p2align	6, 0x0
	.amdhsa_kernel _ZN9rocsparseL19gebsrmvn_4xn_kernelILj128ELj8ELj16EdEEvi20rocsparse_direction_NS_24const_host_device_scalarIT2_EEPKiS6_PKS3_S8_S4_PS3_21rocsparse_index_base_b
		.amdhsa_group_segment_fixed_size 0
		.amdhsa_private_segment_fixed_size 0
		.amdhsa_kernarg_size 72
		.amdhsa_user_sgpr_count 6
		.amdhsa_user_sgpr_private_segment_buffer 1
		.amdhsa_user_sgpr_dispatch_ptr 0
		.amdhsa_user_sgpr_queue_ptr 0
		.amdhsa_user_sgpr_kernarg_segment_ptr 1
		.amdhsa_user_sgpr_dispatch_id 0
		.amdhsa_user_sgpr_flat_scratch_init 0
		.amdhsa_user_sgpr_private_segment_size 0
		.amdhsa_uses_dynamic_stack 0
		.amdhsa_system_sgpr_private_segment_wavefront_offset 0
		.amdhsa_system_sgpr_workgroup_id_x 1
		.amdhsa_system_sgpr_workgroup_id_y 0
		.amdhsa_system_sgpr_workgroup_id_z 0
		.amdhsa_system_sgpr_workgroup_info 0
		.amdhsa_system_vgpr_workitem_id 0
		.amdhsa_next_free_vgpr 54
		.amdhsa_next_free_sgpr 16
		.amdhsa_reserve_vcc 1
		.amdhsa_reserve_flat_scratch 0
		.amdhsa_float_round_mode_32 0
		.amdhsa_float_round_mode_16_64 0
		.amdhsa_float_denorm_mode_32 3
		.amdhsa_float_denorm_mode_16_64 3
		.amdhsa_dx10_clamp 1
		.amdhsa_ieee_mode 1
		.amdhsa_fp16_overflow 0
		.amdhsa_exception_fp_ieee_invalid_op 0
		.amdhsa_exception_fp_denorm_src 0
		.amdhsa_exception_fp_ieee_div_zero 0
		.amdhsa_exception_fp_ieee_overflow 0
		.amdhsa_exception_fp_ieee_underflow 0
		.amdhsa_exception_fp_ieee_inexact 0
		.amdhsa_exception_int_div_zero 0
	.end_amdhsa_kernel
	.section	.text._ZN9rocsparseL19gebsrmvn_4xn_kernelILj128ELj8ELj16EdEEvi20rocsparse_direction_NS_24const_host_device_scalarIT2_EEPKiS6_PKS3_S8_S4_PS3_21rocsparse_index_base_b,"axG",@progbits,_ZN9rocsparseL19gebsrmvn_4xn_kernelILj128ELj8ELj16EdEEvi20rocsparse_direction_NS_24const_host_device_scalarIT2_EEPKiS6_PKS3_S8_S4_PS3_21rocsparse_index_base_b,comdat
.Lfunc_end69:
	.size	_ZN9rocsparseL19gebsrmvn_4xn_kernelILj128ELj8ELj16EdEEvi20rocsparse_direction_NS_24const_host_device_scalarIT2_EEPKiS6_PKS3_S8_S4_PS3_21rocsparse_index_base_b, .Lfunc_end69-_ZN9rocsparseL19gebsrmvn_4xn_kernelILj128ELj8ELj16EdEEvi20rocsparse_direction_NS_24const_host_device_scalarIT2_EEPKiS6_PKS3_S8_S4_PS3_21rocsparse_index_base_b
                                        ; -- End function
	.set _ZN9rocsparseL19gebsrmvn_4xn_kernelILj128ELj8ELj16EdEEvi20rocsparse_direction_NS_24const_host_device_scalarIT2_EEPKiS6_PKS3_S8_S4_PS3_21rocsparse_index_base_b.num_vgpr, 54
	.set _ZN9rocsparseL19gebsrmvn_4xn_kernelILj128ELj8ELj16EdEEvi20rocsparse_direction_NS_24const_host_device_scalarIT2_EEPKiS6_PKS3_S8_S4_PS3_21rocsparse_index_base_b.num_agpr, 0
	.set _ZN9rocsparseL19gebsrmvn_4xn_kernelILj128ELj8ELj16EdEEvi20rocsparse_direction_NS_24const_host_device_scalarIT2_EEPKiS6_PKS3_S8_S4_PS3_21rocsparse_index_base_b.numbered_sgpr, 16
	.set _ZN9rocsparseL19gebsrmvn_4xn_kernelILj128ELj8ELj16EdEEvi20rocsparse_direction_NS_24const_host_device_scalarIT2_EEPKiS6_PKS3_S8_S4_PS3_21rocsparse_index_base_b.num_named_barrier, 0
	.set _ZN9rocsparseL19gebsrmvn_4xn_kernelILj128ELj8ELj16EdEEvi20rocsparse_direction_NS_24const_host_device_scalarIT2_EEPKiS6_PKS3_S8_S4_PS3_21rocsparse_index_base_b.private_seg_size, 0
	.set _ZN9rocsparseL19gebsrmvn_4xn_kernelILj128ELj8ELj16EdEEvi20rocsparse_direction_NS_24const_host_device_scalarIT2_EEPKiS6_PKS3_S8_S4_PS3_21rocsparse_index_base_b.uses_vcc, 1
	.set _ZN9rocsparseL19gebsrmvn_4xn_kernelILj128ELj8ELj16EdEEvi20rocsparse_direction_NS_24const_host_device_scalarIT2_EEPKiS6_PKS3_S8_S4_PS3_21rocsparse_index_base_b.uses_flat_scratch, 0
	.set _ZN9rocsparseL19gebsrmvn_4xn_kernelILj128ELj8ELj16EdEEvi20rocsparse_direction_NS_24const_host_device_scalarIT2_EEPKiS6_PKS3_S8_S4_PS3_21rocsparse_index_base_b.has_dyn_sized_stack, 0
	.set _ZN9rocsparseL19gebsrmvn_4xn_kernelILj128ELj8ELj16EdEEvi20rocsparse_direction_NS_24const_host_device_scalarIT2_EEPKiS6_PKS3_S8_S4_PS3_21rocsparse_index_base_b.has_recursion, 0
	.set _ZN9rocsparseL19gebsrmvn_4xn_kernelILj128ELj8ELj16EdEEvi20rocsparse_direction_NS_24const_host_device_scalarIT2_EEPKiS6_PKS3_S8_S4_PS3_21rocsparse_index_base_b.has_indirect_call, 0
	.section	.AMDGPU.csdata,"",@progbits
; Kernel info:
; codeLenInByte = 2260
; TotalNumSgprs: 20
; NumVgprs: 54
; ScratchSize: 0
; MemoryBound: 1
; FloatMode: 240
; IeeeMode: 1
; LDSByteSize: 0 bytes/workgroup (compile time only)
; SGPRBlocks: 2
; VGPRBlocks: 13
; NumSGPRsForWavesPerEU: 20
; NumVGPRsForWavesPerEU: 54
; Occupancy: 4
; WaveLimiterHint : 1
; COMPUTE_PGM_RSRC2:SCRATCH_EN: 0
; COMPUTE_PGM_RSRC2:USER_SGPR: 6
; COMPUTE_PGM_RSRC2:TRAP_HANDLER: 0
; COMPUTE_PGM_RSRC2:TGID_X_EN: 1
; COMPUTE_PGM_RSRC2:TGID_Y_EN: 0
; COMPUTE_PGM_RSRC2:TGID_Z_EN: 0
; COMPUTE_PGM_RSRC2:TIDIG_COMP_CNT: 0
	.section	.text._ZN9rocsparseL19gebsrmvn_4xn_kernelILj128ELj8ELj32EdEEvi20rocsparse_direction_NS_24const_host_device_scalarIT2_EEPKiS6_PKS3_S8_S4_PS3_21rocsparse_index_base_b,"axG",@progbits,_ZN9rocsparseL19gebsrmvn_4xn_kernelILj128ELj8ELj32EdEEvi20rocsparse_direction_NS_24const_host_device_scalarIT2_EEPKiS6_PKS3_S8_S4_PS3_21rocsparse_index_base_b,comdat
	.globl	_ZN9rocsparseL19gebsrmvn_4xn_kernelILj128ELj8ELj32EdEEvi20rocsparse_direction_NS_24const_host_device_scalarIT2_EEPKiS6_PKS3_S8_S4_PS3_21rocsparse_index_base_b ; -- Begin function _ZN9rocsparseL19gebsrmvn_4xn_kernelILj128ELj8ELj32EdEEvi20rocsparse_direction_NS_24const_host_device_scalarIT2_EEPKiS6_PKS3_S8_S4_PS3_21rocsparse_index_base_b
	.p2align	8
	.type	_ZN9rocsparseL19gebsrmvn_4xn_kernelILj128ELj8ELj32EdEEvi20rocsparse_direction_NS_24const_host_device_scalarIT2_EEPKiS6_PKS3_S8_S4_PS3_21rocsparse_index_base_b,@function
_ZN9rocsparseL19gebsrmvn_4xn_kernelILj128ELj8ELj32EdEEvi20rocsparse_direction_NS_24const_host_device_scalarIT2_EEPKiS6_PKS3_S8_S4_PS3_21rocsparse_index_base_b: ; @_ZN9rocsparseL19gebsrmvn_4xn_kernelILj128ELj8ELj32EdEEvi20rocsparse_direction_NS_24const_host_device_scalarIT2_EEPKiS6_PKS3_S8_S4_PS3_21rocsparse_index_base_b
; %bb.0:
	s_load_dwordx2 s[2:3], s[4:5], 0x40
	s_load_dwordx2 s[10:11], s[4:5], 0x8
	;; [unrolled: 1-line block ×3, first 2 shown]
	s_waitcnt lgkmcnt(0)
	s_bitcmp1_b32 s3, 0
	s_cselect_b64 s[12:13], -1, 0
	v_mov_b32_e32 v1, s10
	s_xor_b64 s[8:9], s[12:13], -1
	s_and_b64 vcc, exec, s[12:13]
	v_mov_b32_e32 v2, s11
	s_cbranch_vccnz .LBB70_2
; %bb.1:
	v_mov_b32_e32 v1, s10
	v_mov_b32_e32 v2, s11
	flat_load_dwordx2 v[1:2], v[1:2]
.LBB70_2:
	v_mov_b32_e32 v4, s1
	s_andn2_b64 vcc, exec, s[8:9]
	v_mov_b32_e32 v3, s0
	s_cbranch_vccnz .LBB70_4
; %bb.3:
	v_mov_b32_e32 v4, s1
	v_mov_b32_e32 v3, s0
	flat_load_dwordx2 v[3:4], v[3:4]
.LBB70_4:
	s_waitcnt vmcnt(0) lgkmcnt(0)
	v_cmp_neq_f64_e32 vcc, 0, v[1:2]
	v_cmp_neq_f64_e64 s[0:1], 1.0, v[3:4]
	s_or_b64 s[0:1], vcc, s[0:1]
	s_and_saveexec_b64 s[8:9], s[0:1]
	s_cbranch_execz .LBB70_23
; %bb.5:
	s_load_dwordx2 s[0:1], s[4:5], 0x0
	v_lshrrev_b32_e32 v5, 5, v0
	v_lshl_or_b32 v5, s6, 2, v5
	s_waitcnt lgkmcnt(0)
	v_cmp_gt_i32_e32 vcc, s0, v5
	s_and_b64 exec, exec, vcc
	s_cbranch_execz .LBB70_23
; %bb.6:
	s_load_dwordx8 s[8:15], s[4:5], 0x10
	v_ashrrev_i32_e32 v6, 31, v5
	v_lshlrev_b64 v[6:7], 2, v[5:6]
	v_and_b32_e32 v0, 31, v0
	s_cmp_lg_u32 s1, 0
	s_waitcnt lgkmcnt(0)
	v_mov_b32_e32 v8, s9
	v_add_co_u32_e32 v6, vcc, s8, v6
	v_addc_co_u32_e32 v7, vcc, v8, v7, vcc
	global_load_dwordx2 v[6:7], v[6:7], off
	s_waitcnt vmcnt(0)
	v_subrev_u32_e32 v6, s2, v6
	v_subrev_u32_e32 v20, s2, v7
	v_add_u32_e32 v6, v6, v0
	v_cmp_lt_i32_e64 s[0:1], v6, v20
	s_cbranch_scc0 .LBB70_12
; %bb.7:
	v_mov_b32_e32 v14, 0
	v_mov_b32_e32 v8, 0
	;; [unrolled: 1-line block ×8, first 2 shown]
	s_and_saveexec_b64 s[6:7], s[0:1]
	s_cbranch_execz .LBB70_11
; %bb.8:
	v_mov_b32_e32 v14, 0
	v_mov_b32_e32 v8, 0
	;; [unrolled: 1-line block ×4, first 2 shown]
	v_lshlrev_b32_e32 v16, 5, v6
	v_mov_b32_e32 v15, 0
	s_mov_b64 s[8:9], 0
	v_mov_b32_e32 v7, s11
	v_mov_b32_e32 v17, 0
	;; [unrolled: 1-line block ×8, first 2 shown]
.LBB70_9:                               ; =>This Inner Loop Header: Depth=1
	v_lshlrev_b64 v[23:24], 3, v[16:17]
	v_ashrrev_i32_e32 v19, 31, v18
	v_lshlrev_b64 v[26:27], 2, v[18:19]
	v_add_co_u32_e32 v31, vcc, s12, v23
	v_addc_co_u32_e32 v32, vcc, v21, v24, vcc
	v_add_co_u32_e32 v23, vcc, s10, v26
	v_addc_co_u32_e32 v24, vcc, v7, v27, vcc
	global_load_dword v19, v[23:24], off
	v_mov_b32_e32 v25, v17
	v_add_u32_e32 v18, 32, v18
	v_add_u32_e32 v16, 0x400, v16
	s_waitcnt vmcnt(0)
	v_subrev_u32_e32 v19, s2, v19
	v_lshlrev_b32_e32 v24, 3, v19
	v_lshlrev_b64 v[23:24], 3, v[24:25]
	v_add_co_u32_e32 v33, vcc, s14, v23
	v_addc_co_u32_e32 v34, vcc, v22, v24, vcc
	global_load_dwordx4 v[23:26], v[31:32], off
	global_load_dwordx4 v[27:30], v[33:34], off
	v_cmp_ge_i32_e32 vcc, v18, v20
	s_or_b64 s[8:9], vcc, s[8:9]
	s_waitcnt vmcnt(0)
	v_fma_f64 v[23:24], v[23:24], v[27:28], v[14:15]
	v_fma_f64 v[25:26], v[25:26], v[27:28], v[12:13]
	global_load_dwordx4 v[12:15], v[31:32], off offset:16
	s_waitcnt vmcnt(0)
	v_fma_f64 v[12:13], v[12:13], v[27:28], v[10:11]
	v_fma_f64 v[14:15], v[14:15], v[27:28], v[8:9]
	global_load_dwordx4 v[8:11], v[31:32], off offset:32
	s_waitcnt vmcnt(0)
	v_fma_f64 v[23:24], v[8:9], v[29:30], v[23:24]
	v_fma_f64 v[25:26], v[10:11], v[29:30], v[25:26]
	global_load_dwordx4 v[8:11], v[31:32], off offset:48
	s_waitcnt vmcnt(0)
	v_fma_f64 v[27:28], v[8:9], v[29:30], v[12:13]
	v_fma_f64 v[29:30], v[10:11], v[29:30], v[14:15]
	global_load_dwordx4 v[8:11], v[31:32], off offset:64
	global_load_dwordx4 v[12:15], v[33:34], off offset:16
	s_waitcnt vmcnt(0)
	v_fma_f64 v[23:24], v[8:9], v[12:13], v[23:24]
	v_fma_f64 v[25:26], v[10:11], v[12:13], v[25:26]
	global_load_dwordx4 v[8:11], v[31:32], off offset:80
	s_waitcnt vmcnt(0)
	v_fma_f64 v[27:28], v[8:9], v[12:13], v[27:28]
	v_fma_f64 v[12:13], v[10:11], v[12:13], v[29:30]
	global_load_dwordx4 v[8:11], v[31:32], off offset:96
	s_waitcnt vmcnt(0)
	v_fma_f64 v[23:24], v[8:9], v[14:15], v[23:24]
	v_fma_f64 v[25:26], v[10:11], v[14:15], v[25:26]
	global_load_dwordx4 v[8:11], v[31:32], off offset:112
	s_waitcnt vmcnt(0)
	v_fma_f64 v[27:28], v[8:9], v[14:15], v[27:28]
	v_fma_f64 v[29:30], v[10:11], v[14:15], v[12:13]
	global_load_dwordx4 v[8:11], v[31:32], off offset:128
	global_load_dwordx4 v[12:15], v[33:34], off offset:32
	;; [unrolled: 17-line block ×3, first 2 shown]
	s_waitcnt vmcnt(0)
	v_fma_f64 v[14:15], v[8:9], v[23:24], v[29:30]
	v_fma_f64 v[29:30], v[10:11], v[23:24], v[35:36]
	global_load_dwordx4 v[8:11], v[31:32], off offset:208
	s_waitcnt vmcnt(0)
	v_fma_f64 v[33:34], v[8:9], v[23:24], v[27:28]
	v_fma_f64 v[23:24], v[10:11], v[23:24], v[12:13]
	global_load_dwordx4 v[8:11], v[31:32], off offset:224
	s_waitcnt vmcnt(0)
	v_fma_f64 v[12:13], v[10:11], v[25:26], v[29:30]
	global_load_dwordx4 v[27:30], v[31:32], off offset:240
	v_fma_f64 v[14:15], v[8:9], v[25:26], v[14:15]
	s_waitcnt vmcnt(0)
	v_fma_f64 v[10:11], v[27:28], v[25:26], v[33:34]
	v_fma_f64 v[8:9], v[29:30], v[25:26], v[23:24]
	s_andn2_b64 exec, exec, s[8:9]
	s_cbranch_execnz .LBB70_9
; %bb.10:
	s_or_b64 exec, exec, s[8:9]
.LBB70_11:
	s_or_b64 exec, exec, s[6:7]
	s_cbranch_execz .LBB70_13
	s_branch .LBB70_18
.LBB70_12:
                                        ; implicit-def: $vgpr14_vgpr15
                                        ; implicit-def: $vgpr8_vgpr9
                                        ; implicit-def: $vgpr10_vgpr11
                                        ; implicit-def: $vgpr12_vgpr13
.LBB70_13:
	v_mov_b32_e32 v14, 0
	v_mov_b32_e32 v8, 0
	;; [unrolled: 1-line block ×8, first 2 shown]
	s_and_saveexec_b64 s[6:7], s[0:1]
	s_cbranch_execz .LBB70_17
; %bb.14:
	v_mov_b32_e32 v14, 0
	v_mov_b32_e32 v8, 0
	;; [unrolled: 1-line block ×4, first 2 shown]
	v_lshlrev_b32_e32 v16, 5, v6
	v_mov_b32_e32 v15, 0
	s_mov_b64 s[0:1], 0
	v_mov_b32_e32 v18, s11
	v_mov_b32_e32 v17, 0
	;; [unrolled: 1-line block ×7, first 2 shown]
.LBB70_15:                              ; =>This Inner Loop Header: Depth=1
	v_lshlrev_b64 v[22:23], 3, v[16:17]
	v_ashrrev_i32_e32 v7, 31, v6
	v_lshlrev_b64 v[24:25], 2, v[6:7]
	v_add_co_u32_e32 v46, vcc, s12, v22
	v_addc_co_u32_e32 v47, vcc, v19, v23, vcc
	v_add_co_u32_e32 v32, vcc, s10, v24
	v_addc_co_u32_e32 v33, vcc, v18, v25, vcc
	global_load_dwordx4 v[22:25], v[46:47], off
	global_load_dwordx4 v[26:29], v[46:47], off offset:16
	global_load_dword v7, v[32:33], off
	v_mov_b32_e32 v31, v17
	v_add_u32_e32 v6, 32, v6
	v_add_u32_e32 v16, 0x400, v16
	s_waitcnt vmcnt(0)
	v_subrev_u32_e32 v7, s2, v7
	v_lshlrev_b32_e32 v30, 3, v7
	v_lshlrev_b64 v[30:31], 3, v[30:31]
	v_add_co_u32_e32 v48, vcc, s14, v30
	v_addc_co_u32_e32 v49, vcc, v21, v31, vcc
	global_load_dwordx4 v[30:33], v[48:49], off
	global_load_dwordx4 v[34:37], v[48:49], off offset:16
	v_cmp_ge_i32_e32 vcc, v6, v20
	s_or_b64 s[0:1], vcc, s[0:1]
	s_waitcnt vmcnt(1)
	v_fma_f64 v[14:15], v[22:23], v[30:31], v[14:15]
	v_fma_f64 v[50:51], v[24:25], v[32:33], v[14:15]
	global_load_dwordx4 v[22:25], v[46:47], off offset:64
	global_load_dwordx4 v[38:41], v[46:47], off offset:80
	s_waitcnt vmcnt(1)
	v_fma_f64 v[12:13], v[22:23], v[30:31], v[12:13]
	v_fma_f64 v[52:53], v[24:25], v[32:33], v[12:13]
	global_load_dwordx4 v[12:15], v[46:47], off offset:128
	global_load_dwordx4 v[22:25], v[46:47], off offset:144
	;; [unrolled: 5-line block ×3, first 2 shown]
	s_waitcnt vmcnt(1)
	v_fma_f64 v[7:8], v[10:11], v[30:31], v[8:9]
	v_fma_f64 v[11:12], v[12:13], v[32:33], v[7:8]
	;; [unrolled: 1-line block ×3, first 2 shown]
	s_waitcnt vmcnt(0)
	v_fma_f64 v[11:12], v[42:43], v[34:35], v[11:12]
	v_fma_f64 v[30:31], v[28:29], v[36:37], v[7:8]
	;; [unrolled: 1-line block ×7, first 2 shown]
	global_load_dwordx4 v[7:10], v[46:47], off offset:32
	global_load_dwordx4 v[11:14], v[46:47], off offset:48
	;; [unrolled: 1-line block ×4, first 2 shown]
	s_waitcnt vmcnt(1)
	v_fma_f64 v[7:8], v[7:8], v[22:23], v[30:31]
	v_fma_f64 v[44:45], v[9:10], v[24:25], v[7:8]
	global_load_dwordx4 v[7:10], v[46:47], off offset:96
	global_load_dwordx4 v[30:33], v[46:47], off offset:112
	s_waitcnt vmcnt(1)
	v_fma_f64 v[7:8], v[7:8], v[22:23], v[38:39]
	v_fma_f64 v[48:49], v[9:10], v[24:25], v[7:8]
	global_load_dwordx4 v[7:10], v[46:47], off offset:160
	global_load_dwordx4 v[34:37], v[46:47], off offset:176
	;; [unrolled: 5-line block ×3, first 2 shown]
	s_waitcnt vmcnt(1)
	v_fma_f64 v[7:8], v[7:8], v[22:23], v[42:43]
	v_fma_f64 v[22:23], v[34:35], v[26:27], v[50:51]
	;; [unrolled: 1-line block ×4, first 2 shown]
	s_waitcnt vmcnt(0)
	v_fma_f64 v[7:8], v[38:39], v[26:27], v[7:8]
	v_fma_f64 v[14:15], v[13:14], v[28:29], v[9:10]
	;; [unrolled: 1-line block ×6, first 2 shown]
	s_andn2_b64 exec, exec, s[0:1]
	s_cbranch_execnz .LBB70_15
; %bb.16:
	s_or_b64 exec, exec, s[0:1]
.LBB70_17:
	s_or_b64 exec, exec, s[6:7]
.LBB70_18:
	v_mov_b32_dpp v6, v14 row_shr:1 row_mask:0xf bank_mask:0xf
	v_mov_b32_dpp v7, v15 row_shr:1 row_mask:0xf bank_mask:0xf
	v_add_f64 v[6:7], v[14:15], v[6:7]
	v_mov_b32_dpp v14, v12 row_shr:1 row_mask:0xf bank_mask:0xf
	v_mov_b32_dpp v15, v13 row_shr:1 row_mask:0xf bank_mask:0xf
	v_add_f64 v[12:13], v[12:13], v[14:15]
	;; [unrolled: 3-line block ×3, first 2 shown]
	v_cmp_eq_u32_e32 vcc, 31, v0
	v_mov_b32_dpp v14, v6 row_shr:2 row_mask:0xf bank_mask:0xf
	v_mov_b32_dpp v15, v7 row_shr:2 row_mask:0xf bank_mask:0xf
	v_add_f64 v[6:7], v[6:7], v[14:15]
	v_mov_b32_dpp v14, v8 row_shr:1 row_mask:0xf bank_mask:0xf
	v_mov_b32_dpp v15, v9 row_shr:1 row_mask:0xf bank_mask:0xf
	v_add_f64 v[8:9], v[8:9], v[14:15]
	;; [unrolled: 3-line block ×4, first 2 shown]
	v_mov_b32_dpp v16, v10 row_shr:2 row_mask:0xf bank_mask:0xf
	v_mov_b32_dpp v17, v11 row_shr:2 row_mask:0xf bank_mask:0xf
	;; [unrolled: 1-line block ×3, first 2 shown]
	v_add_f64 v[10:11], v[10:11], v[16:17]
	v_mov_b32_dpp v15, v9 row_shr:2 row_mask:0xf bank_mask:0xf
	v_add_f64 v[8:9], v[8:9], v[14:15]
	v_mov_b32_dpp v16, v12 row_shr:4 row_mask:0xf bank_mask:0xe
	v_mov_b32_dpp v17, v13 row_shr:4 row_mask:0xf bank_mask:0xe
	v_add_f64 v[12:13], v[12:13], v[16:17]
	v_mov_b32_dpp v14, v6 row_shr:8 row_mask:0xf bank_mask:0xc
	v_mov_b32_dpp v15, v7 row_shr:8 row_mask:0xf bank_mask:0xc
	;; [unrolled: 1-line block ×4, first 2 shown]
	v_add_f64 v[10:11], v[10:11], v[16:17]
	v_mov_b32_dpp v16, v8 row_shr:4 row_mask:0xf bank_mask:0xe
	v_mov_b32_dpp v17, v9 row_shr:4 row_mask:0xf bank_mask:0xe
	v_add_f64 v[16:17], v[8:9], v[16:17]
	v_mov_b32_dpp v8, v12 row_shr:8 row_mask:0xf bank_mask:0xc
	v_mov_b32_dpp v9, v13 row_shr:8 row_mask:0xf bank_mask:0xc
	v_add_f64 v[8:9], v[12:13], v[8:9]
	v_add_f64 v[6:7], v[6:7], v[14:15]
	v_mov_b32_dpp v12, v10 row_shr:8 row_mask:0xf bank_mask:0xc
	v_mov_b32_dpp v13, v11 row_shr:8 row_mask:0xf bank_mask:0xc
	v_add_f64 v[14:15], v[10:11], v[12:13]
	v_mov_b32_dpp v10, v16 row_shr:8 row_mask:0xf bank_mask:0xc
	v_mov_b32_dpp v11, v17 row_shr:8 row_mask:0xf bank_mask:0xc
	v_add_f64 v[16:17], v[16:17], v[10:11]
	v_mov_b32_dpp v10, v8 row_bcast:15 row_mask:0xa bank_mask:0xf
	v_mov_b32_dpp v12, v6 row_bcast:15 row_mask:0xa bank_mask:0xf
	;; [unrolled: 1-line block ×8, first 2 shown]
	s_and_b64 exec, exec, vcc
	s_cbranch_execz .LBB70_23
; %bb.19:
	v_add_f64 v[12:13], v[6:7], v[12:13]
	v_add_f64 v[10:11], v[8:9], v[10:11]
	;; [unrolled: 1-line block ×4, first 2 shown]
	v_cmp_eq_f64_e32 vcc, 0, v[3:4]
	s_load_dwordx2 s[0:1], s[4:5], 0x38
	s_and_saveexec_b64 s[2:3], vcc
	s_xor_b64 s[2:3], exec, s[2:3]
	s_cbranch_execz .LBB70_21
; %bb.20:
	v_mul_f64 v[12:13], v[1:2], v[12:13]
	v_mul_f64 v[14:15], v[1:2], v[10:11]
	v_lshlrev_b32_e32 v16, 2, v5
	v_mul_f64 v[3:4], v[1:2], v[6:7]
	v_mul_f64 v[5:6], v[1:2], v[8:9]
	v_ashrrev_i32_e32 v17, 31, v16
	v_lshlrev_b64 v[0:1], 3, v[16:17]
	s_waitcnt lgkmcnt(0)
	v_mov_b32_e32 v2, s1
	v_add_co_u32_e32 v0, vcc, s0, v0
	v_addc_co_u32_e32 v1, vcc, v2, v1, vcc
	global_store_dwordx4 v[0:1], v[12:15], off
	global_store_dwordx4 v[0:1], v[3:6], off offset:16
                                        ; implicit-def: $vgpr5
                                        ; implicit-def: $vgpr1_vgpr2
                                        ; implicit-def: $vgpr12_vgpr13
                                        ; implicit-def: $vgpr3_vgpr4
                                        ; implicit-def: $vgpr10_vgpr11
                                        ; implicit-def: $vgpr6_vgpr7
                                        ; implicit-def: $vgpr8_vgpr9
.LBB70_21:
	s_andn2_saveexec_b64 s[2:3], s[2:3]
	s_cbranch_execz .LBB70_23
; %bb.22:
	v_lshlrev_b32_e32 v14, 2, v5
	v_ashrrev_i32_e32 v15, 31, v14
	v_lshlrev_b64 v[14:15], 3, v[14:15]
	s_waitcnt lgkmcnt(0)
	v_mov_b32_e32 v0, s1
	v_add_co_u32_e32 v22, vcc, s0, v14
	v_addc_co_u32_e32 v23, vcc, v0, v15, vcc
	global_load_dwordx4 v[14:17], v[22:23], off
	global_load_dwordx4 v[18:21], v[22:23], off offset:16
	v_mul_f64 v[12:13], v[1:2], v[12:13]
	v_mul_f64 v[10:11], v[1:2], v[10:11]
	;; [unrolled: 1-line block ×4, first 2 shown]
	s_waitcnt vmcnt(1)
	v_fma_f64 v[5:6], v[3:4], v[14:15], v[12:13]
	v_fma_f64 v[7:8], v[3:4], v[16:17], v[10:11]
	s_waitcnt vmcnt(0)
	v_fma_f64 v[0:1], v[3:4], v[18:19], v[24:25]
	v_fma_f64 v[2:3], v[3:4], v[20:21], v[26:27]
	global_store_dwordx4 v[22:23], v[5:8], off
	global_store_dwordx4 v[22:23], v[0:3], off offset:16
.LBB70_23:
	s_endpgm
	.section	.rodata,"a",@progbits
	.p2align	6, 0x0
	.amdhsa_kernel _ZN9rocsparseL19gebsrmvn_4xn_kernelILj128ELj8ELj32EdEEvi20rocsparse_direction_NS_24const_host_device_scalarIT2_EEPKiS6_PKS3_S8_S4_PS3_21rocsparse_index_base_b
		.amdhsa_group_segment_fixed_size 0
		.amdhsa_private_segment_fixed_size 0
		.amdhsa_kernarg_size 72
		.amdhsa_user_sgpr_count 6
		.amdhsa_user_sgpr_private_segment_buffer 1
		.amdhsa_user_sgpr_dispatch_ptr 0
		.amdhsa_user_sgpr_queue_ptr 0
		.amdhsa_user_sgpr_kernarg_segment_ptr 1
		.amdhsa_user_sgpr_dispatch_id 0
		.amdhsa_user_sgpr_flat_scratch_init 0
		.amdhsa_user_sgpr_private_segment_size 0
		.amdhsa_uses_dynamic_stack 0
		.amdhsa_system_sgpr_private_segment_wavefront_offset 0
		.amdhsa_system_sgpr_workgroup_id_x 1
		.amdhsa_system_sgpr_workgroup_id_y 0
		.amdhsa_system_sgpr_workgroup_id_z 0
		.amdhsa_system_sgpr_workgroup_info 0
		.amdhsa_system_vgpr_workitem_id 0
		.amdhsa_next_free_vgpr 54
		.amdhsa_next_free_sgpr 16
		.amdhsa_reserve_vcc 1
		.amdhsa_reserve_flat_scratch 0
		.amdhsa_float_round_mode_32 0
		.amdhsa_float_round_mode_16_64 0
		.amdhsa_float_denorm_mode_32 3
		.amdhsa_float_denorm_mode_16_64 3
		.amdhsa_dx10_clamp 1
		.amdhsa_ieee_mode 1
		.amdhsa_fp16_overflow 0
		.amdhsa_exception_fp_ieee_invalid_op 0
		.amdhsa_exception_fp_denorm_src 0
		.amdhsa_exception_fp_ieee_div_zero 0
		.amdhsa_exception_fp_ieee_overflow 0
		.amdhsa_exception_fp_ieee_underflow 0
		.amdhsa_exception_fp_ieee_inexact 0
		.amdhsa_exception_int_div_zero 0
	.end_amdhsa_kernel
	.section	.text._ZN9rocsparseL19gebsrmvn_4xn_kernelILj128ELj8ELj32EdEEvi20rocsparse_direction_NS_24const_host_device_scalarIT2_EEPKiS6_PKS3_S8_S4_PS3_21rocsparse_index_base_b,"axG",@progbits,_ZN9rocsparseL19gebsrmvn_4xn_kernelILj128ELj8ELj32EdEEvi20rocsparse_direction_NS_24const_host_device_scalarIT2_EEPKiS6_PKS3_S8_S4_PS3_21rocsparse_index_base_b,comdat
.Lfunc_end70:
	.size	_ZN9rocsparseL19gebsrmvn_4xn_kernelILj128ELj8ELj32EdEEvi20rocsparse_direction_NS_24const_host_device_scalarIT2_EEPKiS6_PKS3_S8_S4_PS3_21rocsparse_index_base_b, .Lfunc_end70-_ZN9rocsparseL19gebsrmvn_4xn_kernelILj128ELj8ELj32EdEEvi20rocsparse_direction_NS_24const_host_device_scalarIT2_EEPKiS6_PKS3_S8_S4_PS3_21rocsparse_index_base_b
                                        ; -- End function
	.set _ZN9rocsparseL19gebsrmvn_4xn_kernelILj128ELj8ELj32EdEEvi20rocsparse_direction_NS_24const_host_device_scalarIT2_EEPKiS6_PKS3_S8_S4_PS3_21rocsparse_index_base_b.num_vgpr, 54
	.set _ZN9rocsparseL19gebsrmvn_4xn_kernelILj128ELj8ELj32EdEEvi20rocsparse_direction_NS_24const_host_device_scalarIT2_EEPKiS6_PKS3_S8_S4_PS3_21rocsparse_index_base_b.num_agpr, 0
	.set _ZN9rocsparseL19gebsrmvn_4xn_kernelILj128ELj8ELj32EdEEvi20rocsparse_direction_NS_24const_host_device_scalarIT2_EEPKiS6_PKS3_S8_S4_PS3_21rocsparse_index_base_b.numbered_sgpr, 16
	.set _ZN9rocsparseL19gebsrmvn_4xn_kernelILj128ELj8ELj32EdEEvi20rocsparse_direction_NS_24const_host_device_scalarIT2_EEPKiS6_PKS3_S8_S4_PS3_21rocsparse_index_base_b.num_named_barrier, 0
	.set _ZN9rocsparseL19gebsrmvn_4xn_kernelILj128ELj8ELj32EdEEvi20rocsparse_direction_NS_24const_host_device_scalarIT2_EEPKiS6_PKS3_S8_S4_PS3_21rocsparse_index_base_b.private_seg_size, 0
	.set _ZN9rocsparseL19gebsrmvn_4xn_kernelILj128ELj8ELj32EdEEvi20rocsparse_direction_NS_24const_host_device_scalarIT2_EEPKiS6_PKS3_S8_S4_PS3_21rocsparse_index_base_b.uses_vcc, 1
	.set _ZN9rocsparseL19gebsrmvn_4xn_kernelILj128ELj8ELj32EdEEvi20rocsparse_direction_NS_24const_host_device_scalarIT2_EEPKiS6_PKS3_S8_S4_PS3_21rocsparse_index_base_b.uses_flat_scratch, 0
	.set _ZN9rocsparseL19gebsrmvn_4xn_kernelILj128ELj8ELj32EdEEvi20rocsparse_direction_NS_24const_host_device_scalarIT2_EEPKiS6_PKS3_S8_S4_PS3_21rocsparse_index_base_b.has_dyn_sized_stack, 0
	.set _ZN9rocsparseL19gebsrmvn_4xn_kernelILj128ELj8ELj32EdEEvi20rocsparse_direction_NS_24const_host_device_scalarIT2_EEPKiS6_PKS3_S8_S4_PS3_21rocsparse_index_base_b.has_recursion, 0
	.set _ZN9rocsparseL19gebsrmvn_4xn_kernelILj128ELj8ELj32EdEEvi20rocsparse_direction_NS_24const_host_device_scalarIT2_EEPKiS6_PKS3_S8_S4_PS3_21rocsparse_index_base_b.has_indirect_call, 0
	.section	.AMDGPU.csdata,"",@progbits
; Kernel info:
; codeLenInByte = 2356
; TotalNumSgprs: 20
; NumVgprs: 54
; ScratchSize: 0
; MemoryBound: 1
; FloatMode: 240
; IeeeMode: 1
; LDSByteSize: 0 bytes/workgroup (compile time only)
; SGPRBlocks: 2
; VGPRBlocks: 13
; NumSGPRsForWavesPerEU: 20
; NumVGPRsForWavesPerEU: 54
; Occupancy: 4
; WaveLimiterHint : 1
; COMPUTE_PGM_RSRC2:SCRATCH_EN: 0
; COMPUTE_PGM_RSRC2:USER_SGPR: 6
; COMPUTE_PGM_RSRC2:TRAP_HANDLER: 0
; COMPUTE_PGM_RSRC2:TGID_X_EN: 1
; COMPUTE_PGM_RSRC2:TGID_Y_EN: 0
; COMPUTE_PGM_RSRC2:TGID_Z_EN: 0
; COMPUTE_PGM_RSRC2:TIDIG_COMP_CNT: 0
	.section	.text._ZN9rocsparseL19gebsrmvn_4xn_kernelILj128ELj8ELj64EdEEvi20rocsparse_direction_NS_24const_host_device_scalarIT2_EEPKiS6_PKS3_S8_S4_PS3_21rocsparse_index_base_b,"axG",@progbits,_ZN9rocsparseL19gebsrmvn_4xn_kernelILj128ELj8ELj64EdEEvi20rocsparse_direction_NS_24const_host_device_scalarIT2_EEPKiS6_PKS3_S8_S4_PS3_21rocsparse_index_base_b,comdat
	.globl	_ZN9rocsparseL19gebsrmvn_4xn_kernelILj128ELj8ELj64EdEEvi20rocsparse_direction_NS_24const_host_device_scalarIT2_EEPKiS6_PKS3_S8_S4_PS3_21rocsparse_index_base_b ; -- Begin function _ZN9rocsparseL19gebsrmvn_4xn_kernelILj128ELj8ELj64EdEEvi20rocsparse_direction_NS_24const_host_device_scalarIT2_EEPKiS6_PKS3_S8_S4_PS3_21rocsparse_index_base_b
	.p2align	8
	.type	_ZN9rocsparseL19gebsrmvn_4xn_kernelILj128ELj8ELj64EdEEvi20rocsparse_direction_NS_24const_host_device_scalarIT2_EEPKiS6_PKS3_S8_S4_PS3_21rocsparse_index_base_b,@function
_ZN9rocsparseL19gebsrmvn_4xn_kernelILj128ELj8ELj64EdEEvi20rocsparse_direction_NS_24const_host_device_scalarIT2_EEPKiS6_PKS3_S8_S4_PS3_21rocsparse_index_base_b: ; @_ZN9rocsparseL19gebsrmvn_4xn_kernelILj128ELj8ELj64EdEEvi20rocsparse_direction_NS_24const_host_device_scalarIT2_EEPKiS6_PKS3_S8_S4_PS3_21rocsparse_index_base_b
; %bb.0:
	s_load_dwordx2 s[2:3], s[4:5], 0x40
	s_load_dwordx2 s[10:11], s[4:5], 0x8
	;; [unrolled: 1-line block ×3, first 2 shown]
	s_waitcnt lgkmcnt(0)
	s_bitcmp1_b32 s3, 0
	s_cselect_b64 s[12:13], -1, 0
	v_mov_b32_e32 v1, s10
	s_xor_b64 s[8:9], s[12:13], -1
	s_and_b64 vcc, exec, s[12:13]
	v_mov_b32_e32 v2, s11
	s_cbranch_vccnz .LBB71_2
; %bb.1:
	v_mov_b32_e32 v1, s10
	v_mov_b32_e32 v2, s11
	flat_load_dwordx2 v[1:2], v[1:2]
.LBB71_2:
	v_mov_b32_e32 v4, s1
	s_andn2_b64 vcc, exec, s[8:9]
	v_mov_b32_e32 v3, s0
	s_cbranch_vccnz .LBB71_4
; %bb.3:
	v_mov_b32_e32 v4, s1
	v_mov_b32_e32 v3, s0
	flat_load_dwordx2 v[3:4], v[3:4]
.LBB71_4:
	s_waitcnt vmcnt(0) lgkmcnt(0)
	v_cmp_neq_f64_e32 vcc, 0, v[1:2]
	v_cmp_neq_f64_e64 s[0:1], 1.0, v[3:4]
	s_or_b64 s[0:1], vcc, s[0:1]
	s_and_saveexec_b64 s[8:9], s[0:1]
	s_cbranch_execz .LBB71_23
; %bb.5:
	s_load_dwordx2 s[0:1], s[4:5], 0x0
	v_lshrrev_b32_e32 v5, 6, v0
	v_lshl_or_b32 v5, s6, 1, v5
	s_waitcnt lgkmcnt(0)
	v_cmp_gt_i32_e32 vcc, s0, v5
	s_and_b64 exec, exec, vcc
	s_cbranch_execz .LBB71_23
; %bb.6:
	s_load_dwordx8 s[8:15], s[4:5], 0x10
	v_ashrrev_i32_e32 v6, 31, v5
	v_lshlrev_b64 v[6:7], 2, v[5:6]
	v_and_b32_e32 v0, 63, v0
	s_cmp_lg_u32 s1, 0
	s_waitcnt lgkmcnt(0)
	v_mov_b32_e32 v8, s9
	v_add_co_u32_e32 v6, vcc, s8, v6
	v_addc_co_u32_e32 v7, vcc, v8, v7, vcc
	global_load_dwordx2 v[6:7], v[6:7], off
	s_waitcnt vmcnt(0)
	v_subrev_u32_e32 v6, s2, v6
	v_subrev_u32_e32 v20, s2, v7
	v_add_u32_e32 v6, v6, v0
	v_cmp_lt_i32_e64 s[0:1], v6, v20
	s_cbranch_scc0 .LBB71_12
; %bb.7:
	v_mov_b32_e32 v12, 0
	v_mov_b32_e32 v8, 0
	v_mov_b32_e32 v10, 0
	v_mov_b32_e32 v14, 0
	v_mov_b32_e32 v13, 0
	v_mov_b32_e32 v9, 0
	v_mov_b32_e32 v11, 0
	v_mov_b32_e32 v15, 0
	s_and_saveexec_b64 s[6:7], s[0:1]
	s_cbranch_execz .LBB71_11
; %bb.8:
	v_mov_b32_e32 v12, 0
	v_mov_b32_e32 v8, 0
	;; [unrolled: 1-line block ×4, first 2 shown]
	v_lshlrev_b32_e32 v16, 5, v6
	v_mov_b32_e32 v13, 0
	s_mov_b64 s[8:9], 0
	v_mov_b32_e32 v7, s11
	v_mov_b32_e32 v17, 0
	;; [unrolled: 1-line block ×8, first 2 shown]
.LBB71_9:                               ; =>This Inner Loop Header: Depth=1
	v_lshlrev_b64 v[23:24], 3, v[16:17]
	v_ashrrev_i32_e32 v19, 31, v18
	v_lshlrev_b64 v[26:27], 2, v[18:19]
	v_add_co_u32_e32 v31, vcc, s12, v23
	v_addc_co_u32_e32 v32, vcc, v21, v24, vcc
	v_add_co_u32_e32 v23, vcc, s10, v26
	v_addc_co_u32_e32 v24, vcc, v7, v27, vcc
	global_load_dword v19, v[23:24], off
	v_mov_b32_e32 v25, v17
	v_add_u32_e32 v18, 64, v18
	v_add_u32_e32 v16, 0x800, v16
	s_waitcnt vmcnt(0)
	v_subrev_u32_e32 v19, s2, v19
	v_lshlrev_b32_e32 v24, 3, v19
	v_lshlrev_b64 v[23:24], 3, v[24:25]
	v_add_co_u32_e32 v33, vcc, s14, v23
	v_addc_co_u32_e32 v34, vcc, v22, v24, vcc
	global_load_dwordx4 v[23:26], v[31:32], off
	global_load_dwordx4 v[27:30], v[33:34], off
	v_cmp_ge_i32_e32 vcc, v18, v20
	s_or_b64 s[8:9], vcc, s[8:9]
	s_waitcnt vmcnt(0)
	v_fma_f64 v[23:24], v[23:24], v[27:28], v[12:13]
	v_fma_f64 v[25:26], v[25:26], v[27:28], v[14:15]
	global_load_dwordx4 v[12:15], v[31:32], off offset:16
	s_waitcnt vmcnt(0)
	v_fma_f64 v[12:13], v[12:13], v[27:28], v[10:11]
	v_fma_f64 v[14:15], v[14:15], v[27:28], v[8:9]
	global_load_dwordx4 v[8:11], v[31:32], off offset:32
	s_waitcnt vmcnt(0)
	v_fma_f64 v[23:24], v[8:9], v[29:30], v[23:24]
	v_fma_f64 v[25:26], v[10:11], v[29:30], v[25:26]
	global_load_dwordx4 v[8:11], v[31:32], off offset:48
	s_waitcnt vmcnt(0)
	v_fma_f64 v[27:28], v[8:9], v[29:30], v[12:13]
	v_fma_f64 v[29:30], v[10:11], v[29:30], v[14:15]
	global_load_dwordx4 v[8:11], v[31:32], off offset:64
	global_load_dwordx4 v[12:15], v[33:34], off offset:16
	s_waitcnt vmcnt(0)
	v_fma_f64 v[23:24], v[8:9], v[12:13], v[23:24]
	v_fma_f64 v[25:26], v[10:11], v[12:13], v[25:26]
	global_load_dwordx4 v[8:11], v[31:32], off offset:80
	s_waitcnt vmcnt(0)
	v_fma_f64 v[27:28], v[8:9], v[12:13], v[27:28]
	v_fma_f64 v[12:13], v[10:11], v[12:13], v[29:30]
	global_load_dwordx4 v[8:11], v[31:32], off offset:96
	s_waitcnt vmcnt(0)
	v_fma_f64 v[23:24], v[8:9], v[14:15], v[23:24]
	v_fma_f64 v[25:26], v[10:11], v[14:15], v[25:26]
	global_load_dwordx4 v[8:11], v[31:32], off offset:112
	s_waitcnt vmcnt(0)
	v_fma_f64 v[27:28], v[8:9], v[14:15], v[27:28]
	v_fma_f64 v[29:30], v[10:11], v[14:15], v[12:13]
	global_load_dwordx4 v[8:11], v[31:32], off offset:128
	global_load_dwordx4 v[12:15], v[33:34], off offset:32
	;; [unrolled: 17-line block ×3, first 2 shown]
	s_waitcnt vmcnt(0)
	v_fma_f64 v[14:15], v[8:9], v[23:24], v[29:30]
	v_fma_f64 v[29:30], v[10:11], v[23:24], v[35:36]
	global_load_dwordx4 v[8:11], v[31:32], off offset:208
	s_waitcnt vmcnt(0)
	v_fma_f64 v[33:34], v[8:9], v[23:24], v[27:28]
	v_fma_f64 v[23:24], v[10:11], v[23:24], v[12:13]
	global_load_dwordx4 v[8:11], v[31:32], off offset:224
	;; [unrolled: 4-line block ×3, first 2 shown]
	s_waitcnt vmcnt(0)
	v_fma_f64 v[10:11], v[27:28], v[25:26], v[33:34]
	v_fma_f64 v[8:9], v[29:30], v[25:26], v[23:24]
	s_andn2_b64 exec, exec, s[8:9]
	s_cbranch_execnz .LBB71_9
; %bb.10:
	s_or_b64 exec, exec, s[8:9]
.LBB71_11:
	s_or_b64 exec, exec, s[6:7]
	s_cbranch_execz .LBB71_13
	s_branch .LBB71_18
.LBB71_12:
                                        ; implicit-def: $vgpr12_vgpr13
                                        ; implicit-def: $vgpr8_vgpr9
                                        ; implicit-def: $vgpr10_vgpr11
                                        ; implicit-def: $vgpr14_vgpr15
.LBB71_13:
	v_mov_b32_e32 v12, 0
	v_mov_b32_e32 v8, 0
	;; [unrolled: 1-line block ×8, first 2 shown]
	s_and_saveexec_b64 s[6:7], s[0:1]
	s_cbranch_execz .LBB71_17
; %bb.14:
	v_mov_b32_e32 v12, 0
	v_mov_b32_e32 v8, 0
	;; [unrolled: 1-line block ×4, first 2 shown]
	v_lshlrev_b32_e32 v16, 5, v6
	v_mov_b32_e32 v13, 0
	s_mov_b64 s[0:1], 0
	v_mov_b32_e32 v18, s11
	v_mov_b32_e32 v17, 0
	;; [unrolled: 1-line block ×7, first 2 shown]
.LBB71_15:                              ; =>This Inner Loop Header: Depth=1
	v_lshlrev_b64 v[22:23], 3, v[16:17]
	v_ashrrev_i32_e32 v7, 31, v6
	v_lshlrev_b64 v[24:25], 2, v[6:7]
	v_add_co_u32_e32 v46, vcc, s12, v22
	v_addc_co_u32_e32 v47, vcc, v19, v23, vcc
	v_add_co_u32_e32 v32, vcc, s10, v24
	v_addc_co_u32_e32 v33, vcc, v18, v25, vcc
	global_load_dwordx4 v[22:25], v[46:47], off
	global_load_dwordx4 v[26:29], v[46:47], off offset:16
	global_load_dword v7, v[32:33], off
	v_mov_b32_e32 v31, v17
	v_add_u32_e32 v6, 64, v6
	v_add_u32_e32 v16, 0x800, v16
	s_waitcnt vmcnt(0)
	v_subrev_u32_e32 v7, s2, v7
	v_lshlrev_b32_e32 v30, 3, v7
	v_lshlrev_b64 v[30:31], 3, v[30:31]
	v_add_co_u32_e32 v48, vcc, s14, v30
	v_addc_co_u32_e32 v49, vcc, v21, v31, vcc
	global_load_dwordx4 v[30:33], v[48:49], off
	global_load_dwordx4 v[34:37], v[48:49], off offset:16
	v_cmp_ge_i32_e32 vcc, v6, v20
	s_or_b64 s[0:1], vcc, s[0:1]
	s_waitcnt vmcnt(1)
	v_fma_f64 v[12:13], v[22:23], v[30:31], v[12:13]
	v_fma_f64 v[50:51], v[24:25], v[32:33], v[12:13]
	global_load_dwordx4 v[22:25], v[46:47], off offset:64
	global_load_dwordx4 v[38:41], v[46:47], off offset:80
	s_waitcnt vmcnt(1)
	v_fma_f64 v[12:13], v[22:23], v[30:31], v[14:15]
	v_fma_f64 v[52:53], v[24:25], v[32:33], v[12:13]
	global_load_dwordx4 v[12:15], v[46:47], off offset:128
	global_load_dwordx4 v[22:25], v[46:47], off offset:144
	;; [unrolled: 5-line block ×3, first 2 shown]
	s_waitcnt vmcnt(1)
	v_fma_f64 v[7:8], v[10:11], v[30:31], v[8:9]
	v_fma_f64 v[11:12], v[12:13], v[32:33], v[7:8]
	;; [unrolled: 1-line block ×3, first 2 shown]
	s_waitcnt vmcnt(0)
	v_fma_f64 v[11:12], v[42:43], v[34:35], v[11:12]
	v_fma_f64 v[30:31], v[28:29], v[36:37], v[7:8]
	;; [unrolled: 1-line block ×7, first 2 shown]
	global_load_dwordx4 v[7:10], v[46:47], off offset:32
	global_load_dwordx4 v[11:14], v[46:47], off offset:48
	global_load_dwordx4 v[22:25], v[48:49], off offset:32
	global_load_dwordx4 v[26:29], v[48:49], off offset:48
	s_waitcnt vmcnt(1)
	v_fma_f64 v[7:8], v[7:8], v[22:23], v[30:31]
	v_fma_f64 v[44:45], v[9:10], v[24:25], v[7:8]
	global_load_dwordx4 v[7:10], v[46:47], off offset:96
	global_load_dwordx4 v[30:33], v[46:47], off offset:112
	s_waitcnt vmcnt(1)
	v_fma_f64 v[7:8], v[7:8], v[22:23], v[38:39]
	v_fma_f64 v[48:49], v[9:10], v[24:25], v[7:8]
	global_load_dwordx4 v[7:10], v[46:47], off offset:160
	global_load_dwordx4 v[34:37], v[46:47], off offset:176
	;; [unrolled: 5-line block ×3, first 2 shown]
	s_waitcnt vmcnt(1)
	v_fma_f64 v[7:8], v[7:8], v[22:23], v[42:43]
	v_fma_f64 v[22:23], v[34:35], v[26:27], v[50:51]
	;; [unrolled: 1-line block ×4, first 2 shown]
	s_waitcnt vmcnt(0)
	v_fma_f64 v[7:8], v[38:39], v[26:27], v[7:8]
	v_fma_f64 v[12:13], v[13:14], v[28:29], v[9:10]
	;; [unrolled: 1-line block ×6, first 2 shown]
	s_andn2_b64 exec, exec, s[0:1]
	s_cbranch_execnz .LBB71_15
; %bb.16:
	s_or_b64 exec, exec, s[0:1]
.LBB71_17:
	s_or_b64 exec, exec, s[6:7]
.LBB71_18:
	v_mov_b32_dpp v6, v12 row_shr:1 row_mask:0xf bank_mask:0xf
	v_mov_b32_dpp v7, v13 row_shr:1 row_mask:0xf bank_mask:0xf
	v_add_f64 v[6:7], v[12:13], v[6:7]
	v_mov_b32_dpp v12, v14 row_shr:1 row_mask:0xf bank_mask:0xf
	v_mov_b32_dpp v13, v15 row_shr:1 row_mask:0xf bank_mask:0xf
	v_add_f64 v[12:13], v[14:15], v[12:13]
	;; [unrolled: 3-line block ×3, first 2 shown]
	v_cmp_eq_u32_e32 vcc, 63, v0
	v_mov_b32_dpp v14, v6 row_shr:2 row_mask:0xf bank_mask:0xf
	v_mov_b32_dpp v15, v7 row_shr:2 row_mask:0xf bank_mask:0xf
	v_add_f64 v[6:7], v[6:7], v[14:15]
	v_mov_b32_dpp v14, v10 row_shr:1 row_mask:0xf bank_mask:0xf
	v_mov_b32_dpp v15, v11 row_shr:1 row_mask:0xf bank_mask:0xf
	v_add_f64 v[10:11], v[10:11], v[14:15]
	v_mov_b32_dpp v14, v12 row_shr:2 row_mask:0xf bank_mask:0xf
	v_mov_b32_dpp v15, v6 row_shr:4 row_mask:0xf bank_mask:0xe
	v_mov_b32_dpp v16, v7 row_shr:4 row_mask:0xf bank_mask:0xe
	v_add_f64 v[6:7], v[6:7], v[15:16]
	v_mov_b32_dpp v15, v13 row_shr:2 row_mask:0xf bank_mask:0xf
	;; [unrolled: 4-line block ×3, first 2 shown]
	v_add_f64 v[10:11], v[10:11], v[16:17]
	v_mov_b32_dpp v15, v9 row_shr:2 row_mask:0xf bank_mask:0xf
	v_add_f64 v[8:9], v[8:9], v[14:15]
	v_mov_b32_dpp v16, v6 row_shr:8 row_mask:0xf bank_mask:0xc
	v_mov_b32_dpp v17, v7 row_shr:8 row_mask:0xf bank_mask:0xc
	v_add_f64 v[6:7], v[6:7], v[16:17]
	v_mov_b32_dpp v14, v12 row_shr:4 row_mask:0xf bank_mask:0xe
	v_mov_b32_dpp v15, v13 row_shr:4 row_mask:0xf bank_mask:0xe
	v_mov_b32_dpp v16, v10 row_shr:4 row_mask:0xf bank_mask:0xe
	v_add_f64 v[12:13], v[12:13], v[14:15]
	v_mov_b32_dpp v17, v11 row_shr:4 row_mask:0xf bank_mask:0xe
	v_add_f64 v[10:11], v[10:11], v[16:17]
	v_mov_b32_dpp v15, v8 row_shr:4 row_mask:0xf bank_mask:0xe
	v_mov_b32_dpp v16, v9 row_shr:4 row_mask:0xf bank_mask:0xe
	v_add_f64 v[8:9], v[8:9], v[15:16]
	v_mov_b32_dpp v14, v6 row_bcast:15 row_mask:0xa bank_mask:0xf
	v_mov_b32_dpp v15, v7 row_bcast:15 row_mask:0xa bank_mask:0xf
	v_mov_b32_dpp v16, v12 row_shr:8 row_mask:0xf bank_mask:0xc
	v_mov_b32_dpp v17, v13 row_shr:8 row_mask:0xf bank_mask:0xc
	v_add_f64 v[12:13], v[12:13], v[16:17]
	v_mov_b32_dpp v16, v10 row_shr:8 row_mask:0xf bank_mask:0xc
	v_mov_b32_dpp v17, v11 row_shr:8 row_mask:0xf bank_mask:0xc
	v_add_f64 v[10:11], v[10:11], v[16:17]
	;; [unrolled: 3-line block ×3, first 2 shown]
	v_add_f64 v[6:7], v[6:7], v[14:15]
	v_mov_b32_dpp v8, v12 row_bcast:15 row_mask:0xa bank_mask:0xf
	v_mov_b32_dpp v9, v13 row_bcast:15 row_mask:0xa bank_mask:0xf
	v_add_f64 v[8:9], v[12:13], v[8:9]
	v_mov_b32_dpp v12, v10 row_bcast:15 row_mask:0xa bank_mask:0xf
	v_mov_b32_dpp v13, v11 row_bcast:15 row_mask:0xa bank_mask:0xf
	;; [unrolled: 3-line block ×4, first 2 shown]
	v_mov_b32_dpp v10, v8 row_bcast:31 row_mask:0xc bank_mask:0xf
	v_mov_b32_dpp v11, v9 row_bcast:31 row_mask:0xc bank_mask:0xf
	;; [unrolled: 1-line block ×6, first 2 shown]
	s_and_b64 exec, exec, vcc
	s_cbranch_execz .LBB71_23
; %bb.19:
	v_add_f64 v[12:13], v[6:7], v[12:13]
	v_add_f64 v[10:11], v[8:9], v[10:11]
	;; [unrolled: 1-line block ×4, first 2 shown]
	v_cmp_eq_f64_e32 vcc, 0, v[3:4]
	s_load_dwordx2 s[0:1], s[4:5], 0x38
	s_and_saveexec_b64 s[2:3], vcc
	s_xor_b64 s[2:3], exec, s[2:3]
	s_cbranch_execz .LBB71_21
; %bb.20:
	v_mul_f64 v[12:13], v[1:2], v[12:13]
	v_mul_f64 v[14:15], v[1:2], v[10:11]
	v_lshlrev_b32_e32 v16, 2, v5
	v_mul_f64 v[3:4], v[1:2], v[6:7]
	v_mul_f64 v[5:6], v[1:2], v[8:9]
	v_ashrrev_i32_e32 v17, 31, v16
	v_lshlrev_b64 v[0:1], 3, v[16:17]
	s_waitcnt lgkmcnt(0)
	v_mov_b32_e32 v2, s1
	v_add_co_u32_e32 v0, vcc, s0, v0
	v_addc_co_u32_e32 v1, vcc, v2, v1, vcc
	global_store_dwordx4 v[0:1], v[12:15], off
	global_store_dwordx4 v[0:1], v[3:6], off offset:16
                                        ; implicit-def: $vgpr5
                                        ; implicit-def: $vgpr1_vgpr2
                                        ; implicit-def: $vgpr12_vgpr13
                                        ; implicit-def: $vgpr3_vgpr4
                                        ; implicit-def: $vgpr10_vgpr11
                                        ; implicit-def: $vgpr6_vgpr7
                                        ; implicit-def: $vgpr8_vgpr9
.LBB71_21:
	s_andn2_saveexec_b64 s[2:3], s[2:3]
	s_cbranch_execz .LBB71_23
; %bb.22:
	v_lshlrev_b32_e32 v14, 2, v5
	v_ashrrev_i32_e32 v15, 31, v14
	v_lshlrev_b64 v[14:15], 3, v[14:15]
	s_waitcnt lgkmcnt(0)
	v_mov_b32_e32 v0, s1
	v_add_co_u32_e32 v22, vcc, s0, v14
	v_addc_co_u32_e32 v23, vcc, v0, v15, vcc
	global_load_dwordx4 v[14:17], v[22:23], off
	global_load_dwordx4 v[18:21], v[22:23], off offset:16
	v_mul_f64 v[12:13], v[1:2], v[12:13]
	v_mul_f64 v[10:11], v[1:2], v[10:11]
	;; [unrolled: 1-line block ×4, first 2 shown]
	s_waitcnt vmcnt(1)
	v_fma_f64 v[5:6], v[3:4], v[14:15], v[12:13]
	v_fma_f64 v[7:8], v[3:4], v[16:17], v[10:11]
	s_waitcnt vmcnt(0)
	v_fma_f64 v[0:1], v[3:4], v[18:19], v[24:25]
	v_fma_f64 v[2:3], v[3:4], v[20:21], v[26:27]
	global_store_dwordx4 v[22:23], v[5:8], off
	global_store_dwordx4 v[22:23], v[0:3], off offset:16
.LBB71_23:
	s_endpgm
	.section	.rodata,"a",@progbits
	.p2align	6, 0x0
	.amdhsa_kernel _ZN9rocsparseL19gebsrmvn_4xn_kernelILj128ELj8ELj64EdEEvi20rocsparse_direction_NS_24const_host_device_scalarIT2_EEPKiS6_PKS3_S8_S4_PS3_21rocsparse_index_base_b
		.amdhsa_group_segment_fixed_size 0
		.amdhsa_private_segment_fixed_size 0
		.amdhsa_kernarg_size 72
		.amdhsa_user_sgpr_count 6
		.amdhsa_user_sgpr_private_segment_buffer 1
		.amdhsa_user_sgpr_dispatch_ptr 0
		.amdhsa_user_sgpr_queue_ptr 0
		.amdhsa_user_sgpr_kernarg_segment_ptr 1
		.amdhsa_user_sgpr_dispatch_id 0
		.amdhsa_user_sgpr_flat_scratch_init 0
		.amdhsa_user_sgpr_private_segment_size 0
		.amdhsa_uses_dynamic_stack 0
		.amdhsa_system_sgpr_private_segment_wavefront_offset 0
		.amdhsa_system_sgpr_workgroup_id_x 1
		.amdhsa_system_sgpr_workgroup_id_y 0
		.amdhsa_system_sgpr_workgroup_id_z 0
		.amdhsa_system_sgpr_workgroup_info 0
		.amdhsa_system_vgpr_workitem_id 0
		.amdhsa_next_free_vgpr 54
		.amdhsa_next_free_sgpr 16
		.amdhsa_reserve_vcc 1
		.amdhsa_reserve_flat_scratch 0
		.amdhsa_float_round_mode_32 0
		.amdhsa_float_round_mode_16_64 0
		.amdhsa_float_denorm_mode_32 3
		.amdhsa_float_denorm_mode_16_64 3
		.amdhsa_dx10_clamp 1
		.amdhsa_ieee_mode 1
		.amdhsa_fp16_overflow 0
		.amdhsa_exception_fp_ieee_invalid_op 0
		.amdhsa_exception_fp_denorm_src 0
		.amdhsa_exception_fp_ieee_div_zero 0
		.amdhsa_exception_fp_ieee_overflow 0
		.amdhsa_exception_fp_ieee_underflow 0
		.amdhsa_exception_fp_ieee_inexact 0
		.amdhsa_exception_int_div_zero 0
	.end_amdhsa_kernel
	.section	.text._ZN9rocsparseL19gebsrmvn_4xn_kernelILj128ELj8ELj64EdEEvi20rocsparse_direction_NS_24const_host_device_scalarIT2_EEPKiS6_PKS3_S8_S4_PS3_21rocsparse_index_base_b,"axG",@progbits,_ZN9rocsparseL19gebsrmvn_4xn_kernelILj128ELj8ELj64EdEEvi20rocsparse_direction_NS_24const_host_device_scalarIT2_EEPKiS6_PKS3_S8_S4_PS3_21rocsparse_index_base_b,comdat
.Lfunc_end71:
	.size	_ZN9rocsparseL19gebsrmvn_4xn_kernelILj128ELj8ELj64EdEEvi20rocsparse_direction_NS_24const_host_device_scalarIT2_EEPKiS6_PKS3_S8_S4_PS3_21rocsparse_index_base_b, .Lfunc_end71-_ZN9rocsparseL19gebsrmvn_4xn_kernelILj128ELj8ELj64EdEEvi20rocsparse_direction_NS_24const_host_device_scalarIT2_EEPKiS6_PKS3_S8_S4_PS3_21rocsparse_index_base_b
                                        ; -- End function
	.set _ZN9rocsparseL19gebsrmvn_4xn_kernelILj128ELj8ELj64EdEEvi20rocsparse_direction_NS_24const_host_device_scalarIT2_EEPKiS6_PKS3_S8_S4_PS3_21rocsparse_index_base_b.num_vgpr, 54
	.set _ZN9rocsparseL19gebsrmvn_4xn_kernelILj128ELj8ELj64EdEEvi20rocsparse_direction_NS_24const_host_device_scalarIT2_EEPKiS6_PKS3_S8_S4_PS3_21rocsparse_index_base_b.num_agpr, 0
	.set _ZN9rocsparseL19gebsrmvn_4xn_kernelILj128ELj8ELj64EdEEvi20rocsparse_direction_NS_24const_host_device_scalarIT2_EEPKiS6_PKS3_S8_S4_PS3_21rocsparse_index_base_b.numbered_sgpr, 16
	.set _ZN9rocsparseL19gebsrmvn_4xn_kernelILj128ELj8ELj64EdEEvi20rocsparse_direction_NS_24const_host_device_scalarIT2_EEPKiS6_PKS3_S8_S4_PS3_21rocsparse_index_base_b.num_named_barrier, 0
	.set _ZN9rocsparseL19gebsrmvn_4xn_kernelILj128ELj8ELj64EdEEvi20rocsparse_direction_NS_24const_host_device_scalarIT2_EEPKiS6_PKS3_S8_S4_PS3_21rocsparse_index_base_b.private_seg_size, 0
	.set _ZN9rocsparseL19gebsrmvn_4xn_kernelILj128ELj8ELj64EdEEvi20rocsparse_direction_NS_24const_host_device_scalarIT2_EEPKiS6_PKS3_S8_S4_PS3_21rocsparse_index_base_b.uses_vcc, 1
	.set _ZN9rocsparseL19gebsrmvn_4xn_kernelILj128ELj8ELj64EdEEvi20rocsparse_direction_NS_24const_host_device_scalarIT2_EEPKiS6_PKS3_S8_S4_PS3_21rocsparse_index_base_b.uses_flat_scratch, 0
	.set _ZN9rocsparseL19gebsrmvn_4xn_kernelILj128ELj8ELj64EdEEvi20rocsparse_direction_NS_24const_host_device_scalarIT2_EEPKiS6_PKS3_S8_S4_PS3_21rocsparse_index_base_b.has_dyn_sized_stack, 0
	.set _ZN9rocsparseL19gebsrmvn_4xn_kernelILj128ELj8ELj64EdEEvi20rocsparse_direction_NS_24const_host_device_scalarIT2_EEPKiS6_PKS3_S8_S4_PS3_21rocsparse_index_base_b.has_recursion, 0
	.set _ZN9rocsparseL19gebsrmvn_4xn_kernelILj128ELj8ELj64EdEEvi20rocsparse_direction_NS_24const_host_device_scalarIT2_EEPKiS6_PKS3_S8_S4_PS3_21rocsparse_index_base_b.has_indirect_call, 0
	.section	.AMDGPU.csdata,"",@progbits
; Kernel info:
; codeLenInByte = 2452
; TotalNumSgprs: 20
; NumVgprs: 54
; ScratchSize: 0
; MemoryBound: 1
; FloatMode: 240
; IeeeMode: 1
; LDSByteSize: 0 bytes/workgroup (compile time only)
; SGPRBlocks: 2
; VGPRBlocks: 13
; NumSGPRsForWavesPerEU: 20
; NumVGPRsForWavesPerEU: 54
; Occupancy: 4
; WaveLimiterHint : 1
; COMPUTE_PGM_RSRC2:SCRATCH_EN: 0
; COMPUTE_PGM_RSRC2:USER_SGPR: 6
; COMPUTE_PGM_RSRC2:TRAP_HANDLER: 0
; COMPUTE_PGM_RSRC2:TGID_X_EN: 1
; COMPUTE_PGM_RSRC2:TGID_Y_EN: 0
; COMPUTE_PGM_RSRC2:TGID_Z_EN: 0
; COMPUTE_PGM_RSRC2:TIDIG_COMP_CNT: 0
	.section	.text._ZN9rocsparseL23gebsrmvn_general_kernelILj64ELj16EdEEvi20rocsparse_direction_NS_24const_host_device_scalarIT1_EEPKiS6_PKS3_iiS8_S4_PS3_21rocsparse_index_base_b,"axG",@progbits,_ZN9rocsparseL23gebsrmvn_general_kernelILj64ELj16EdEEvi20rocsparse_direction_NS_24const_host_device_scalarIT1_EEPKiS6_PKS3_iiS8_S4_PS3_21rocsparse_index_base_b,comdat
	.globl	_ZN9rocsparseL23gebsrmvn_general_kernelILj64ELj16EdEEvi20rocsparse_direction_NS_24const_host_device_scalarIT1_EEPKiS6_PKS3_iiS8_S4_PS3_21rocsparse_index_base_b ; -- Begin function _ZN9rocsparseL23gebsrmvn_general_kernelILj64ELj16EdEEvi20rocsparse_direction_NS_24const_host_device_scalarIT1_EEPKiS6_PKS3_iiS8_S4_PS3_21rocsparse_index_base_b
	.p2align	8
	.type	_ZN9rocsparseL23gebsrmvn_general_kernelILj64ELj16EdEEvi20rocsparse_direction_NS_24const_host_device_scalarIT1_EEPKiS6_PKS3_iiS8_S4_PS3_21rocsparse_index_base_b,@function
_ZN9rocsparseL23gebsrmvn_general_kernelILj64ELj16EdEEvi20rocsparse_direction_NS_24const_host_device_scalarIT1_EEPKiS6_PKS3_iiS8_S4_PS3_21rocsparse_index_base_b: ; @_ZN9rocsparseL23gebsrmvn_general_kernelILj64ELj16EdEEvi20rocsparse_direction_NS_24const_host_device_scalarIT1_EEPKiS6_PKS3_iiS8_S4_PS3_21rocsparse_index_base_b
; %bb.0:
	s_load_dwordx2 s[12:13], s[4:5], 0x48
	s_load_dwordx2 s[8:9], s[4:5], 0x8
	;; [unrolled: 1-line block ×3, first 2 shown]
	s_waitcnt lgkmcnt(0)
	s_bitcmp1_b32 s13, 0
	s_cselect_b64 s[10:11], -1, 0
	v_mov_b32_e32 v1, s8
	s_xor_b64 s[2:3], s[10:11], -1
	s_and_b64 vcc, exec, s[10:11]
	v_mov_b32_e32 v2, s9
	s_cbranch_vccnz .LBB72_2
; %bb.1:
	v_mov_b32_e32 v1, s8
	v_mov_b32_e32 v2, s9
	flat_load_dwordx2 v[1:2], v[1:2]
.LBB72_2:
	v_mov_b32_e32 v4, s1
	s_andn2_b64 vcc, exec, s[2:3]
	v_mov_b32_e32 v3, s0
	s_cbranch_vccnz .LBB72_4
; %bb.3:
	v_mov_b32_e32 v4, s1
	v_mov_b32_e32 v3, s0
	flat_load_dwordx2 v[3:4], v[3:4]
.LBB72_4:
	s_waitcnt vmcnt(0) lgkmcnt(0)
	v_cmp_neq_f64_e32 vcc, 0, v[1:2]
	v_cmp_neq_f64_e64 s[0:1], 1.0, v[3:4]
	s_or_b64 s[0:1], vcc, s[0:1]
	s_and_saveexec_b64 s[2:3], s[0:1]
	s_cbranch_execz .LBB72_24
; %bb.5:
	s_load_dwordx2 s[14:15], s[4:5], 0x28
	v_lshrrev_b32_e32 v5, 4, v0
	s_waitcnt lgkmcnt(0)
	v_cmp_gt_i32_e32 vcc, s14, v5
	s_and_b64 exec, exec, vcc
	s_cbranch_execz .LBB72_24
; %bb.6:
	s_load_dwordx4 s[8:11], s[4:5], 0x10
	s_load_dword s20, s[4:5], 0x4
	s_ashr_i32 s7, s6, 31
	s_lshl_b64 s[0:1], s[6:7], 2
	s_mul_i32 s34, s14, s6
	s_waitcnt lgkmcnt(0)
	s_add_u32 s0, s8, s0
	s_addc_u32 s1, s9, s1
	s_load_dwordx2 s[2:3], s[0:1], 0x0
	s_load_dwordx2 s[8:9], s[4:5], 0x20
	;; [unrolled: 1-line block ×4, first 2 shown]
	v_cmp_eq_f64_e64 s[4:5], 0, v[3:4]
	s_waitcnt lgkmcnt(0)
	s_sub_i32 s13, s2, s12
	s_mul_i32 s6, s14, s13
	s_sub_i32 s33, s3, s12
	v_add_u32_e32 v6, s6, v5
	s_cmp_lt_i32 s2, s3
	v_mul_lo_u32 v10, s15, v6
	s_cselect_b64 s[24:25], -1, 0
	v_and_b32_e32 v0, 15, v0
	s_cmp_lg_u32 s20, 0
	v_cndmask_b32_e64 v6, 0, 1, s[24:25]
	v_cmp_gt_i32_e64 s[0:1], s15, v0
	s_cselect_b64 s[20:21], -1, 0
	v_cmp_eq_u32_e64 s[2:3], 15, v0
	s_mov_b64 s[22:23], 0
	s_lshl_b32 s35, s15, 2
	s_mul_i32 s36, s15, s14
	v_cmp_ne_u32_e64 s[6:7], 1, v6
	s_branch .LBB72_8
.LBB72_7:                               ;   in Loop: Header=BB72_8 Depth=1
	s_or_b64 exec, exec, s[24:25]
	v_add_u32_e32 v5, 4, v5
	v_cmp_le_i32_e32 vcc, s14, v5
	s_or_b64 s[22:23], vcc, s[22:23]
	v_add_u32_e32 v10, s35, v10
	s_andn2_b64 exec, exec, s[22:23]
	s_cbranch_execz .LBB72_24
.LBB72_8:                               ; =>This Loop Header: Depth=1
                                        ;     Child Loop BB72_12 Depth 2
                                        ;       Child Loop BB72_15 Depth 3
	v_mov_b32_e32 v6, 0
	v_mov_b32_e32 v7, 0
	s_and_b64 vcc, exec, s[6:7]
	s_cbranch_vccnz .LBB72_19
; %bb.9:                                ;   in Loop: Header=BB72_8 Depth=1
	v_mov_b32_e32 v6, 0
	v_mov_b32_e32 v7, 0
	;; [unrolled: 1-line block ×3, first 2 shown]
	s_mov_b32 s24, s13
	s_branch .LBB72_12
.LBB72_10:                              ;   in Loop: Header=BB72_12 Depth=2
	s_or_b64 exec, exec, s[28:29]
.LBB72_11:                              ;   in Loop: Header=BB72_12 Depth=2
	s_or_b64 exec, exec, s[26:27]
	s_add_i32 s24, s24, 1
	s_cmp_ge_i32 s24, s33
	v_add_u32_e32 v11, s36, v11
	s_cbranch_scc1 .LBB72_19
.LBB72_12:                              ;   Parent Loop BB72_8 Depth=1
                                        ; =>  This Loop Header: Depth=2
                                        ;       Child Loop BB72_15 Depth 3
	s_and_saveexec_b64 s[26:27], s[0:1]
	s_cbranch_execz .LBB72_11
; %bb.13:                               ;   in Loop: Header=BB72_12 Depth=2
	s_ashr_i32 s25, s24, 31
	s_lshl_b64 s[28:29], s[24:25], 2
	s_add_u32 s28, s10, s28
	s_addc_u32 s29, s11, s29
	s_load_dword s30, s[28:29], 0x0
	s_mul_i32 s25, s24, s15
	s_mov_b64 s[28:29], 0
	v_mov_b32_e32 v12, v0
	s_waitcnt lgkmcnt(0)
	s_sub_i32 s37, s30, s12
	s_mul_i32 s37, s37, s15
	s_branch .LBB72_15
.LBB72_14:                              ;   in Loop: Header=BB72_15 Depth=3
	v_ashrrev_i32_e32 v9, 31, v8
	v_lshlrev_b64 v[8:9], 3, v[8:9]
	v_mov_b32_e32 v13, s9
	v_add_co_u32_e32 v8, vcc, s8, v8
	v_addc_co_u32_e32 v9, vcc, v13, v9, vcc
	v_add_u32_e32 v13, s37, v12
	v_ashrrev_i32_e32 v14, 31, v13
	v_lshlrev_b64 v[13:14], 3, v[13:14]
	v_mov_b32_e32 v15, s17
	v_add_co_u32_e32 v13, vcc, s16, v13
	v_addc_co_u32_e32 v14, vcc, v15, v14, vcc
	global_load_dwordx2 v[8:9], v[8:9], off
	v_add_u32_e32 v12, 16, v12
	global_load_dwordx2 v[13:14], v[13:14], off
	v_cmp_le_i32_e32 vcc, s15, v12
	s_or_b64 s[28:29], vcc, s[28:29]
	s_waitcnt vmcnt(0)
	v_fma_f64 v[6:7], v[8:9], v[13:14], v[6:7]
	s_andn2_b64 exec, exec, s[28:29]
	s_cbranch_execz .LBB72_10
.LBB72_15:                              ;   Parent Loop BB72_8 Depth=1
                                        ;     Parent Loop BB72_12 Depth=2
                                        ; =>    This Inner Loop Header: Depth=3
	s_and_b64 vcc, exec, s[20:21]
	s_cbranch_vccz .LBB72_17
; %bb.16:                               ;   in Loop: Header=BB72_15 Depth=3
	v_add_u32_e32 v8, s25, v12
	v_mad_u64_u32 v[8:9], s[30:31], v8, s14, v[5:6]
	s_cbranch_execnz .LBB72_14
	s_branch .LBB72_18
.LBB72_17:                              ;   in Loop: Header=BB72_15 Depth=3
                                        ; implicit-def: $vgpr8
.LBB72_18:                              ;   in Loop: Header=BB72_15 Depth=3
	v_add_u32_e32 v8, v11, v12
	s_branch .LBB72_14
.LBB72_19:                              ;   in Loop: Header=BB72_8 Depth=1
	v_mov_b32_dpp v8, v6 row_shr:1 row_mask:0xf bank_mask:0xf
	v_mov_b32_dpp v9, v7 row_shr:1 row_mask:0xf bank_mask:0xf
	v_add_f64 v[6:7], v[6:7], v[8:9]
	s_nop 1
	v_mov_b32_dpp v8, v6 row_shr:2 row_mask:0xf bank_mask:0xf
	v_mov_b32_dpp v9, v7 row_shr:2 row_mask:0xf bank_mask:0xf
	v_add_f64 v[6:7], v[6:7], v[8:9]
	s_nop 1
	;; [unrolled: 4-line block ×3, first 2 shown]
	v_mov_b32_dpp v8, v6 row_shr:8 row_mask:0xf bank_mask:0xc
	v_mov_b32_dpp v9, v7 row_shr:8 row_mask:0xf bank_mask:0xc
	s_and_saveexec_b64 s[24:25], s[2:3]
	s_cbranch_execz .LBB72_7
; %bb.20:                               ;   in Loop: Header=BB72_8 Depth=1
	v_add_f64 v[6:7], v[6:7], v[8:9]
	v_add_u32_e32 v8, s34, v5
	v_ashrrev_i32_e32 v9, 31, v8
	v_mul_f64 v[6:7], v[1:2], v[6:7]
	s_and_saveexec_b64 s[26:27], s[4:5]
	s_xor_b64 s[26:27], exec, s[26:27]
	s_cbranch_execz .LBB72_22
; %bb.21:                               ;   in Loop: Header=BB72_8 Depth=1
	v_lshlrev_b64 v[8:9], 3, v[8:9]
	v_mov_b32_e32 v11, s19
	v_add_co_u32_e32 v8, vcc, s18, v8
	v_addc_co_u32_e32 v9, vcc, v11, v9, vcc
	global_store_dwordx2 v[8:9], v[6:7], off
                                        ; implicit-def: $vgpr8
                                        ; implicit-def: $vgpr6_vgpr7
.LBB72_22:                              ;   in Loop: Header=BB72_8 Depth=1
	s_andn2_saveexec_b64 s[26:27], s[26:27]
	s_cbranch_execz .LBB72_7
; %bb.23:                               ;   in Loop: Header=BB72_8 Depth=1
	v_lshlrev_b64 v[8:9], 3, v[8:9]
	v_mov_b32_e32 v11, s19
	v_add_co_u32_e32 v8, vcc, s18, v8
	v_addc_co_u32_e32 v9, vcc, v11, v9, vcc
	global_load_dwordx2 v[11:12], v[8:9], off
	s_waitcnt vmcnt(0)
	v_fma_f64 v[6:7], v[3:4], v[11:12], v[6:7]
	global_store_dwordx2 v[8:9], v[6:7], off
	s_branch .LBB72_7
.LBB72_24:
	s_endpgm
	.section	.rodata,"a",@progbits
	.p2align	6, 0x0
	.amdhsa_kernel _ZN9rocsparseL23gebsrmvn_general_kernelILj64ELj16EdEEvi20rocsparse_direction_NS_24const_host_device_scalarIT1_EEPKiS6_PKS3_iiS8_S4_PS3_21rocsparse_index_base_b
		.amdhsa_group_segment_fixed_size 0
		.amdhsa_private_segment_fixed_size 0
		.amdhsa_kernarg_size 80
		.amdhsa_user_sgpr_count 6
		.amdhsa_user_sgpr_private_segment_buffer 1
		.amdhsa_user_sgpr_dispatch_ptr 0
		.amdhsa_user_sgpr_queue_ptr 0
		.amdhsa_user_sgpr_kernarg_segment_ptr 1
		.amdhsa_user_sgpr_dispatch_id 0
		.amdhsa_user_sgpr_flat_scratch_init 0
		.amdhsa_user_sgpr_private_segment_size 0
		.amdhsa_uses_dynamic_stack 0
		.amdhsa_system_sgpr_private_segment_wavefront_offset 0
		.amdhsa_system_sgpr_workgroup_id_x 1
		.amdhsa_system_sgpr_workgroup_id_y 0
		.amdhsa_system_sgpr_workgroup_id_z 0
		.amdhsa_system_sgpr_workgroup_info 0
		.amdhsa_system_vgpr_workitem_id 0
		.amdhsa_next_free_vgpr 16
		.amdhsa_next_free_sgpr 38
		.amdhsa_reserve_vcc 1
		.amdhsa_reserve_flat_scratch 0
		.amdhsa_float_round_mode_32 0
		.amdhsa_float_round_mode_16_64 0
		.amdhsa_float_denorm_mode_32 3
		.amdhsa_float_denorm_mode_16_64 3
		.amdhsa_dx10_clamp 1
		.amdhsa_ieee_mode 1
		.amdhsa_fp16_overflow 0
		.amdhsa_exception_fp_ieee_invalid_op 0
		.amdhsa_exception_fp_denorm_src 0
		.amdhsa_exception_fp_ieee_div_zero 0
		.amdhsa_exception_fp_ieee_overflow 0
		.amdhsa_exception_fp_ieee_underflow 0
		.amdhsa_exception_fp_ieee_inexact 0
		.amdhsa_exception_int_div_zero 0
	.end_amdhsa_kernel
	.section	.text._ZN9rocsparseL23gebsrmvn_general_kernelILj64ELj16EdEEvi20rocsparse_direction_NS_24const_host_device_scalarIT1_EEPKiS6_PKS3_iiS8_S4_PS3_21rocsparse_index_base_b,"axG",@progbits,_ZN9rocsparseL23gebsrmvn_general_kernelILj64ELj16EdEEvi20rocsparse_direction_NS_24const_host_device_scalarIT1_EEPKiS6_PKS3_iiS8_S4_PS3_21rocsparse_index_base_b,comdat
.Lfunc_end72:
	.size	_ZN9rocsparseL23gebsrmvn_general_kernelILj64ELj16EdEEvi20rocsparse_direction_NS_24const_host_device_scalarIT1_EEPKiS6_PKS3_iiS8_S4_PS3_21rocsparse_index_base_b, .Lfunc_end72-_ZN9rocsparseL23gebsrmvn_general_kernelILj64ELj16EdEEvi20rocsparse_direction_NS_24const_host_device_scalarIT1_EEPKiS6_PKS3_iiS8_S4_PS3_21rocsparse_index_base_b
                                        ; -- End function
	.set _ZN9rocsparseL23gebsrmvn_general_kernelILj64ELj16EdEEvi20rocsparse_direction_NS_24const_host_device_scalarIT1_EEPKiS6_PKS3_iiS8_S4_PS3_21rocsparse_index_base_b.num_vgpr, 16
	.set _ZN9rocsparseL23gebsrmvn_general_kernelILj64ELj16EdEEvi20rocsparse_direction_NS_24const_host_device_scalarIT1_EEPKiS6_PKS3_iiS8_S4_PS3_21rocsparse_index_base_b.num_agpr, 0
	.set _ZN9rocsparseL23gebsrmvn_general_kernelILj64ELj16EdEEvi20rocsparse_direction_NS_24const_host_device_scalarIT1_EEPKiS6_PKS3_iiS8_S4_PS3_21rocsparse_index_base_b.numbered_sgpr, 38
	.set _ZN9rocsparseL23gebsrmvn_general_kernelILj64ELj16EdEEvi20rocsparse_direction_NS_24const_host_device_scalarIT1_EEPKiS6_PKS3_iiS8_S4_PS3_21rocsparse_index_base_b.num_named_barrier, 0
	.set _ZN9rocsparseL23gebsrmvn_general_kernelILj64ELj16EdEEvi20rocsparse_direction_NS_24const_host_device_scalarIT1_EEPKiS6_PKS3_iiS8_S4_PS3_21rocsparse_index_base_b.private_seg_size, 0
	.set _ZN9rocsparseL23gebsrmvn_general_kernelILj64ELj16EdEEvi20rocsparse_direction_NS_24const_host_device_scalarIT1_EEPKiS6_PKS3_iiS8_S4_PS3_21rocsparse_index_base_b.uses_vcc, 1
	.set _ZN9rocsparseL23gebsrmvn_general_kernelILj64ELj16EdEEvi20rocsparse_direction_NS_24const_host_device_scalarIT1_EEPKiS6_PKS3_iiS8_S4_PS3_21rocsparse_index_base_b.uses_flat_scratch, 0
	.set _ZN9rocsparseL23gebsrmvn_general_kernelILj64ELj16EdEEvi20rocsparse_direction_NS_24const_host_device_scalarIT1_EEPKiS6_PKS3_iiS8_S4_PS3_21rocsparse_index_base_b.has_dyn_sized_stack, 0
	.set _ZN9rocsparseL23gebsrmvn_general_kernelILj64ELj16EdEEvi20rocsparse_direction_NS_24const_host_device_scalarIT1_EEPKiS6_PKS3_iiS8_S4_PS3_21rocsparse_index_base_b.has_recursion, 0
	.set _ZN9rocsparseL23gebsrmvn_general_kernelILj64ELj16EdEEvi20rocsparse_direction_NS_24const_host_device_scalarIT1_EEPKiS6_PKS3_iiS8_S4_PS3_21rocsparse_index_base_b.has_indirect_call, 0
	.section	.AMDGPU.csdata,"",@progbits
; Kernel info:
; codeLenInByte = 856
; TotalNumSgprs: 42
; NumVgprs: 16
; ScratchSize: 0
; MemoryBound: 0
; FloatMode: 240
; IeeeMode: 1
; LDSByteSize: 0 bytes/workgroup (compile time only)
; SGPRBlocks: 5
; VGPRBlocks: 3
; NumSGPRsForWavesPerEU: 42
; NumVGPRsForWavesPerEU: 16
; Occupancy: 10
; WaveLimiterHint : 1
; COMPUTE_PGM_RSRC2:SCRATCH_EN: 0
; COMPUTE_PGM_RSRC2:USER_SGPR: 6
; COMPUTE_PGM_RSRC2:TRAP_HANDLER: 0
; COMPUTE_PGM_RSRC2:TGID_X_EN: 1
; COMPUTE_PGM_RSRC2:TGID_Y_EN: 0
; COMPUTE_PGM_RSRC2:TGID_Z_EN: 0
; COMPUTE_PGM_RSRC2:TIDIG_COMP_CNT: 0
	.section	.text._ZN9rocsparseL23gebsrmvn_general_kernelILj128ELj32EdEEvi20rocsparse_direction_NS_24const_host_device_scalarIT1_EEPKiS6_PKS3_iiS8_S4_PS3_21rocsparse_index_base_b,"axG",@progbits,_ZN9rocsparseL23gebsrmvn_general_kernelILj128ELj32EdEEvi20rocsparse_direction_NS_24const_host_device_scalarIT1_EEPKiS6_PKS3_iiS8_S4_PS3_21rocsparse_index_base_b,comdat
	.globl	_ZN9rocsparseL23gebsrmvn_general_kernelILj128ELj32EdEEvi20rocsparse_direction_NS_24const_host_device_scalarIT1_EEPKiS6_PKS3_iiS8_S4_PS3_21rocsparse_index_base_b ; -- Begin function _ZN9rocsparseL23gebsrmvn_general_kernelILj128ELj32EdEEvi20rocsparse_direction_NS_24const_host_device_scalarIT1_EEPKiS6_PKS3_iiS8_S4_PS3_21rocsparse_index_base_b
	.p2align	8
	.type	_ZN9rocsparseL23gebsrmvn_general_kernelILj128ELj32EdEEvi20rocsparse_direction_NS_24const_host_device_scalarIT1_EEPKiS6_PKS3_iiS8_S4_PS3_21rocsparse_index_base_b,@function
_ZN9rocsparseL23gebsrmvn_general_kernelILj128ELj32EdEEvi20rocsparse_direction_NS_24const_host_device_scalarIT1_EEPKiS6_PKS3_iiS8_S4_PS3_21rocsparse_index_base_b: ; @_ZN9rocsparseL23gebsrmvn_general_kernelILj128ELj32EdEEvi20rocsparse_direction_NS_24const_host_device_scalarIT1_EEPKiS6_PKS3_iiS8_S4_PS3_21rocsparse_index_base_b
; %bb.0:
	s_load_dwordx2 s[12:13], s[4:5], 0x48
	s_load_dwordx2 s[8:9], s[4:5], 0x8
	;; [unrolled: 1-line block ×3, first 2 shown]
	s_waitcnt lgkmcnt(0)
	s_bitcmp1_b32 s13, 0
	s_cselect_b64 s[10:11], -1, 0
	v_mov_b32_e32 v1, s8
	s_xor_b64 s[2:3], s[10:11], -1
	s_and_b64 vcc, exec, s[10:11]
	v_mov_b32_e32 v2, s9
	s_cbranch_vccnz .LBB73_2
; %bb.1:
	v_mov_b32_e32 v1, s8
	v_mov_b32_e32 v2, s9
	flat_load_dwordx2 v[1:2], v[1:2]
.LBB73_2:
	v_mov_b32_e32 v4, s1
	s_andn2_b64 vcc, exec, s[2:3]
	v_mov_b32_e32 v3, s0
	s_cbranch_vccnz .LBB73_4
; %bb.3:
	v_mov_b32_e32 v4, s1
	v_mov_b32_e32 v3, s0
	flat_load_dwordx2 v[3:4], v[3:4]
.LBB73_4:
	s_waitcnt vmcnt(0) lgkmcnt(0)
	v_cmp_neq_f64_e32 vcc, 0, v[1:2]
	v_cmp_neq_f64_e64 s[0:1], 1.0, v[3:4]
	s_or_b64 s[0:1], vcc, s[0:1]
	s_and_saveexec_b64 s[2:3], s[0:1]
	s_cbranch_execz .LBB73_24
; %bb.5:
	s_load_dwordx2 s[14:15], s[4:5], 0x28
	v_lshrrev_b32_e32 v5, 5, v0
	s_waitcnt lgkmcnt(0)
	v_cmp_gt_i32_e32 vcc, s14, v5
	s_and_b64 exec, exec, vcc
	s_cbranch_execz .LBB73_24
; %bb.6:
	s_load_dwordx4 s[8:11], s[4:5], 0x10
	s_load_dword s20, s[4:5], 0x4
	s_ashr_i32 s7, s6, 31
	s_lshl_b64 s[0:1], s[6:7], 2
	s_mul_i32 s34, s14, s6
	s_waitcnt lgkmcnt(0)
	s_add_u32 s0, s8, s0
	s_addc_u32 s1, s9, s1
	s_load_dwordx2 s[2:3], s[0:1], 0x0
	s_load_dwordx2 s[8:9], s[4:5], 0x20
	;; [unrolled: 1-line block ×4, first 2 shown]
	v_cmp_eq_f64_e64 s[4:5], 0, v[3:4]
	s_waitcnt lgkmcnt(0)
	s_sub_i32 s13, s2, s12
	s_mul_i32 s6, s14, s13
	s_sub_i32 s33, s3, s12
	v_add_u32_e32 v6, s6, v5
	s_cmp_lt_i32 s2, s3
	v_mul_lo_u32 v10, s15, v6
	s_cselect_b64 s[24:25], -1, 0
	v_and_b32_e32 v0, 31, v0
	s_cmp_lg_u32 s20, 0
	v_cndmask_b32_e64 v6, 0, 1, s[24:25]
	v_cmp_gt_i32_e64 s[0:1], s15, v0
	s_cselect_b64 s[20:21], -1, 0
	v_cmp_eq_u32_e64 s[2:3], 31, v0
	s_mov_b64 s[22:23], 0
	s_lshl_b32 s35, s15, 2
	s_mul_i32 s36, s15, s14
	v_cmp_ne_u32_e64 s[6:7], 1, v6
	s_branch .LBB73_8
.LBB73_7:                               ;   in Loop: Header=BB73_8 Depth=1
	s_or_b64 exec, exec, s[24:25]
	v_add_u32_e32 v5, 4, v5
	v_cmp_le_i32_e32 vcc, s14, v5
	s_or_b64 s[22:23], vcc, s[22:23]
	v_add_u32_e32 v10, s35, v10
	s_andn2_b64 exec, exec, s[22:23]
	s_cbranch_execz .LBB73_24
.LBB73_8:                               ; =>This Loop Header: Depth=1
                                        ;     Child Loop BB73_12 Depth 2
                                        ;       Child Loop BB73_15 Depth 3
	v_mov_b32_e32 v6, 0
	v_mov_b32_e32 v7, 0
	s_and_b64 vcc, exec, s[6:7]
	s_cbranch_vccnz .LBB73_19
; %bb.9:                                ;   in Loop: Header=BB73_8 Depth=1
	v_mov_b32_e32 v6, 0
	v_mov_b32_e32 v7, 0
	;; [unrolled: 1-line block ×3, first 2 shown]
	s_mov_b32 s24, s13
	s_branch .LBB73_12
.LBB73_10:                              ;   in Loop: Header=BB73_12 Depth=2
	s_or_b64 exec, exec, s[28:29]
.LBB73_11:                              ;   in Loop: Header=BB73_12 Depth=2
	s_or_b64 exec, exec, s[26:27]
	s_add_i32 s24, s24, 1
	s_cmp_ge_i32 s24, s33
	v_add_u32_e32 v11, s36, v11
	s_cbranch_scc1 .LBB73_19
.LBB73_12:                              ;   Parent Loop BB73_8 Depth=1
                                        ; =>  This Loop Header: Depth=2
                                        ;       Child Loop BB73_15 Depth 3
	s_and_saveexec_b64 s[26:27], s[0:1]
	s_cbranch_execz .LBB73_11
; %bb.13:                               ;   in Loop: Header=BB73_12 Depth=2
	s_ashr_i32 s25, s24, 31
	s_lshl_b64 s[28:29], s[24:25], 2
	s_add_u32 s28, s10, s28
	s_addc_u32 s29, s11, s29
	s_load_dword s30, s[28:29], 0x0
	s_mul_i32 s25, s24, s15
	s_mov_b64 s[28:29], 0
	v_mov_b32_e32 v12, v0
	s_waitcnt lgkmcnt(0)
	s_sub_i32 s37, s30, s12
	s_mul_i32 s37, s37, s15
	s_branch .LBB73_15
.LBB73_14:                              ;   in Loop: Header=BB73_15 Depth=3
	v_ashrrev_i32_e32 v9, 31, v8
	v_lshlrev_b64 v[8:9], 3, v[8:9]
	v_mov_b32_e32 v13, s9
	v_add_co_u32_e32 v8, vcc, s8, v8
	v_addc_co_u32_e32 v9, vcc, v13, v9, vcc
	v_add_u32_e32 v13, s37, v12
	v_ashrrev_i32_e32 v14, 31, v13
	v_lshlrev_b64 v[13:14], 3, v[13:14]
	v_mov_b32_e32 v15, s17
	v_add_co_u32_e32 v13, vcc, s16, v13
	v_addc_co_u32_e32 v14, vcc, v15, v14, vcc
	global_load_dwordx2 v[8:9], v[8:9], off
	v_add_u32_e32 v12, 32, v12
	global_load_dwordx2 v[13:14], v[13:14], off
	v_cmp_le_i32_e32 vcc, s15, v12
	s_or_b64 s[28:29], vcc, s[28:29]
	s_waitcnt vmcnt(0)
	v_fma_f64 v[6:7], v[8:9], v[13:14], v[6:7]
	s_andn2_b64 exec, exec, s[28:29]
	s_cbranch_execz .LBB73_10
.LBB73_15:                              ;   Parent Loop BB73_8 Depth=1
                                        ;     Parent Loop BB73_12 Depth=2
                                        ; =>    This Inner Loop Header: Depth=3
	s_and_b64 vcc, exec, s[20:21]
	s_cbranch_vccz .LBB73_17
; %bb.16:                               ;   in Loop: Header=BB73_15 Depth=3
	v_add_u32_e32 v8, s25, v12
	v_mad_u64_u32 v[8:9], s[30:31], v8, s14, v[5:6]
	s_cbranch_execnz .LBB73_14
	s_branch .LBB73_18
.LBB73_17:                              ;   in Loop: Header=BB73_15 Depth=3
                                        ; implicit-def: $vgpr8
.LBB73_18:                              ;   in Loop: Header=BB73_15 Depth=3
	v_add_u32_e32 v8, v11, v12
	s_branch .LBB73_14
.LBB73_19:                              ;   in Loop: Header=BB73_8 Depth=1
	v_mov_b32_dpp v8, v6 row_shr:1 row_mask:0xf bank_mask:0xf
	v_mov_b32_dpp v9, v7 row_shr:1 row_mask:0xf bank_mask:0xf
	v_add_f64 v[6:7], v[6:7], v[8:9]
	s_nop 1
	v_mov_b32_dpp v8, v6 row_shr:2 row_mask:0xf bank_mask:0xf
	v_mov_b32_dpp v9, v7 row_shr:2 row_mask:0xf bank_mask:0xf
	v_add_f64 v[6:7], v[6:7], v[8:9]
	s_nop 1
	;; [unrolled: 4-line block ×4, first 2 shown]
	v_mov_b32_dpp v8, v6 row_bcast:15 row_mask:0xa bank_mask:0xf
	v_mov_b32_dpp v9, v7 row_bcast:15 row_mask:0xa bank_mask:0xf
	s_and_saveexec_b64 s[24:25], s[2:3]
	s_cbranch_execz .LBB73_7
; %bb.20:                               ;   in Loop: Header=BB73_8 Depth=1
	v_add_f64 v[6:7], v[6:7], v[8:9]
	v_add_u32_e32 v8, s34, v5
	v_ashrrev_i32_e32 v9, 31, v8
	v_mul_f64 v[6:7], v[1:2], v[6:7]
	s_and_saveexec_b64 s[26:27], s[4:5]
	s_xor_b64 s[26:27], exec, s[26:27]
	s_cbranch_execz .LBB73_22
; %bb.21:                               ;   in Loop: Header=BB73_8 Depth=1
	v_lshlrev_b64 v[8:9], 3, v[8:9]
	v_mov_b32_e32 v11, s19
	v_add_co_u32_e32 v8, vcc, s18, v8
	v_addc_co_u32_e32 v9, vcc, v11, v9, vcc
	global_store_dwordx2 v[8:9], v[6:7], off
                                        ; implicit-def: $vgpr8
                                        ; implicit-def: $vgpr6_vgpr7
.LBB73_22:                              ;   in Loop: Header=BB73_8 Depth=1
	s_andn2_saveexec_b64 s[26:27], s[26:27]
	s_cbranch_execz .LBB73_7
; %bb.23:                               ;   in Loop: Header=BB73_8 Depth=1
	v_lshlrev_b64 v[8:9], 3, v[8:9]
	v_mov_b32_e32 v11, s19
	v_add_co_u32_e32 v8, vcc, s18, v8
	v_addc_co_u32_e32 v9, vcc, v11, v9, vcc
	global_load_dwordx2 v[11:12], v[8:9], off
	s_waitcnt vmcnt(0)
	v_fma_f64 v[6:7], v[3:4], v[11:12], v[6:7]
	global_store_dwordx2 v[8:9], v[6:7], off
	s_branch .LBB73_7
.LBB73_24:
	s_endpgm
	.section	.rodata,"a",@progbits
	.p2align	6, 0x0
	.amdhsa_kernel _ZN9rocsparseL23gebsrmvn_general_kernelILj128ELj32EdEEvi20rocsparse_direction_NS_24const_host_device_scalarIT1_EEPKiS6_PKS3_iiS8_S4_PS3_21rocsparse_index_base_b
		.amdhsa_group_segment_fixed_size 0
		.amdhsa_private_segment_fixed_size 0
		.amdhsa_kernarg_size 80
		.amdhsa_user_sgpr_count 6
		.amdhsa_user_sgpr_private_segment_buffer 1
		.amdhsa_user_sgpr_dispatch_ptr 0
		.amdhsa_user_sgpr_queue_ptr 0
		.amdhsa_user_sgpr_kernarg_segment_ptr 1
		.amdhsa_user_sgpr_dispatch_id 0
		.amdhsa_user_sgpr_flat_scratch_init 0
		.amdhsa_user_sgpr_private_segment_size 0
		.amdhsa_uses_dynamic_stack 0
		.amdhsa_system_sgpr_private_segment_wavefront_offset 0
		.amdhsa_system_sgpr_workgroup_id_x 1
		.amdhsa_system_sgpr_workgroup_id_y 0
		.amdhsa_system_sgpr_workgroup_id_z 0
		.amdhsa_system_sgpr_workgroup_info 0
		.amdhsa_system_vgpr_workitem_id 0
		.amdhsa_next_free_vgpr 16
		.amdhsa_next_free_sgpr 38
		.amdhsa_reserve_vcc 1
		.amdhsa_reserve_flat_scratch 0
		.amdhsa_float_round_mode_32 0
		.amdhsa_float_round_mode_16_64 0
		.amdhsa_float_denorm_mode_32 3
		.amdhsa_float_denorm_mode_16_64 3
		.amdhsa_dx10_clamp 1
		.amdhsa_ieee_mode 1
		.amdhsa_fp16_overflow 0
		.amdhsa_exception_fp_ieee_invalid_op 0
		.amdhsa_exception_fp_denorm_src 0
		.amdhsa_exception_fp_ieee_div_zero 0
		.amdhsa_exception_fp_ieee_overflow 0
		.amdhsa_exception_fp_ieee_underflow 0
		.amdhsa_exception_fp_ieee_inexact 0
		.amdhsa_exception_int_div_zero 0
	.end_amdhsa_kernel
	.section	.text._ZN9rocsparseL23gebsrmvn_general_kernelILj128ELj32EdEEvi20rocsparse_direction_NS_24const_host_device_scalarIT1_EEPKiS6_PKS3_iiS8_S4_PS3_21rocsparse_index_base_b,"axG",@progbits,_ZN9rocsparseL23gebsrmvn_general_kernelILj128ELj32EdEEvi20rocsparse_direction_NS_24const_host_device_scalarIT1_EEPKiS6_PKS3_iiS8_S4_PS3_21rocsparse_index_base_b,comdat
.Lfunc_end73:
	.size	_ZN9rocsparseL23gebsrmvn_general_kernelILj128ELj32EdEEvi20rocsparse_direction_NS_24const_host_device_scalarIT1_EEPKiS6_PKS3_iiS8_S4_PS3_21rocsparse_index_base_b, .Lfunc_end73-_ZN9rocsparseL23gebsrmvn_general_kernelILj128ELj32EdEEvi20rocsparse_direction_NS_24const_host_device_scalarIT1_EEPKiS6_PKS3_iiS8_S4_PS3_21rocsparse_index_base_b
                                        ; -- End function
	.set _ZN9rocsparseL23gebsrmvn_general_kernelILj128ELj32EdEEvi20rocsparse_direction_NS_24const_host_device_scalarIT1_EEPKiS6_PKS3_iiS8_S4_PS3_21rocsparse_index_base_b.num_vgpr, 16
	.set _ZN9rocsparseL23gebsrmvn_general_kernelILj128ELj32EdEEvi20rocsparse_direction_NS_24const_host_device_scalarIT1_EEPKiS6_PKS3_iiS8_S4_PS3_21rocsparse_index_base_b.num_agpr, 0
	.set _ZN9rocsparseL23gebsrmvn_general_kernelILj128ELj32EdEEvi20rocsparse_direction_NS_24const_host_device_scalarIT1_EEPKiS6_PKS3_iiS8_S4_PS3_21rocsparse_index_base_b.numbered_sgpr, 38
	.set _ZN9rocsparseL23gebsrmvn_general_kernelILj128ELj32EdEEvi20rocsparse_direction_NS_24const_host_device_scalarIT1_EEPKiS6_PKS3_iiS8_S4_PS3_21rocsparse_index_base_b.num_named_barrier, 0
	.set _ZN9rocsparseL23gebsrmvn_general_kernelILj128ELj32EdEEvi20rocsparse_direction_NS_24const_host_device_scalarIT1_EEPKiS6_PKS3_iiS8_S4_PS3_21rocsparse_index_base_b.private_seg_size, 0
	.set _ZN9rocsparseL23gebsrmvn_general_kernelILj128ELj32EdEEvi20rocsparse_direction_NS_24const_host_device_scalarIT1_EEPKiS6_PKS3_iiS8_S4_PS3_21rocsparse_index_base_b.uses_vcc, 1
	.set _ZN9rocsparseL23gebsrmvn_general_kernelILj128ELj32EdEEvi20rocsparse_direction_NS_24const_host_device_scalarIT1_EEPKiS6_PKS3_iiS8_S4_PS3_21rocsparse_index_base_b.uses_flat_scratch, 0
	.set _ZN9rocsparseL23gebsrmvn_general_kernelILj128ELj32EdEEvi20rocsparse_direction_NS_24const_host_device_scalarIT1_EEPKiS6_PKS3_iiS8_S4_PS3_21rocsparse_index_base_b.has_dyn_sized_stack, 0
	.set _ZN9rocsparseL23gebsrmvn_general_kernelILj128ELj32EdEEvi20rocsparse_direction_NS_24const_host_device_scalarIT1_EEPKiS6_PKS3_iiS8_S4_PS3_21rocsparse_index_base_b.has_recursion, 0
	.set _ZN9rocsparseL23gebsrmvn_general_kernelILj128ELj32EdEEvi20rocsparse_direction_NS_24const_host_device_scalarIT1_EEPKiS6_PKS3_iiS8_S4_PS3_21rocsparse_index_base_b.has_indirect_call, 0
	.section	.AMDGPU.csdata,"",@progbits
; Kernel info:
; codeLenInByte = 884
; TotalNumSgprs: 42
; NumVgprs: 16
; ScratchSize: 0
; MemoryBound: 0
; FloatMode: 240
; IeeeMode: 1
; LDSByteSize: 0 bytes/workgroup (compile time only)
; SGPRBlocks: 5
; VGPRBlocks: 3
; NumSGPRsForWavesPerEU: 42
; NumVGPRsForWavesPerEU: 16
; Occupancy: 10
; WaveLimiterHint : 1
; COMPUTE_PGM_RSRC2:SCRATCH_EN: 0
; COMPUTE_PGM_RSRC2:USER_SGPR: 6
; COMPUTE_PGM_RSRC2:TRAP_HANDLER: 0
; COMPUTE_PGM_RSRC2:TGID_X_EN: 1
; COMPUTE_PGM_RSRC2:TGID_Y_EN: 0
; COMPUTE_PGM_RSRC2:TGID_Z_EN: 0
; COMPUTE_PGM_RSRC2:TIDIG_COMP_CNT: 0
	.section	.text._ZN9rocsparseL19gebsrmvn_4xn_kernelILj128ELj1ELj4E21rocsparse_complex_numIfEEEvi20rocsparse_direction_NS_24const_host_device_scalarIT2_EEPKiS8_PKS5_SA_S6_PS5_21rocsparse_index_base_b,"axG",@progbits,_ZN9rocsparseL19gebsrmvn_4xn_kernelILj128ELj1ELj4E21rocsparse_complex_numIfEEEvi20rocsparse_direction_NS_24const_host_device_scalarIT2_EEPKiS8_PKS5_SA_S6_PS5_21rocsparse_index_base_b,comdat
	.globl	_ZN9rocsparseL19gebsrmvn_4xn_kernelILj128ELj1ELj4E21rocsparse_complex_numIfEEEvi20rocsparse_direction_NS_24const_host_device_scalarIT2_EEPKiS8_PKS5_SA_S6_PS5_21rocsparse_index_base_b ; -- Begin function _ZN9rocsparseL19gebsrmvn_4xn_kernelILj128ELj1ELj4E21rocsparse_complex_numIfEEEvi20rocsparse_direction_NS_24const_host_device_scalarIT2_EEPKiS8_PKS5_SA_S6_PS5_21rocsparse_index_base_b
	.p2align	8
	.type	_ZN9rocsparseL19gebsrmvn_4xn_kernelILj128ELj1ELj4E21rocsparse_complex_numIfEEEvi20rocsparse_direction_NS_24const_host_device_scalarIT2_EEPKiS8_PKS5_SA_S6_PS5_21rocsparse_index_base_b,@function
_ZN9rocsparseL19gebsrmvn_4xn_kernelILj128ELj1ELj4E21rocsparse_complex_numIfEEEvi20rocsparse_direction_NS_24const_host_device_scalarIT2_EEPKiS8_PKS5_SA_S6_PS5_21rocsparse_index_base_b: ; @_ZN9rocsparseL19gebsrmvn_4xn_kernelILj128ELj1ELj4E21rocsparse_complex_numIfEEEvi20rocsparse_direction_NS_24const_host_device_scalarIT2_EEPKiS8_PKS5_SA_S6_PS5_21rocsparse_index_base_b
; %bb.0:
	s_load_dwordx2 s[0:1], s[4:5], 0x8
	s_load_dwordx2 s[8:9], s[4:5], 0x30
	;; [unrolled: 1-line block ×3, first 2 shown]
	s_add_u32 s7, s4, 8
	s_addc_u32 s10, s5, 0
	s_add_u32 s11, s4, 48
	s_addc_u32 s12, s5, 0
	s_waitcnt lgkmcnt(0)
	s_bitcmp1_b32 s3, 0
	s_cselect_b32 s1, s10, s1
	s_cselect_b32 s0, s7, s0
	v_mov_b32_e32 v1, s0
	v_mov_b32_e32 v2, s1
	flat_load_dwordx2 v[1:2], v[1:2]
	s_cselect_b32 s0, s12, s9
	s_cselect_b32 s1, s11, s8
	v_mov_b32_e32 v3, s1
	v_mov_b32_e32 v4, s0
	flat_load_dwordx2 v[3:4], v[3:4]
	s_waitcnt vmcnt(0) lgkmcnt(0)
	v_cmp_eq_f32_e32 vcc, 0, v1
	v_cmp_eq_f32_e64 s[0:1], 0, v2
	s_and_b64 s[10:11], vcc, s[0:1]
	s_mov_b64 s[0:1], -1
	s_and_saveexec_b64 s[8:9], s[10:11]
; %bb.1:
	v_cmp_neq_f32_e32 vcc, 1.0, v3
	v_cmp_neq_f32_e64 s[0:1], 0, v4
	s_or_b64 s[0:1], vcc, s[0:1]
	s_orn2_b64 s[0:1], s[0:1], exec
; %bb.2:
	s_or_b64 exec, exec, s[8:9]
	s_and_saveexec_b64 s[8:9], s[0:1]
	s_cbranch_execz .LBB74_21
; %bb.3:
	s_load_dwordx2 s[0:1], s[4:5], 0x0
	v_lshrrev_b32_e32 v5, 2, v0
	v_lshl_or_b32 v5, s6, 5, v5
	s_waitcnt lgkmcnt(0)
	v_cmp_gt_i32_e32 vcc, s0, v5
	s_and_b64 exec, exec, vcc
	s_cbranch_execz .LBB74_21
; %bb.4:
	s_load_dwordx8 s[8:15], s[4:5], 0x10
	v_ashrrev_i32_e32 v6, 31, v5
	v_lshlrev_b64 v[6:7], 2, v[5:6]
	v_and_b32_e32 v0, 3, v0
	s_cmp_lg_u32 s1, 0
	s_waitcnt lgkmcnt(0)
	v_mov_b32_e32 v8, s9
	v_add_co_u32_e32 v6, vcc, s8, v6
	v_addc_co_u32_e32 v7, vcc, v8, v7, vcc
	global_load_dwordx2 v[6:7], v[6:7], off
	s_waitcnt vmcnt(0)
	v_subrev_u32_e32 v6, s2, v6
	v_subrev_u32_e32 v16, s2, v7
	v_add_u32_e32 v6, v6, v0
	v_cmp_lt_i32_e64 s[0:1], v6, v16
	s_cbranch_scc0 .LBB74_10
; %bb.5:
	v_mov_b32_e32 v13, 0
	v_mov_b32_e32 v14, 0
	;; [unrolled: 1-line block ×8, first 2 shown]
	s_and_saveexec_b64 s[6:7], s[0:1]
	s_cbranch_execz .LBB74_9
; %bb.6:
	v_mov_b32_e32 v8, 0
	v_lshlrev_b32_e32 v7, 2, v6
	s_mov_b64 s[8:9], 0
	v_mov_b32_e32 v20, s11
	v_mov_b32_e32 v21, s13
	;; [unrolled: 1-line block ×12, first 2 shown]
.LBB74_7:                               ; =>This Inner Loop Header: Depth=1
	v_ashrrev_i32_e32 v10, 31, v9
	v_lshlrev_b64 v[23:24], 2, v[9:10]
	v_mov_b32_e32 v32, v8
	v_add_co_u32_e32 v23, vcc, s10, v23
	v_addc_co_u32_e32 v24, vcc, v20, v24, vcc
	global_load_dword v10, v[23:24], off
	v_lshlrev_b64 v[23:24], 3, v[7:8]
	v_add_u32_e32 v9, 4, v9
	v_add_co_u32_e32 v33, vcc, s12, v23
	v_addc_co_u32_e32 v34, vcc, v21, v24, vcc
	global_load_dwordx4 v[23:26], v[33:34], off
	global_load_dwordx4 v[27:30], v[33:34], off offset:16
	v_add_u32_e32 v7, 16, v7
	s_waitcnt vmcnt(2)
	v_subrev_u32_e32 v31, s2, v10
	v_lshlrev_b64 v[31:32], 3, v[31:32]
	v_add_co_u32_e32 v31, vcc, s14, v31
	v_addc_co_u32_e32 v32, vcc, v22, v32, vcc
	global_load_dwordx2 v[31:32], v[31:32], off
	v_cmp_ge_i32_e32 vcc, v9, v16
	s_or_b64 s[8:9], vcc, s[8:9]
	s_waitcnt vmcnt(0)
	v_fmac_f32_e32 v14, v23, v31
	v_fmac_f32_e32 v13, v24, v31
	;; [unrolled: 1-line block ×8, first 2 shown]
	v_fma_f32 v14, -v24, v32, v14
	v_fmac_f32_e32 v13, v23, v32
	v_fma_f32 v18, -v26, v32, v18
	v_fmac_f32_e32 v19, v25, v32
	;; [unrolled: 2-line block ×4, first 2 shown]
	s_andn2_b64 exec, exec, s[8:9]
	s_cbranch_execnz .LBB74_7
; %bb.8:
	s_or_b64 exec, exec, s[8:9]
.LBB74_9:
	s_or_b64 exec, exec, s[6:7]
	s_cbranch_execz .LBB74_11
	s_branch .LBB74_16
.LBB74_10:
                                        ; implicit-def: $vgpr13
                                        ; implicit-def: $vgpr14
                                        ; implicit-def: $vgpr11
                                        ; implicit-def: $vgpr12
                                        ; implicit-def: $vgpr15
                                        ; implicit-def: $vgpr17
                                        ; implicit-def: $vgpr18
                                        ; implicit-def: $vgpr19
.LBB74_11:
	v_mov_b32_e32 v13, 0
	v_mov_b32_e32 v14, 0
	;; [unrolled: 1-line block ×8, first 2 shown]
	s_and_saveexec_b64 s[6:7], s[0:1]
	s_cbranch_execz .LBB74_15
; %bb.12:
	v_mov_b32_e32 v9, 0
	v_lshlrev_b32_e32 v8, 2, v6
	s_mov_b64 s[0:1], 0
	v_mov_b32_e32 v10, s11
	v_mov_b32_e32 v20, s13
	;; [unrolled: 1-line block ×11, first 2 shown]
.LBB74_13:                              ; =>This Inner Loop Header: Depth=1
	v_ashrrev_i32_e32 v7, 31, v6
	v_lshlrev_b64 v[22:23], 2, v[6:7]
	v_mov_b32_e32 v31, v9
	v_add_co_u32_e32 v22, vcc, s10, v22
	v_addc_co_u32_e32 v23, vcc, v10, v23, vcc
	global_load_dword v7, v[22:23], off
	v_lshlrev_b64 v[22:23], 3, v[8:9]
	v_add_u32_e32 v6, 4, v6
	v_add_co_u32_e32 v32, vcc, s12, v22
	v_addc_co_u32_e32 v33, vcc, v20, v23, vcc
	global_load_dwordx4 v[22:25], v[32:33], off
	global_load_dwordx4 v[26:29], v[32:33], off offset:16
	v_add_u32_e32 v8, 16, v8
	s_waitcnt vmcnt(2)
	v_subrev_u32_e32 v30, s2, v7
	v_lshlrev_b64 v[30:31], 3, v[30:31]
	v_add_co_u32_e32 v30, vcc, s14, v30
	v_addc_co_u32_e32 v31, vcc, v21, v31, vcc
	global_load_dwordx2 v[30:31], v[30:31], off
	v_cmp_ge_i32_e32 vcc, v6, v16
	s_or_b64 s[0:1], vcc, s[0:1]
	s_waitcnt vmcnt(0)
	v_fmac_f32_e32 v14, v22, v30
	v_fmac_f32_e32 v13, v23, v30
	;; [unrolled: 1-line block ×8, first 2 shown]
	v_fma_f32 v14, -v23, v31, v14
	v_fmac_f32_e32 v13, v22, v31
	v_fma_f32 v18, -v25, v31, v18
	v_fmac_f32_e32 v19, v24, v31
	;; [unrolled: 2-line block ×4, first 2 shown]
	s_andn2_b64 exec, exec, s[0:1]
	s_cbranch_execnz .LBB74_13
; %bb.14:
	s_or_b64 exec, exec, s[0:1]
.LBB74_15:
	s_or_b64 exec, exec, s[6:7]
.LBB74_16:
	v_mov_b32_dpp v8, v13 row_shr:1 row_mask:0xf bank_mask:0xf
	v_mov_b32_dpp v10, v18 row_shr:1 row_mask:0xf bank_mask:0xf
	v_add_f32_e32 v8, v13, v8
	v_add_f32_e32 v13, v18, v10
	v_mov_b32_dpp v10, v19 row_shr:1 row_mask:0xf bank_mask:0xf
	v_add_f32_e32 v16, v19, v10
	v_mov_b32_dpp v6, v14 row_shr:1 row_mask:0xf bank_mask:0xf
	v_mov_b32_dpp v10, v15 row_shr:1 row_mask:0xf bank_mask:0xf
	v_add_f32_e32 v15, v15, v10
	v_add_f32_e32 v6, v14, v6
	v_mov_b32_dpp v10, v17 row_shr:1 row_mask:0xf bank_mask:0xf
	v_add_f32_e32 v17, v17, v10
	v_mov_b32_dpp v7, v6 row_shr:2 row_mask:0xf bank_mask:0xf
	v_mov_b32_dpp v10, v11 row_shr:1 row_mask:0xf bank_mask:0xf
	v_add_f32_e32 v21, v11, v10
	v_mov_b32_dpp v9, v8 row_shr:2 row_mask:0xf bank_mask:0xf
	;; [unrolled: 3-line block ×3, first 2 shown]
	v_mov_b32_dpp v18, v16 row_shr:2 row_mask:0xf bank_mask:0xf
	v_mov_b32_dpp v19, v15 row_shr:2 row_mask:0xf bank_mask:0xf
	;; [unrolled: 1-line block ×5, first 2 shown]
	v_cmp_eq_u32_e32 vcc, 3, v0
	s_and_b64 exec, exec, vcc
	s_cbranch_execz .LBB74_21
; %bb.17:
	s_load_dwordx2 s[2:3], s[4:5], 0x38
	v_cmp_eq_f32_e32 vcc, 0, v3
	v_cmp_eq_f32_e64 s[0:1], 0, v4
	v_add_f32_e32 v10, v6, v7
	v_add_f32_e32 v12, v8, v9
	;; [unrolled: 1-line block ×8, first 2 shown]
	s_and_b64 s[0:1], vcc, s[0:1]
	s_and_saveexec_b64 s[4:5], s[0:1]
	s_xor_b64 s[0:1], exec, s[4:5]
	s_cbranch_execz .LBB74_19
; %bb.18:
	v_lshlrev_b32_e32 v3, 2, v5
	v_ashrrev_i32_e32 v4, 31, v3
	v_lshlrev_b64 v[3:4], 3, v[3:4]
	s_waitcnt lgkmcnt(0)
	v_mov_b32_e32 v5, s3
	v_add_co_u32_e32 v17, vcc, s2, v3
	v_addc_co_u32_e32 v18, vcc, v5, v4, vcc
	v_mul_f32_e64 v3, v9, -v2
	v_mul_f32_e32 v4, v1, v9
	v_mul_f32_e64 v13, v12, -v2
	v_mul_f32_e32 v14, v1, v12
	;; [unrolled: 2-line block ×3, first 2 shown]
	v_fmac_f32_e32 v3, v1, v6
	v_fmac_f32_e32 v4, v2, v6
	v_mul_f32_e64 v5, v7, -v2
	v_mul_f32_e32 v6, v1, v7
	v_fmac_f32_e32 v13, v1, v10
	v_fmac_f32_e32 v14, v2, v10
	;; [unrolled: 1-line block ×6, first 2 shown]
	global_store_dwordx4 v[17:18], v[13:16], off
	global_store_dwordx4 v[17:18], v[3:6], off offset:16
                                        ; implicit-def: $vgpr5
                                        ; implicit-def: $vgpr10
                                        ; implicit-def: $vgpr12
                                        ; implicit-def: $vgpr8
                                        ; implicit-def: $vgpr11
                                        ; implicit-def: $vgpr6
                                        ; implicit-def: $vgpr9
                                        ; implicit-def: $vgpr0
                                        ; implicit-def: $vgpr7
                                        ; implicit-def: $vgpr1_vgpr2
                                        ; implicit-def: $vgpr3_vgpr4
.LBB74_19:
	s_andn2_saveexec_b64 s[0:1], s[0:1]
	s_cbranch_execz .LBB74_21
; %bb.20:
	v_lshlrev_b32_e32 v13, 2, v5
	v_ashrrev_i32_e32 v14, 31, v13
	v_lshlrev_b64 v[13:14], 3, v[13:14]
	s_waitcnt lgkmcnt(0)
	v_mov_b32_e32 v5, s3
	v_add_co_u32_e32 v25, vcc, s2, v13
	v_addc_co_u32_e32 v26, vcc, v5, v14, vcc
	global_load_dwordx4 v[13:16], v[25:26], off
	global_load_dwordx4 v[17:20], v[25:26], off offset:16
	v_mul_f32_e64 v5, v12, -v2
	v_mul_f32_e32 v22, v1, v12
	v_mul_f32_e64 v12, v11, -v2
	v_mul_f32_e32 v24, v1, v11
	v_mul_f32_e64 v27, v9, -v2
	v_mul_f32_e32 v9, v1, v9
	v_mul_f32_e64 v28, v7, -v2
	v_mul_f32_e32 v11, v1, v7
	v_fmac_f32_e32 v5, v1, v10
	v_fmac_f32_e32 v22, v2, v10
	;; [unrolled: 1-line block ×8, first 2 shown]
	s_waitcnt vmcnt(1)
	v_fmac_f32_e32 v5, v3, v13
	v_fmac_f32_e32 v22, v4, v13
	;; [unrolled: 1-line block ×4, first 2 shown]
	s_waitcnt vmcnt(0)
	v_fmac_f32_e32 v27, v3, v17
	v_fmac_f32_e32 v9, v4, v17
	;; [unrolled: 1-line block ×4, first 2 shown]
	v_fma_f32 v21, -v4, v14, v5
	v_fmac_f32_e32 v22, v3, v14
	v_fma_f32 v23, -v4, v16, v12
	v_fmac_f32_e32 v24, v3, v16
	;; [unrolled: 2-line block ×4, first 2 shown]
	global_store_dwordx4 v[25:26], v[21:24], off
	global_store_dwordx4 v[25:26], v[8:11], off offset:16
.LBB74_21:
	s_endpgm
	.section	.rodata,"a",@progbits
	.p2align	6, 0x0
	.amdhsa_kernel _ZN9rocsparseL19gebsrmvn_4xn_kernelILj128ELj1ELj4E21rocsparse_complex_numIfEEEvi20rocsparse_direction_NS_24const_host_device_scalarIT2_EEPKiS8_PKS5_SA_S6_PS5_21rocsparse_index_base_b
		.amdhsa_group_segment_fixed_size 0
		.amdhsa_private_segment_fixed_size 0
		.amdhsa_kernarg_size 72
		.amdhsa_user_sgpr_count 6
		.amdhsa_user_sgpr_private_segment_buffer 1
		.amdhsa_user_sgpr_dispatch_ptr 0
		.amdhsa_user_sgpr_queue_ptr 0
		.amdhsa_user_sgpr_kernarg_segment_ptr 1
		.amdhsa_user_sgpr_dispatch_id 0
		.amdhsa_user_sgpr_flat_scratch_init 0
		.amdhsa_user_sgpr_private_segment_size 0
		.amdhsa_uses_dynamic_stack 0
		.amdhsa_system_sgpr_private_segment_wavefront_offset 0
		.amdhsa_system_sgpr_workgroup_id_x 1
		.amdhsa_system_sgpr_workgroup_id_y 0
		.amdhsa_system_sgpr_workgroup_id_z 0
		.amdhsa_system_sgpr_workgroup_info 0
		.amdhsa_system_vgpr_workitem_id 0
		.amdhsa_next_free_vgpr 35
		.amdhsa_next_free_sgpr 16
		.amdhsa_reserve_vcc 1
		.amdhsa_reserve_flat_scratch 0
		.amdhsa_float_round_mode_32 0
		.amdhsa_float_round_mode_16_64 0
		.amdhsa_float_denorm_mode_32 3
		.amdhsa_float_denorm_mode_16_64 3
		.amdhsa_dx10_clamp 1
		.amdhsa_ieee_mode 1
		.amdhsa_fp16_overflow 0
		.amdhsa_exception_fp_ieee_invalid_op 0
		.amdhsa_exception_fp_denorm_src 0
		.amdhsa_exception_fp_ieee_div_zero 0
		.amdhsa_exception_fp_ieee_overflow 0
		.amdhsa_exception_fp_ieee_underflow 0
		.amdhsa_exception_fp_ieee_inexact 0
		.amdhsa_exception_int_div_zero 0
	.end_amdhsa_kernel
	.section	.text._ZN9rocsparseL19gebsrmvn_4xn_kernelILj128ELj1ELj4E21rocsparse_complex_numIfEEEvi20rocsparse_direction_NS_24const_host_device_scalarIT2_EEPKiS8_PKS5_SA_S6_PS5_21rocsparse_index_base_b,"axG",@progbits,_ZN9rocsparseL19gebsrmvn_4xn_kernelILj128ELj1ELj4E21rocsparse_complex_numIfEEEvi20rocsparse_direction_NS_24const_host_device_scalarIT2_EEPKiS8_PKS5_SA_S6_PS5_21rocsparse_index_base_b,comdat
.Lfunc_end74:
	.size	_ZN9rocsparseL19gebsrmvn_4xn_kernelILj128ELj1ELj4E21rocsparse_complex_numIfEEEvi20rocsparse_direction_NS_24const_host_device_scalarIT2_EEPKiS8_PKS5_SA_S6_PS5_21rocsparse_index_base_b, .Lfunc_end74-_ZN9rocsparseL19gebsrmvn_4xn_kernelILj128ELj1ELj4E21rocsparse_complex_numIfEEEvi20rocsparse_direction_NS_24const_host_device_scalarIT2_EEPKiS8_PKS5_SA_S6_PS5_21rocsparse_index_base_b
                                        ; -- End function
	.set _ZN9rocsparseL19gebsrmvn_4xn_kernelILj128ELj1ELj4E21rocsparse_complex_numIfEEEvi20rocsparse_direction_NS_24const_host_device_scalarIT2_EEPKiS8_PKS5_SA_S6_PS5_21rocsparse_index_base_b.num_vgpr, 35
	.set _ZN9rocsparseL19gebsrmvn_4xn_kernelILj128ELj1ELj4E21rocsparse_complex_numIfEEEvi20rocsparse_direction_NS_24const_host_device_scalarIT2_EEPKiS8_PKS5_SA_S6_PS5_21rocsparse_index_base_b.num_agpr, 0
	.set _ZN9rocsparseL19gebsrmvn_4xn_kernelILj128ELj1ELj4E21rocsparse_complex_numIfEEEvi20rocsparse_direction_NS_24const_host_device_scalarIT2_EEPKiS8_PKS5_SA_S6_PS5_21rocsparse_index_base_b.numbered_sgpr, 16
	.set _ZN9rocsparseL19gebsrmvn_4xn_kernelILj128ELj1ELj4E21rocsparse_complex_numIfEEEvi20rocsparse_direction_NS_24const_host_device_scalarIT2_EEPKiS8_PKS5_SA_S6_PS5_21rocsparse_index_base_b.num_named_barrier, 0
	.set _ZN9rocsparseL19gebsrmvn_4xn_kernelILj128ELj1ELj4E21rocsparse_complex_numIfEEEvi20rocsparse_direction_NS_24const_host_device_scalarIT2_EEPKiS8_PKS5_SA_S6_PS5_21rocsparse_index_base_b.private_seg_size, 0
	.set _ZN9rocsparseL19gebsrmvn_4xn_kernelILj128ELj1ELj4E21rocsparse_complex_numIfEEEvi20rocsparse_direction_NS_24const_host_device_scalarIT2_EEPKiS8_PKS5_SA_S6_PS5_21rocsparse_index_base_b.uses_vcc, 1
	.set _ZN9rocsparseL19gebsrmvn_4xn_kernelILj128ELj1ELj4E21rocsparse_complex_numIfEEEvi20rocsparse_direction_NS_24const_host_device_scalarIT2_EEPKiS8_PKS5_SA_S6_PS5_21rocsparse_index_base_b.uses_flat_scratch, 0
	.set _ZN9rocsparseL19gebsrmvn_4xn_kernelILj128ELj1ELj4E21rocsparse_complex_numIfEEEvi20rocsparse_direction_NS_24const_host_device_scalarIT2_EEPKiS8_PKS5_SA_S6_PS5_21rocsparse_index_base_b.has_dyn_sized_stack, 0
	.set _ZN9rocsparseL19gebsrmvn_4xn_kernelILj128ELj1ELj4E21rocsparse_complex_numIfEEEvi20rocsparse_direction_NS_24const_host_device_scalarIT2_EEPKiS8_PKS5_SA_S6_PS5_21rocsparse_index_base_b.has_recursion, 0
	.set _ZN9rocsparseL19gebsrmvn_4xn_kernelILj128ELj1ELj4E21rocsparse_complex_numIfEEEvi20rocsparse_direction_NS_24const_host_device_scalarIT2_EEPKiS8_PKS5_SA_S6_PS5_21rocsparse_index_base_b.has_indirect_call, 0
	.section	.AMDGPU.csdata,"",@progbits
; Kernel info:
; codeLenInByte = 1512
; TotalNumSgprs: 20
; NumVgprs: 35
; ScratchSize: 0
; MemoryBound: 0
; FloatMode: 240
; IeeeMode: 1
; LDSByteSize: 0 bytes/workgroup (compile time only)
; SGPRBlocks: 2
; VGPRBlocks: 8
; NumSGPRsForWavesPerEU: 20
; NumVGPRsForWavesPerEU: 35
; Occupancy: 7
; WaveLimiterHint : 1
; COMPUTE_PGM_RSRC2:SCRATCH_EN: 0
; COMPUTE_PGM_RSRC2:USER_SGPR: 6
; COMPUTE_PGM_RSRC2:TRAP_HANDLER: 0
; COMPUTE_PGM_RSRC2:TGID_X_EN: 1
; COMPUTE_PGM_RSRC2:TGID_Y_EN: 0
; COMPUTE_PGM_RSRC2:TGID_Z_EN: 0
; COMPUTE_PGM_RSRC2:TIDIG_COMP_CNT: 0
	.section	.text._ZN9rocsparseL19gebsrmvn_4xn_kernelILj128ELj1ELj8E21rocsparse_complex_numIfEEEvi20rocsparse_direction_NS_24const_host_device_scalarIT2_EEPKiS8_PKS5_SA_S6_PS5_21rocsparse_index_base_b,"axG",@progbits,_ZN9rocsparseL19gebsrmvn_4xn_kernelILj128ELj1ELj8E21rocsparse_complex_numIfEEEvi20rocsparse_direction_NS_24const_host_device_scalarIT2_EEPKiS8_PKS5_SA_S6_PS5_21rocsparse_index_base_b,comdat
	.globl	_ZN9rocsparseL19gebsrmvn_4xn_kernelILj128ELj1ELj8E21rocsparse_complex_numIfEEEvi20rocsparse_direction_NS_24const_host_device_scalarIT2_EEPKiS8_PKS5_SA_S6_PS5_21rocsparse_index_base_b ; -- Begin function _ZN9rocsparseL19gebsrmvn_4xn_kernelILj128ELj1ELj8E21rocsparse_complex_numIfEEEvi20rocsparse_direction_NS_24const_host_device_scalarIT2_EEPKiS8_PKS5_SA_S6_PS5_21rocsparse_index_base_b
	.p2align	8
	.type	_ZN9rocsparseL19gebsrmvn_4xn_kernelILj128ELj1ELj8E21rocsparse_complex_numIfEEEvi20rocsparse_direction_NS_24const_host_device_scalarIT2_EEPKiS8_PKS5_SA_S6_PS5_21rocsparse_index_base_b,@function
_ZN9rocsparseL19gebsrmvn_4xn_kernelILj128ELj1ELj8E21rocsparse_complex_numIfEEEvi20rocsparse_direction_NS_24const_host_device_scalarIT2_EEPKiS8_PKS5_SA_S6_PS5_21rocsparse_index_base_b: ; @_ZN9rocsparseL19gebsrmvn_4xn_kernelILj128ELj1ELj8E21rocsparse_complex_numIfEEEvi20rocsparse_direction_NS_24const_host_device_scalarIT2_EEPKiS8_PKS5_SA_S6_PS5_21rocsparse_index_base_b
; %bb.0:
	s_load_dwordx2 s[0:1], s[4:5], 0x8
	s_load_dwordx2 s[8:9], s[4:5], 0x30
	;; [unrolled: 1-line block ×3, first 2 shown]
	s_add_u32 s7, s4, 8
	s_addc_u32 s10, s5, 0
	s_add_u32 s11, s4, 48
	s_addc_u32 s12, s5, 0
	s_waitcnt lgkmcnt(0)
	s_bitcmp1_b32 s3, 0
	s_cselect_b32 s1, s10, s1
	s_cselect_b32 s0, s7, s0
	v_mov_b32_e32 v1, s0
	v_mov_b32_e32 v2, s1
	flat_load_dwordx2 v[1:2], v[1:2]
	s_cselect_b32 s0, s12, s9
	s_cselect_b32 s1, s11, s8
	v_mov_b32_e32 v3, s1
	v_mov_b32_e32 v4, s0
	flat_load_dwordx2 v[3:4], v[3:4]
	s_waitcnt vmcnt(0) lgkmcnt(0)
	v_cmp_eq_f32_e32 vcc, 0, v1
	v_cmp_eq_f32_e64 s[0:1], 0, v2
	s_and_b64 s[10:11], vcc, s[0:1]
	s_mov_b64 s[0:1], -1
	s_and_saveexec_b64 s[8:9], s[10:11]
; %bb.1:
	v_cmp_neq_f32_e32 vcc, 1.0, v3
	v_cmp_neq_f32_e64 s[0:1], 0, v4
	s_or_b64 s[0:1], vcc, s[0:1]
	s_orn2_b64 s[0:1], s[0:1], exec
; %bb.2:
	s_or_b64 exec, exec, s[8:9]
	s_and_saveexec_b64 s[8:9], s[0:1]
	s_cbranch_execz .LBB75_21
; %bb.3:
	s_load_dwordx2 s[0:1], s[4:5], 0x0
	v_lshrrev_b32_e32 v5, 3, v0
	v_lshl_or_b32 v5, s6, 4, v5
	s_waitcnt lgkmcnt(0)
	v_cmp_gt_i32_e32 vcc, s0, v5
	s_and_b64 exec, exec, vcc
	s_cbranch_execz .LBB75_21
; %bb.4:
	s_load_dwordx8 s[8:15], s[4:5], 0x10
	v_ashrrev_i32_e32 v6, 31, v5
	v_lshlrev_b64 v[6:7], 2, v[5:6]
	v_and_b32_e32 v0, 7, v0
	s_cmp_lg_u32 s1, 0
	s_waitcnt lgkmcnt(0)
	v_mov_b32_e32 v8, s9
	v_add_co_u32_e32 v6, vcc, s8, v6
	v_addc_co_u32_e32 v7, vcc, v8, v7, vcc
	global_load_dwordx2 v[6:7], v[6:7], off
	s_waitcnt vmcnt(0)
	v_subrev_u32_e32 v6, s2, v6
	v_subrev_u32_e32 v17, s2, v7
	v_add_u32_e32 v6, v6, v0
	v_cmp_lt_i32_e64 s[0:1], v6, v17
	s_cbranch_scc0 .LBB75_10
; %bb.5:
	v_mov_b32_e32 v13, 0
	v_mov_b32_e32 v16, 0
	;; [unrolled: 1-line block ×8, first 2 shown]
	s_and_saveexec_b64 s[6:7], s[0:1]
	s_cbranch_execz .LBB75_9
; %bb.6:
	v_mov_b32_e32 v8, 0
	v_lshlrev_b32_e32 v7, 2, v6
	s_mov_b64 s[8:9], 0
	v_mov_b32_e32 v20, s11
	v_mov_b32_e32 v21, s13
	;; [unrolled: 1-line block ×12, first 2 shown]
.LBB75_7:                               ; =>This Inner Loop Header: Depth=1
	v_ashrrev_i32_e32 v10, 31, v9
	v_lshlrev_b64 v[23:24], 2, v[9:10]
	v_mov_b32_e32 v32, v8
	v_add_co_u32_e32 v23, vcc, s10, v23
	v_addc_co_u32_e32 v24, vcc, v20, v24, vcc
	global_load_dword v10, v[23:24], off
	v_lshlrev_b64 v[23:24], 3, v[7:8]
	v_add_u32_e32 v9, 8, v9
	v_add_co_u32_e32 v33, vcc, s12, v23
	v_addc_co_u32_e32 v34, vcc, v21, v24, vcc
	global_load_dwordx4 v[23:26], v[33:34], off
	global_load_dwordx4 v[27:30], v[33:34], off offset:16
	v_add_u32_e32 v7, 32, v7
	s_waitcnt vmcnt(2)
	v_subrev_u32_e32 v31, s2, v10
	v_lshlrev_b64 v[31:32], 3, v[31:32]
	v_add_co_u32_e32 v31, vcc, s14, v31
	v_addc_co_u32_e32 v32, vcc, v22, v32, vcc
	global_load_dwordx2 v[31:32], v[31:32], off
	v_cmp_ge_i32_e32 vcc, v9, v17
	s_or_b64 s[8:9], vcc, s[8:9]
	s_waitcnt vmcnt(0)
	v_fmac_f32_e32 v16, v23, v31
	v_fmac_f32_e32 v13, v24, v31
	;; [unrolled: 1-line block ×8, first 2 shown]
	v_fma_f32 v16, -v24, v32, v16
	v_fmac_f32_e32 v13, v23, v32
	v_fma_f32 v18, -v26, v32, v18
	v_fmac_f32_e32 v19, v25, v32
	;; [unrolled: 2-line block ×4, first 2 shown]
	s_andn2_b64 exec, exec, s[8:9]
	s_cbranch_execnz .LBB75_7
; %bb.8:
	s_or_b64 exec, exec, s[8:9]
.LBB75_9:
	s_or_b64 exec, exec, s[6:7]
	s_cbranch_execz .LBB75_11
	s_branch .LBB75_16
.LBB75_10:
                                        ; implicit-def: $vgpr13
                                        ; implicit-def: $vgpr16
                                        ; implicit-def: $vgpr11
                                        ; implicit-def: $vgpr12
                                        ; implicit-def: $vgpr14
                                        ; implicit-def: $vgpr15
                                        ; implicit-def: $vgpr18
                                        ; implicit-def: $vgpr19
.LBB75_11:
	v_mov_b32_e32 v13, 0
	v_mov_b32_e32 v16, 0
	;; [unrolled: 1-line block ×8, first 2 shown]
	s_and_saveexec_b64 s[6:7], s[0:1]
	s_cbranch_execz .LBB75_15
; %bb.12:
	v_mov_b32_e32 v9, 0
	v_lshlrev_b32_e32 v8, 2, v6
	s_mov_b64 s[0:1], 0
	v_mov_b32_e32 v10, s11
	v_mov_b32_e32 v20, s13
	;; [unrolled: 1-line block ×11, first 2 shown]
.LBB75_13:                              ; =>This Inner Loop Header: Depth=1
	v_ashrrev_i32_e32 v7, 31, v6
	v_lshlrev_b64 v[22:23], 2, v[6:7]
	v_mov_b32_e32 v31, v9
	v_add_co_u32_e32 v22, vcc, s10, v22
	v_addc_co_u32_e32 v23, vcc, v10, v23, vcc
	global_load_dword v7, v[22:23], off
	v_lshlrev_b64 v[22:23], 3, v[8:9]
	v_add_u32_e32 v6, 8, v6
	v_add_co_u32_e32 v32, vcc, s12, v22
	v_addc_co_u32_e32 v33, vcc, v20, v23, vcc
	global_load_dwordx4 v[22:25], v[32:33], off
	global_load_dwordx4 v[26:29], v[32:33], off offset:16
	v_add_u32_e32 v8, 32, v8
	s_waitcnt vmcnt(2)
	v_subrev_u32_e32 v30, s2, v7
	v_lshlrev_b64 v[30:31], 3, v[30:31]
	v_add_co_u32_e32 v30, vcc, s14, v30
	v_addc_co_u32_e32 v31, vcc, v21, v31, vcc
	global_load_dwordx2 v[30:31], v[30:31], off
	v_cmp_ge_i32_e32 vcc, v6, v17
	s_or_b64 s[0:1], vcc, s[0:1]
	s_waitcnt vmcnt(0)
	v_fmac_f32_e32 v16, v22, v30
	v_fmac_f32_e32 v13, v23, v30
	v_fmac_f32_e32 v18, v24, v30
	v_fmac_f32_e32 v19, v25, v30
	v_fmac_f32_e32 v14, v26, v30
	v_fmac_f32_e32 v15, v27, v30
	v_fmac_f32_e32 v11, v28, v30
	v_fmac_f32_e32 v12, v29, v30
	v_fma_f32 v16, -v23, v31, v16
	v_fmac_f32_e32 v13, v22, v31
	v_fma_f32 v18, -v25, v31, v18
	v_fmac_f32_e32 v19, v24, v31
	;; [unrolled: 2-line block ×4, first 2 shown]
	s_andn2_b64 exec, exec, s[0:1]
	s_cbranch_execnz .LBB75_13
; %bb.14:
	s_or_b64 exec, exec, s[0:1]
.LBB75_15:
	s_or_b64 exec, exec, s[6:7]
.LBB75_16:
	v_mov_b32_dpp v10, v18 row_shr:1 row_mask:0xf bank_mask:0xf
	v_mov_b32_dpp v8, v13 row_shr:1 row_mask:0xf bank_mask:0xf
	v_add_f32_e32 v10, v18, v10
	v_add_f32_e32 v8, v13, v8
	v_mov_b32_dpp v6, v16 row_shr:1 row_mask:0xf bank_mask:0xf
	v_mov_b32_dpp v13, v10 row_shr:2 row_mask:0xf bank_mask:0xf
	v_add_f32_e32 v13, v10, v13
	v_mov_b32_dpp v10, v19 row_shr:1 row_mask:0xf bank_mask:0xf
	v_add_f32_e32 v10, v19, v10
	v_add_f32_e32 v6, v16, v6
	v_mov_b32_dpp v9, v8 row_shr:2 row_mask:0xf bank_mask:0xf
	v_mov_b32_dpp v17, v10 row_shr:2 row_mask:0xf bank_mask:0xf
	v_add_f32_e32 v17, v10, v17
	v_mov_b32_dpp v10, v14 row_shr:1 row_mask:0xf bank_mask:0xf
	v_add_f32_e32 v10, v14, v10
	;; [unrolled: 2-line block ×5, first 2 shown]
	v_add_f32_e32 v8, v8, v9
	v_mov_b32_dpp v7, v6 row_shr:4 row_mask:0xf bank_mask:0xe
	v_mov_b32_dpp v15, v10 row_shr:2 row_mask:0xf bank_mask:0xf
	v_add_f32_e32 v15, v10, v15
	v_mov_b32_dpp v10, v11 row_shr:1 row_mask:0xf bank_mask:0xf
	v_add_f32_e32 v10, v11, v10
	v_mov_b32_dpp v9, v8 row_shr:4 row_mask:0xf bank_mask:0xe
	v_mov_b32_dpp v16, v13 row_shr:4 row_mask:0xf bank_mask:0xe
	;; [unrolled: 1-line block ×3, first 2 shown]
	v_add_f32_e32 v21, v10, v11
	v_mov_b32_dpp v10, v12 row_shr:1 row_mask:0xf bank_mask:0xf
	v_add_f32_e32 v10, v12, v10
	v_mov_b32_dpp v18, v17 row_shr:4 row_mask:0xf bank_mask:0xe
	v_mov_b32_dpp v19, v14 row_shr:4 row_mask:0xf bank_mask:0xe
	;; [unrolled: 1-line block ×3, first 2 shown]
	v_add_f32_e32 v23, v10, v11
	v_mov_b32_dpp v20, v15 row_shr:4 row_mask:0xf bank_mask:0xe
	v_mov_b32_dpp v22, v21 row_shr:4 row_mask:0xf bank_mask:0xe
	;; [unrolled: 1-line block ×3, first 2 shown]
	v_cmp_eq_u32_e32 vcc, 7, v0
	s_and_b64 exec, exec, vcc
	s_cbranch_execz .LBB75_21
; %bb.17:
	s_load_dwordx2 s[2:3], s[4:5], 0x38
	v_cmp_eq_f32_e32 vcc, 0, v3
	v_cmp_eq_f32_e64 s[0:1], 0, v4
	v_add_f32_e32 v10, v6, v7
	v_add_f32_e32 v12, v8, v9
	;; [unrolled: 1-line block ×8, first 2 shown]
	s_and_b64 s[0:1], vcc, s[0:1]
	s_and_saveexec_b64 s[4:5], s[0:1]
	s_xor_b64 s[0:1], exec, s[4:5]
	s_cbranch_execz .LBB75_19
; %bb.18:
	v_lshlrev_b32_e32 v3, 2, v5
	v_ashrrev_i32_e32 v4, 31, v3
	v_lshlrev_b64 v[3:4], 3, v[3:4]
	s_waitcnt lgkmcnt(0)
	v_mov_b32_e32 v5, s3
	v_add_co_u32_e32 v17, vcc, s2, v3
	v_addc_co_u32_e32 v18, vcc, v5, v4, vcc
	v_mul_f32_e64 v3, v9, -v2
	v_mul_f32_e32 v4, v1, v9
	v_mul_f32_e64 v13, v12, -v2
	v_mul_f32_e32 v14, v1, v12
	;; [unrolled: 2-line block ×3, first 2 shown]
	v_fmac_f32_e32 v3, v1, v6
	v_fmac_f32_e32 v4, v2, v6
	v_mul_f32_e64 v5, v7, -v2
	v_mul_f32_e32 v6, v1, v7
	v_fmac_f32_e32 v13, v1, v10
	v_fmac_f32_e32 v14, v2, v10
	;; [unrolled: 1-line block ×6, first 2 shown]
	global_store_dwordx4 v[17:18], v[13:16], off
	global_store_dwordx4 v[17:18], v[3:6], off offset:16
                                        ; implicit-def: $vgpr5
                                        ; implicit-def: $vgpr10
                                        ; implicit-def: $vgpr12
                                        ; implicit-def: $vgpr8
                                        ; implicit-def: $vgpr11
                                        ; implicit-def: $vgpr6
                                        ; implicit-def: $vgpr9
                                        ; implicit-def: $vgpr0
                                        ; implicit-def: $vgpr7
                                        ; implicit-def: $vgpr1_vgpr2
                                        ; implicit-def: $vgpr3_vgpr4
.LBB75_19:
	s_andn2_saveexec_b64 s[0:1], s[0:1]
	s_cbranch_execz .LBB75_21
; %bb.20:
	v_lshlrev_b32_e32 v13, 2, v5
	v_ashrrev_i32_e32 v14, 31, v13
	v_lshlrev_b64 v[13:14], 3, v[13:14]
	s_waitcnt lgkmcnt(0)
	v_mov_b32_e32 v5, s3
	v_add_co_u32_e32 v25, vcc, s2, v13
	v_addc_co_u32_e32 v26, vcc, v5, v14, vcc
	global_load_dwordx4 v[13:16], v[25:26], off
	global_load_dwordx4 v[17:20], v[25:26], off offset:16
	v_mul_f32_e64 v5, v12, -v2
	v_mul_f32_e32 v22, v1, v12
	v_mul_f32_e64 v12, v11, -v2
	v_mul_f32_e32 v24, v1, v11
	;; [unrolled: 2-line block ×4, first 2 shown]
	v_fmac_f32_e32 v5, v1, v10
	v_fmac_f32_e32 v22, v2, v10
	;; [unrolled: 1-line block ×8, first 2 shown]
	s_waitcnt vmcnt(1)
	v_fmac_f32_e32 v5, v3, v13
	v_fmac_f32_e32 v22, v4, v13
	v_fmac_f32_e32 v12, v3, v15
	v_fmac_f32_e32 v24, v4, v15
	s_waitcnt vmcnt(0)
	v_fmac_f32_e32 v27, v3, v17
	v_fmac_f32_e32 v9, v4, v17
	;; [unrolled: 1-line block ×4, first 2 shown]
	v_fma_f32 v21, -v4, v14, v5
	v_fmac_f32_e32 v22, v3, v14
	v_fma_f32 v23, -v4, v16, v12
	v_fmac_f32_e32 v24, v3, v16
	;; [unrolled: 2-line block ×4, first 2 shown]
	global_store_dwordx4 v[25:26], v[21:24], off
	global_store_dwordx4 v[25:26], v[8:11], off offset:16
.LBB75_21:
	s_endpgm
	.section	.rodata,"a",@progbits
	.p2align	6, 0x0
	.amdhsa_kernel _ZN9rocsparseL19gebsrmvn_4xn_kernelILj128ELj1ELj8E21rocsparse_complex_numIfEEEvi20rocsparse_direction_NS_24const_host_device_scalarIT2_EEPKiS8_PKS5_SA_S6_PS5_21rocsparse_index_base_b
		.amdhsa_group_segment_fixed_size 0
		.amdhsa_private_segment_fixed_size 0
		.amdhsa_kernarg_size 72
		.amdhsa_user_sgpr_count 6
		.amdhsa_user_sgpr_private_segment_buffer 1
		.amdhsa_user_sgpr_dispatch_ptr 0
		.amdhsa_user_sgpr_queue_ptr 0
		.amdhsa_user_sgpr_kernarg_segment_ptr 1
		.amdhsa_user_sgpr_dispatch_id 0
		.amdhsa_user_sgpr_flat_scratch_init 0
		.amdhsa_user_sgpr_private_segment_size 0
		.amdhsa_uses_dynamic_stack 0
		.amdhsa_system_sgpr_private_segment_wavefront_offset 0
		.amdhsa_system_sgpr_workgroup_id_x 1
		.amdhsa_system_sgpr_workgroup_id_y 0
		.amdhsa_system_sgpr_workgroup_id_z 0
		.amdhsa_system_sgpr_workgroup_info 0
		.amdhsa_system_vgpr_workitem_id 0
		.amdhsa_next_free_vgpr 35
		.amdhsa_next_free_sgpr 16
		.amdhsa_reserve_vcc 1
		.amdhsa_reserve_flat_scratch 0
		.amdhsa_float_round_mode_32 0
		.amdhsa_float_round_mode_16_64 0
		.amdhsa_float_denorm_mode_32 3
		.amdhsa_float_denorm_mode_16_64 3
		.amdhsa_dx10_clamp 1
		.amdhsa_ieee_mode 1
		.amdhsa_fp16_overflow 0
		.amdhsa_exception_fp_ieee_invalid_op 0
		.amdhsa_exception_fp_denorm_src 0
		.amdhsa_exception_fp_ieee_div_zero 0
		.amdhsa_exception_fp_ieee_overflow 0
		.amdhsa_exception_fp_ieee_underflow 0
		.amdhsa_exception_fp_ieee_inexact 0
		.amdhsa_exception_int_div_zero 0
	.end_amdhsa_kernel
	.section	.text._ZN9rocsparseL19gebsrmvn_4xn_kernelILj128ELj1ELj8E21rocsparse_complex_numIfEEEvi20rocsparse_direction_NS_24const_host_device_scalarIT2_EEPKiS8_PKS5_SA_S6_PS5_21rocsparse_index_base_b,"axG",@progbits,_ZN9rocsparseL19gebsrmvn_4xn_kernelILj128ELj1ELj8E21rocsparse_complex_numIfEEEvi20rocsparse_direction_NS_24const_host_device_scalarIT2_EEPKiS8_PKS5_SA_S6_PS5_21rocsparse_index_base_b,comdat
.Lfunc_end75:
	.size	_ZN9rocsparseL19gebsrmvn_4xn_kernelILj128ELj1ELj8E21rocsparse_complex_numIfEEEvi20rocsparse_direction_NS_24const_host_device_scalarIT2_EEPKiS8_PKS5_SA_S6_PS5_21rocsparse_index_base_b, .Lfunc_end75-_ZN9rocsparseL19gebsrmvn_4xn_kernelILj128ELj1ELj8E21rocsparse_complex_numIfEEEvi20rocsparse_direction_NS_24const_host_device_scalarIT2_EEPKiS8_PKS5_SA_S6_PS5_21rocsparse_index_base_b
                                        ; -- End function
	.set _ZN9rocsparseL19gebsrmvn_4xn_kernelILj128ELj1ELj8E21rocsparse_complex_numIfEEEvi20rocsparse_direction_NS_24const_host_device_scalarIT2_EEPKiS8_PKS5_SA_S6_PS5_21rocsparse_index_base_b.num_vgpr, 35
	.set _ZN9rocsparseL19gebsrmvn_4xn_kernelILj128ELj1ELj8E21rocsparse_complex_numIfEEEvi20rocsparse_direction_NS_24const_host_device_scalarIT2_EEPKiS8_PKS5_SA_S6_PS5_21rocsparse_index_base_b.num_agpr, 0
	.set _ZN9rocsparseL19gebsrmvn_4xn_kernelILj128ELj1ELj8E21rocsparse_complex_numIfEEEvi20rocsparse_direction_NS_24const_host_device_scalarIT2_EEPKiS8_PKS5_SA_S6_PS5_21rocsparse_index_base_b.numbered_sgpr, 16
	.set _ZN9rocsparseL19gebsrmvn_4xn_kernelILj128ELj1ELj8E21rocsparse_complex_numIfEEEvi20rocsparse_direction_NS_24const_host_device_scalarIT2_EEPKiS8_PKS5_SA_S6_PS5_21rocsparse_index_base_b.num_named_barrier, 0
	.set _ZN9rocsparseL19gebsrmvn_4xn_kernelILj128ELj1ELj8E21rocsparse_complex_numIfEEEvi20rocsparse_direction_NS_24const_host_device_scalarIT2_EEPKiS8_PKS5_SA_S6_PS5_21rocsparse_index_base_b.private_seg_size, 0
	.set _ZN9rocsparseL19gebsrmvn_4xn_kernelILj128ELj1ELj8E21rocsparse_complex_numIfEEEvi20rocsparse_direction_NS_24const_host_device_scalarIT2_EEPKiS8_PKS5_SA_S6_PS5_21rocsparse_index_base_b.uses_vcc, 1
	.set _ZN9rocsparseL19gebsrmvn_4xn_kernelILj128ELj1ELj8E21rocsparse_complex_numIfEEEvi20rocsparse_direction_NS_24const_host_device_scalarIT2_EEPKiS8_PKS5_SA_S6_PS5_21rocsparse_index_base_b.uses_flat_scratch, 0
	.set _ZN9rocsparseL19gebsrmvn_4xn_kernelILj128ELj1ELj8E21rocsparse_complex_numIfEEEvi20rocsparse_direction_NS_24const_host_device_scalarIT2_EEPKiS8_PKS5_SA_S6_PS5_21rocsparse_index_base_b.has_dyn_sized_stack, 0
	.set _ZN9rocsparseL19gebsrmvn_4xn_kernelILj128ELj1ELj8E21rocsparse_complex_numIfEEEvi20rocsparse_direction_NS_24const_host_device_scalarIT2_EEPKiS8_PKS5_SA_S6_PS5_21rocsparse_index_base_b.has_recursion, 0
	.set _ZN9rocsparseL19gebsrmvn_4xn_kernelILj128ELj1ELj8E21rocsparse_complex_numIfEEEvi20rocsparse_direction_NS_24const_host_device_scalarIT2_EEPKiS8_PKS5_SA_S6_PS5_21rocsparse_index_base_b.has_indirect_call, 0
	.section	.AMDGPU.csdata,"",@progbits
; Kernel info:
; codeLenInByte = 1608
; TotalNumSgprs: 20
; NumVgprs: 35
; ScratchSize: 0
; MemoryBound: 0
; FloatMode: 240
; IeeeMode: 1
; LDSByteSize: 0 bytes/workgroup (compile time only)
; SGPRBlocks: 2
; VGPRBlocks: 8
; NumSGPRsForWavesPerEU: 20
; NumVGPRsForWavesPerEU: 35
; Occupancy: 7
; WaveLimiterHint : 1
; COMPUTE_PGM_RSRC2:SCRATCH_EN: 0
; COMPUTE_PGM_RSRC2:USER_SGPR: 6
; COMPUTE_PGM_RSRC2:TRAP_HANDLER: 0
; COMPUTE_PGM_RSRC2:TGID_X_EN: 1
; COMPUTE_PGM_RSRC2:TGID_Y_EN: 0
; COMPUTE_PGM_RSRC2:TGID_Z_EN: 0
; COMPUTE_PGM_RSRC2:TIDIG_COMP_CNT: 0
	.section	.text._ZN9rocsparseL19gebsrmvn_4xn_kernelILj128ELj1ELj16E21rocsparse_complex_numIfEEEvi20rocsparse_direction_NS_24const_host_device_scalarIT2_EEPKiS8_PKS5_SA_S6_PS5_21rocsparse_index_base_b,"axG",@progbits,_ZN9rocsparseL19gebsrmvn_4xn_kernelILj128ELj1ELj16E21rocsparse_complex_numIfEEEvi20rocsparse_direction_NS_24const_host_device_scalarIT2_EEPKiS8_PKS5_SA_S6_PS5_21rocsparse_index_base_b,comdat
	.globl	_ZN9rocsparseL19gebsrmvn_4xn_kernelILj128ELj1ELj16E21rocsparse_complex_numIfEEEvi20rocsparse_direction_NS_24const_host_device_scalarIT2_EEPKiS8_PKS5_SA_S6_PS5_21rocsparse_index_base_b ; -- Begin function _ZN9rocsparseL19gebsrmvn_4xn_kernelILj128ELj1ELj16E21rocsparse_complex_numIfEEEvi20rocsparse_direction_NS_24const_host_device_scalarIT2_EEPKiS8_PKS5_SA_S6_PS5_21rocsparse_index_base_b
	.p2align	8
	.type	_ZN9rocsparseL19gebsrmvn_4xn_kernelILj128ELj1ELj16E21rocsparse_complex_numIfEEEvi20rocsparse_direction_NS_24const_host_device_scalarIT2_EEPKiS8_PKS5_SA_S6_PS5_21rocsparse_index_base_b,@function
_ZN9rocsparseL19gebsrmvn_4xn_kernelILj128ELj1ELj16E21rocsparse_complex_numIfEEEvi20rocsparse_direction_NS_24const_host_device_scalarIT2_EEPKiS8_PKS5_SA_S6_PS5_21rocsparse_index_base_b: ; @_ZN9rocsparseL19gebsrmvn_4xn_kernelILj128ELj1ELj16E21rocsparse_complex_numIfEEEvi20rocsparse_direction_NS_24const_host_device_scalarIT2_EEPKiS8_PKS5_SA_S6_PS5_21rocsparse_index_base_b
; %bb.0:
	s_load_dwordx2 s[0:1], s[4:5], 0x8
	s_load_dwordx2 s[8:9], s[4:5], 0x30
	;; [unrolled: 1-line block ×3, first 2 shown]
	s_add_u32 s7, s4, 8
	s_addc_u32 s10, s5, 0
	s_add_u32 s11, s4, 48
	s_addc_u32 s12, s5, 0
	s_waitcnt lgkmcnt(0)
	s_bitcmp1_b32 s3, 0
	s_cselect_b32 s1, s10, s1
	s_cselect_b32 s0, s7, s0
	v_mov_b32_e32 v1, s0
	v_mov_b32_e32 v2, s1
	flat_load_dwordx2 v[1:2], v[1:2]
	s_cselect_b32 s0, s12, s9
	s_cselect_b32 s1, s11, s8
	v_mov_b32_e32 v3, s1
	v_mov_b32_e32 v4, s0
	flat_load_dwordx2 v[3:4], v[3:4]
	s_waitcnt vmcnt(0) lgkmcnt(0)
	v_cmp_eq_f32_e32 vcc, 0, v1
	v_cmp_eq_f32_e64 s[0:1], 0, v2
	s_and_b64 s[10:11], vcc, s[0:1]
	s_mov_b64 s[0:1], -1
	s_and_saveexec_b64 s[8:9], s[10:11]
; %bb.1:
	v_cmp_neq_f32_e32 vcc, 1.0, v3
	v_cmp_neq_f32_e64 s[0:1], 0, v4
	s_or_b64 s[0:1], vcc, s[0:1]
	s_orn2_b64 s[0:1], s[0:1], exec
; %bb.2:
	s_or_b64 exec, exec, s[8:9]
	s_and_saveexec_b64 s[8:9], s[0:1]
	s_cbranch_execz .LBB76_21
; %bb.3:
	s_load_dwordx2 s[0:1], s[4:5], 0x0
	v_lshrrev_b32_e32 v5, 4, v0
	v_lshl_or_b32 v5, s6, 3, v5
	s_waitcnt lgkmcnt(0)
	v_cmp_gt_i32_e32 vcc, s0, v5
	s_and_b64 exec, exec, vcc
	s_cbranch_execz .LBB76_21
; %bb.4:
	s_load_dwordx8 s[8:15], s[4:5], 0x10
	v_ashrrev_i32_e32 v6, 31, v5
	v_lshlrev_b64 v[6:7], 2, v[5:6]
	v_and_b32_e32 v0, 15, v0
	s_cmp_lg_u32 s1, 0
	s_waitcnt lgkmcnt(0)
	v_mov_b32_e32 v8, s9
	v_add_co_u32_e32 v6, vcc, s8, v6
	v_addc_co_u32_e32 v7, vcc, v8, v7, vcc
	global_load_dwordx2 v[6:7], v[6:7], off
	s_waitcnt vmcnt(0)
	v_subrev_u32_e32 v6, s2, v6
	v_subrev_u32_e32 v17, s2, v7
	v_add_u32_e32 v6, v6, v0
	v_cmp_lt_i32_e64 s[0:1], v6, v17
	s_cbranch_scc0 .LBB76_10
; %bb.5:
	v_mov_b32_e32 v14, 0
	v_mov_b32_e32 v16, 0
	v_mov_b32_e32 v12, 0
	v_mov_b32_e32 v11, 0
	v_mov_b32_e32 v15, 0
	v_mov_b32_e32 v13, 0
	v_mov_b32_e32 v19, 0
	v_mov_b32_e32 v18, 0
	s_and_saveexec_b64 s[6:7], s[0:1]
	s_cbranch_execz .LBB76_9
; %bb.6:
	v_mov_b32_e32 v8, 0
	v_lshlrev_b32_e32 v7, 2, v6
	s_mov_b64 s[8:9], 0
	v_mov_b32_e32 v20, s11
	v_mov_b32_e32 v21, s13
	;; [unrolled: 1-line block ×12, first 2 shown]
.LBB76_7:                               ; =>This Inner Loop Header: Depth=1
	v_ashrrev_i32_e32 v10, 31, v9
	v_lshlrev_b64 v[23:24], 2, v[9:10]
	v_mov_b32_e32 v32, v8
	v_add_co_u32_e32 v23, vcc, s10, v23
	v_addc_co_u32_e32 v24, vcc, v20, v24, vcc
	global_load_dword v10, v[23:24], off
	v_lshlrev_b64 v[23:24], 3, v[7:8]
	v_add_u32_e32 v9, 16, v9
	v_add_co_u32_e32 v33, vcc, s12, v23
	v_addc_co_u32_e32 v34, vcc, v21, v24, vcc
	global_load_dwordx4 v[23:26], v[33:34], off
	global_load_dwordx4 v[27:30], v[33:34], off offset:16
	v_add_u32_e32 v7, 64, v7
	s_waitcnt vmcnt(2)
	v_subrev_u32_e32 v31, s2, v10
	v_lshlrev_b64 v[31:32], 3, v[31:32]
	v_add_co_u32_e32 v31, vcc, s14, v31
	v_addc_co_u32_e32 v32, vcc, v22, v32, vcc
	global_load_dwordx2 v[31:32], v[31:32], off
	v_cmp_ge_i32_e32 vcc, v9, v17
	s_or_b64 s[8:9], vcc, s[8:9]
	s_waitcnt vmcnt(0)
	v_fmac_f32_e32 v16, v23, v31
	v_fmac_f32_e32 v14, v24, v31
	v_fmac_f32_e32 v19, v25, v31
	v_fmac_f32_e32 v18, v26, v31
	v_fmac_f32_e32 v15, v27, v31
	v_fmac_f32_e32 v13, v28, v31
	v_fmac_f32_e32 v12, v29, v31
	v_fmac_f32_e32 v11, v30, v31
	v_fma_f32 v16, -v24, v32, v16
	v_fmac_f32_e32 v14, v23, v32
	v_fma_f32 v19, -v26, v32, v19
	v_fmac_f32_e32 v18, v25, v32
	;; [unrolled: 2-line block ×4, first 2 shown]
	s_andn2_b64 exec, exec, s[8:9]
	s_cbranch_execnz .LBB76_7
; %bb.8:
	s_or_b64 exec, exec, s[8:9]
.LBB76_9:
	s_or_b64 exec, exec, s[6:7]
	s_cbranch_execz .LBB76_11
	s_branch .LBB76_16
.LBB76_10:
                                        ; implicit-def: $vgpr14
                                        ; implicit-def: $vgpr16
                                        ; implicit-def: $vgpr12
                                        ; implicit-def: $vgpr11
                                        ; implicit-def: $vgpr15
                                        ; implicit-def: $vgpr13
                                        ; implicit-def: $vgpr19
                                        ; implicit-def: $vgpr18
.LBB76_11:
	v_mov_b32_e32 v14, 0
	v_mov_b32_e32 v16, 0
	;; [unrolled: 1-line block ×8, first 2 shown]
	s_and_saveexec_b64 s[6:7], s[0:1]
	s_cbranch_execz .LBB76_15
; %bb.12:
	v_mov_b32_e32 v9, 0
	v_lshlrev_b32_e32 v8, 2, v6
	s_mov_b64 s[0:1], 0
	v_mov_b32_e32 v10, s11
	v_mov_b32_e32 v20, s13
	;; [unrolled: 1-line block ×11, first 2 shown]
.LBB76_13:                              ; =>This Inner Loop Header: Depth=1
	v_ashrrev_i32_e32 v7, 31, v6
	v_lshlrev_b64 v[22:23], 2, v[6:7]
	v_mov_b32_e32 v31, v9
	v_add_co_u32_e32 v22, vcc, s10, v22
	v_addc_co_u32_e32 v23, vcc, v10, v23, vcc
	global_load_dword v7, v[22:23], off
	v_lshlrev_b64 v[22:23], 3, v[8:9]
	v_add_u32_e32 v6, 16, v6
	v_add_co_u32_e32 v32, vcc, s12, v22
	v_addc_co_u32_e32 v33, vcc, v20, v23, vcc
	global_load_dwordx4 v[22:25], v[32:33], off
	global_load_dwordx4 v[26:29], v[32:33], off offset:16
	v_add_u32_e32 v8, 64, v8
	s_waitcnt vmcnt(2)
	v_subrev_u32_e32 v30, s2, v7
	v_lshlrev_b64 v[30:31], 3, v[30:31]
	v_add_co_u32_e32 v30, vcc, s14, v30
	v_addc_co_u32_e32 v31, vcc, v21, v31, vcc
	global_load_dwordx2 v[30:31], v[30:31], off
	v_cmp_ge_i32_e32 vcc, v6, v17
	s_or_b64 s[0:1], vcc, s[0:1]
	s_waitcnt vmcnt(0)
	v_fmac_f32_e32 v16, v22, v30
	v_fmac_f32_e32 v14, v23, v30
	;; [unrolled: 1-line block ×8, first 2 shown]
	v_fma_f32 v16, -v23, v31, v16
	v_fmac_f32_e32 v14, v22, v31
	v_fma_f32 v19, -v25, v31, v19
	v_fmac_f32_e32 v18, v24, v31
	;; [unrolled: 2-line block ×4, first 2 shown]
	s_andn2_b64 exec, exec, s[0:1]
	s_cbranch_execnz .LBB76_13
; %bb.14:
	s_or_b64 exec, exec, s[0:1]
.LBB76_15:
	s_or_b64 exec, exec, s[6:7]
.LBB76_16:
	v_mov_b32_dpp v10, v19 row_shr:1 row_mask:0xf bank_mask:0xf
	v_mov_b32_dpp v8, v14 row_shr:1 row_mask:0xf bank_mask:0xf
	v_add_f32_e32 v10, v19, v10
	v_add_f32_e32 v8, v14, v8
	v_mov_b32_dpp v6, v16 row_shr:1 row_mask:0xf bank_mask:0xf
	v_mov_b32_dpp v14, v10 row_shr:2 row_mask:0xf bank_mask:0xf
	v_add_f32_e32 v10, v10, v14
	v_add_f32_e32 v6, v16, v6
	v_mov_b32_dpp v9, v8 row_shr:2 row_mask:0xf bank_mask:0xf
	v_mov_b32_dpp v14, v10 row_shr:4 row_mask:0xf bank_mask:0xe
	v_add_f32_e32 v14, v10, v14
	v_mov_b32_dpp v10, v18 row_shr:1 row_mask:0xf bank_mask:0xf
	v_add_f32_e32 v10, v18, v10
	;; [unrolled: 2-line block ×4, first 2 shown]
	v_add_f32_e32 v8, v8, v9
	v_mov_b32_dpp v7, v6 row_shr:4 row_mask:0xf bank_mask:0xe
	v_mov_b32_dpp v17, v10 row_shr:4 row_mask:0xf bank_mask:0xe
	v_add_f32_e32 v17, v10, v17
	v_mov_b32_dpp v10, v15 row_shr:1 row_mask:0xf bank_mask:0xf
	v_add_f32_e32 v10, v15, v10
	;; [unrolled: 2-line block ×4, first 2 shown]
	v_add_f32_e32 v8, v8, v9
	v_mov_b32_dpp v7, v6 row_shr:8 row_mask:0xf bank_mask:0xc
	v_mov_b32_dpp v15, v10 row_shr:4 row_mask:0xf bank_mask:0xe
	v_add_f32_e32 v15, v10, v15
	v_mov_b32_dpp v10, v13 row_shr:1 row_mask:0xf bank_mask:0xf
	v_add_f32_e32 v10, v13, v10
	v_mov_b32_dpp v9, v8 row_shr:8 row_mask:0xf bank_mask:0xc
	v_mov_b32_dpp v16, v14 row_shr:8 row_mask:0xf bank_mask:0xc
	;; [unrolled: 1-line block ×3, first 2 shown]
	v_add_f32_e32 v10, v10, v13
	v_mov_b32_dpp v18, v17 row_shr:8 row_mask:0xf bank_mask:0xc
	v_mov_b32_dpp v19, v15 row_shr:8 row_mask:0xf bank_mask:0xc
	;; [unrolled: 1-line block ×3, first 2 shown]
	v_add_f32_e32 v13, v10, v13
	v_mov_b32_dpp v10, v12 row_shr:1 row_mask:0xf bank_mask:0xf
	v_add_f32_e32 v10, v12, v10
	v_mov_b32_dpp v20, v13 row_shr:8 row_mask:0xf bank_mask:0xc
	v_cmp_eq_u32_e32 vcc, 15, v0
	v_mov_b32_dpp v12, v10 row_shr:2 row_mask:0xf bank_mask:0xf
	v_add_f32_e32 v10, v10, v12
	s_nop 1
	v_mov_b32_dpp v12, v10 row_shr:4 row_mask:0xf bank_mask:0xe
	v_add_f32_e32 v21, v10, v12
	v_mov_b32_dpp v10, v11 row_shr:1 row_mask:0xf bank_mask:0xf
	v_add_f32_e32 v10, v11, v10
	v_mov_b32_dpp v22, v21 row_shr:8 row_mask:0xf bank_mask:0xc
	s_nop 0
	v_mov_b32_dpp v11, v10 row_shr:2 row_mask:0xf bank_mask:0xf
	v_add_f32_e32 v10, v10, v11
	s_nop 1
	v_mov_b32_dpp v11, v10 row_shr:4 row_mask:0xf bank_mask:0xe
	v_add_f32_e32 v23, v10, v11
	s_nop 1
	v_mov_b32_dpp v24, v23 row_shr:8 row_mask:0xf bank_mask:0xc
	s_and_b64 exec, exec, vcc
	s_cbranch_execz .LBB76_21
; %bb.17:
	s_load_dwordx2 s[2:3], s[4:5], 0x38
	v_cmp_eq_f32_e32 vcc, 0, v3
	v_cmp_eq_f32_e64 s[0:1], 0, v4
	v_add_f32_e32 v10, v6, v7
	v_add_f32_e32 v12, v8, v9
	;; [unrolled: 1-line block ×8, first 2 shown]
	s_and_b64 s[0:1], vcc, s[0:1]
	s_and_saveexec_b64 s[4:5], s[0:1]
	s_xor_b64 s[0:1], exec, s[4:5]
	s_cbranch_execz .LBB76_19
; %bb.18:
	v_lshlrev_b32_e32 v3, 2, v5
	v_ashrrev_i32_e32 v4, 31, v3
	v_lshlrev_b64 v[3:4], 3, v[3:4]
	s_waitcnt lgkmcnt(0)
	v_mov_b32_e32 v5, s3
	v_add_co_u32_e32 v17, vcc, s2, v3
	v_addc_co_u32_e32 v18, vcc, v5, v4, vcc
	v_mul_f32_e64 v3, v9, -v2
	v_mul_f32_e32 v4, v1, v9
	v_mul_f32_e64 v13, v12, -v2
	v_mul_f32_e32 v14, v1, v12
	;; [unrolled: 2-line block ×3, first 2 shown]
	v_fmac_f32_e32 v3, v1, v6
	v_fmac_f32_e32 v4, v2, v6
	v_mul_f32_e64 v5, v7, -v2
	v_mul_f32_e32 v6, v1, v7
	v_fmac_f32_e32 v13, v1, v10
	v_fmac_f32_e32 v14, v2, v10
	;; [unrolled: 1-line block ×6, first 2 shown]
	global_store_dwordx4 v[17:18], v[13:16], off
	global_store_dwordx4 v[17:18], v[3:6], off offset:16
                                        ; implicit-def: $vgpr5
                                        ; implicit-def: $vgpr10
                                        ; implicit-def: $vgpr12
                                        ; implicit-def: $vgpr8
                                        ; implicit-def: $vgpr11
                                        ; implicit-def: $vgpr6
                                        ; implicit-def: $vgpr9
                                        ; implicit-def: $vgpr0
                                        ; implicit-def: $vgpr7
                                        ; implicit-def: $vgpr1_vgpr2
                                        ; implicit-def: $vgpr3_vgpr4
.LBB76_19:
	s_andn2_saveexec_b64 s[0:1], s[0:1]
	s_cbranch_execz .LBB76_21
; %bb.20:
	v_lshlrev_b32_e32 v13, 2, v5
	v_ashrrev_i32_e32 v14, 31, v13
	v_lshlrev_b64 v[13:14], 3, v[13:14]
	s_waitcnt lgkmcnt(0)
	v_mov_b32_e32 v5, s3
	v_add_co_u32_e32 v25, vcc, s2, v13
	v_addc_co_u32_e32 v26, vcc, v5, v14, vcc
	global_load_dwordx4 v[13:16], v[25:26], off
	global_load_dwordx4 v[17:20], v[25:26], off offset:16
	v_mul_f32_e64 v5, v12, -v2
	v_mul_f32_e32 v22, v1, v12
	v_mul_f32_e64 v12, v11, -v2
	v_mul_f32_e32 v24, v1, v11
	;; [unrolled: 2-line block ×4, first 2 shown]
	v_fmac_f32_e32 v5, v1, v10
	v_fmac_f32_e32 v22, v2, v10
	;; [unrolled: 1-line block ×8, first 2 shown]
	s_waitcnt vmcnt(1)
	v_fmac_f32_e32 v5, v3, v13
	v_fmac_f32_e32 v22, v4, v13
	;; [unrolled: 1-line block ×4, first 2 shown]
	s_waitcnt vmcnt(0)
	v_fmac_f32_e32 v27, v3, v17
	v_fmac_f32_e32 v9, v4, v17
	;; [unrolled: 1-line block ×4, first 2 shown]
	v_fma_f32 v21, -v4, v14, v5
	v_fmac_f32_e32 v22, v3, v14
	v_fma_f32 v23, -v4, v16, v12
	v_fmac_f32_e32 v24, v3, v16
	;; [unrolled: 2-line block ×4, first 2 shown]
	global_store_dwordx4 v[25:26], v[21:24], off
	global_store_dwordx4 v[25:26], v[8:11], off offset:16
.LBB76_21:
	s_endpgm
	.section	.rodata,"a",@progbits
	.p2align	6, 0x0
	.amdhsa_kernel _ZN9rocsparseL19gebsrmvn_4xn_kernelILj128ELj1ELj16E21rocsparse_complex_numIfEEEvi20rocsparse_direction_NS_24const_host_device_scalarIT2_EEPKiS8_PKS5_SA_S6_PS5_21rocsparse_index_base_b
		.amdhsa_group_segment_fixed_size 0
		.amdhsa_private_segment_fixed_size 0
		.amdhsa_kernarg_size 72
		.amdhsa_user_sgpr_count 6
		.amdhsa_user_sgpr_private_segment_buffer 1
		.amdhsa_user_sgpr_dispatch_ptr 0
		.amdhsa_user_sgpr_queue_ptr 0
		.amdhsa_user_sgpr_kernarg_segment_ptr 1
		.amdhsa_user_sgpr_dispatch_id 0
		.amdhsa_user_sgpr_flat_scratch_init 0
		.amdhsa_user_sgpr_private_segment_size 0
		.amdhsa_uses_dynamic_stack 0
		.amdhsa_system_sgpr_private_segment_wavefront_offset 0
		.amdhsa_system_sgpr_workgroup_id_x 1
		.amdhsa_system_sgpr_workgroup_id_y 0
		.amdhsa_system_sgpr_workgroup_id_z 0
		.amdhsa_system_sgpr_workgroup_info 0
		.amdhsa_system_vgpr_workitem_id 0
		.amdhsa_next_free_vgpr 35
		.amdhsa_next_free_sgpr 16
		.amdhsa_reserve_vcc 1
		.amdhsa_reserve_flat_scratch 0
		.amdhsa_float_round_mode_32 0
		.amdhsa_float_round_mode_16_64 0
		.amdhsa_float_denorm_mode_32 3
		.amdhsa_float_denorm_mode_16_64 3
		.amdhsa_dx10_clamp 1
		.amdhsa_ieee_mode 1
		.amdhsa_fp16_overflow 0
		.amdhsa_exception_fp_ieee_invalid_op 0
		.amdhsa_exception_fp_denorm_src 0
		.amdhsa_exception_fp_ieee_div_zero 0
		.amdhsa_exception_fp_ieee_overflow 0
		.amdhsa_exception_fp_ieee_underflow 0
		.amdhsa_exception_fp_ieee_inexact 0
		.amdhsa_exception_int_div_zero 0
	.end_amdhsa_kernel
	.section	.text._ZN9rocsparseL19gebsrmvn_4xn_kernelILj128ELj1ELj16E21rocsparse_complex_numIfEEEvi20rocsparse_direction_NS_24const_host_device_scalarIT2_EEPKiS8_PKS5_SA_S6_PS5_21rocsparse_index_base_b,"axG",@progbits,_ZN9rocsparseL19gebsrmvn_4xn_kernelILj128ELj1ELj16E21rocsparse_complex_numIfEEEvi20rocsparse_direction_NS_24const_host_device_scalarIT2_EEPKiS8_PKS5_SA_S6_PS5_21rocsparse_index_base_b,comdat
.Lfunc_end76:
	.size	_ZN9rocsparseL19gebsrmvn_4xn_kernelILj128ELj1ELj16E21rocsparse_complex_numIfEEEvi20rocsparse_direction_NS_24const_host_device_scalarIT2_EEPKiS8_PKS5_SA_S6_PS5_21rocsparse_index_base_b, .Lfunc_end76-_ZN9rocsparseL19gebsrmvn_4xn_kernelILj128ELj1ELj16E21rocsparse_complex_numIfEEEvi20rocsparse_direction_NS_24const_host_device_scalarIT2_EEPKiS8_PKS5_SA_S6_PS5_21rocsparse_index_base_b
                                        ; -- End function
	.set _ZN9rocsparseL19gebsrmvn_4xn_kernelILj128ELj1ELj16E21rocsparse_complex_numIfEEEvi20rocsparse_direction_NS_24const_host_device_scalarIT2_EEPKiS8_PKS5_SA_S6_PS5_21rocsparse_index_base_b.num_vgpr, 35
	.set _ZN9rocsparseL19gebsrmvn_4xn_kernelILj128ELj1ELj16E21rocsparse_complex_numIfEEEvi20rocsparse_direction_NS_24const_host_device_scalarIT2_EEPKiS8_PKS5_SA_S6_PS5_21rocsparse_index_base_b.num_agpr, 0
	.set _ZN9rocsparseL19gebsrmvn_4xn_kernelILj128ELj1ELj16E21rocsparse_complex_numIfEEEvi20rocsparse_direction_NS_24const_host_device_scalarIT2_EEPKiS8_PKS5_SA_S6_PS5_21rocsparse_index_base_b.numbered_sgpr, 16
	.set _ZN9rocsparseL19gebsrmvn_4xn_kernelILj128ELj1ELj16E21rocsparse_complex_numIfEEEvi20rocsparse_direction_NS_24const_host_device_scalarIT2_EEPKiS8_PKS5_SA_S6_PS5_21rocsparse_index_base_b.num_named_barrier, 0
	.set _ZN9rocsparseL19gebsrmvn_4xn_kernelILj128ELj1ELj16E21rocsparse_complex_numIfEEEvi20rocsparse_direction_NS_24const_host_device_scalarIT2_EEPKiS8_PKS5_SA_S6_PS5_21rocsparse_index_base_b.private_seg_size, 0
	.set _ZN9rocsparseL19gebsrmvn_4xn_kernelILj128ELj1ELj16E21rocsparse_complex_numIfEEEvi20rocsparse_direction_NS_24const_host_device_scalarIT2_EEPKiS8_PKS5_SA_S6_PS5_21rocsparse_index_base_b.uses_vcc, 1
	.set _ZN9rocsparseL19gebsrmvn_4xn_kernelILj128ELj1ELj16E21rocsparse_complex_numIfEEEvi20rocsparse_direction_NS_24const_host_device_scalarIT2_EEPKiS8_PKS5_SA_S6_PS5_21rocsparse_index_base_b.uses_flat_scratch, 0
	.set _ZN9rocsparseL19gebsrmvn_4xn_kernelILj128ELj1ELj16E21rocsparse_complex_numIfEEEvi20rocsparse_direction_NS_24const_host_device_scalarIT2_EEPKiS8_PKS5_SA_S6_PS5_21rocsparse_index_base_b.has_dyn_sized_stack, 0
	.set _ZN9rocsparseL19gebsrmvn_4xn_kernelILj128ELj1ELj16E21rocsparse_complex_numIfEEEvi20rocsparse_direction_NS_24const_host_device_scalarIT2_EEPKiS8_PKS5_SA_S6_PS5_21rocsparse_index_base_b.has_recursion, 0
	.set _ZN9rocsparseL19gebsrmvn_4xn_kernelILj128ELj1ELj16E21rocsparse_complex_numIfEEEvi20rocsparse_direction_NS_24const_host_device_scalarIT2_EEPKiS8_PKS5_SA_S6_PS5_21rocsparse_index_base_b.has_indirect_call, 0
	.section	.AMDGPU.csdata,"",@progbits
; Kernel info:
; codeLenInByte = 1720
; TotalNumSgprs: 20
; NumVgprs: 35
; ScratchSize: 0
; MemoryBound: 0
; FloatMode: 240
; IeeeMode: 1
; LDSByteSize: 0 bytes/workgroup (compile time only)
; SGPRBlocks: 2
; VGPRBlocks: 8
; NumSGPRsForWavesPerEU: 20
; NumVGPRsForWavesPerEU: 35
; Occupancy: 7
; WaveLimiterHint : 1
; COMPUTE_PGM_RSRC2:SCRATCH_EN: 0
; COMPUTE_PGM_RSRC2:USER_SGPR: 6
; COMPUTE_PGM_RSRC2:TRAP_HANDLER: 0
; COMPUTE_PGM_RSRC2:TGID_X_EN: 1
; COMPUTE_PGM_RSRC2:TGID_Y_EN: 0
; COMPUTE_PGM_RSRC2:TGID_Z_EN: 0
; COMPUTE_PGM_RSRC2:TIDIG_COMP_CNT: 0
	.section	.text._ZN9rocsparseL19gebsrmvn_4xn_kernelILj128ELj1ELj32E21rocsparse_complex_numIfEEEvi20rocsparse_direction_NS_24const_host_device_scalarIT2_EEPKiS8_PKS5_SA_S6_PS5_21rocsparse_index_base_b,"axG",@progbits,_ZN9rocsparseL19gebsrmvn_4xn_kernelILj128ELj1ELj32E21rocsparse_complex_numIfEEEvi20rocsparse_direction_NS_24const_host_device_scalarIT2_EEPKiS8_PKS5_SA_S6_PS5_21rocsparse_index_base_b,comdat
	.globl	_ZN9rocsparseL19gebsrmvn_4xn_kernelILj128ELj1ELj32E21rocsparse_complex_numIfEEEvi20rocsparse_direction_NS_24const_host_device_scalarIT2_EEPKiS8_PKS5_SA_S6_PS5_21rocsparse_index_base_b ; -- Begin function _ZN9rocsparseL19gebsrmvn_4xn_kernelILj128ELj1ELj32E21rocsparse_complex_numIfEEEvi20rocsparse_direction_NS_24const_host_device_scalarIT2_EEPKiS8_PKS5_SA_S6_PS5_21rocsparse_index_base_b
	.p2align	8
	.type	_ZN9rocsparseL19gebsrmvn_4xn_kernelILj128ELj1ELj32E21rocsparse_complex_numIfEEEvi20rocsparse_direction_NS_24const_host_device_scalarIT2_EEPKiS8_PKS5_SA_S6_PS5_21rocsparse_index_base_b,@function
_ZN9rocsparseL19gebsrmvn_4xn_kernelILj128ELj1ELj32E21rocsparse_complex_numIfEEEvi20rocsparse_direction_NS_24const_host_device_scalarIT2_EEPKiS8_PKS5_SA_S6_PS5_21rocsparse_index_base_b: ; @_ZN9rocsparseL19gebsrmvn_4xn_kernelILj128ELj1ELj32E21rocsparse_complex_numIfEEEvi20rocsparse_direction_NS_24const_host_device_scalarIT2_EEPKiS8_PKS5_SA_S6_PS5_21rocsparse_index_base_b
; %bb.0:
	s_load_dwordx2 s[0:1], s[4:5], 0x8
	s_load_dwordx2 s[8:9], s[4:5], 0x30
	s_load_dwordx2 s[2:3], s[4:5], 0x40
	s_add_u32 s7, s4, 8
	s_addc_u32 s10, s5, 0
	s_add_u32 s11, s4, 48
	s_addc_u32 s12, s5, 0
	s_waitcnt lgkmcnt(0)
	s_bitcmp1_b32 s3, 0
	s_cselect_b32 s1, s10, s1
	s_cselect_b32 s0, s7, s0
	v_mov_b32_e32 v1, s0
	v_mov_b32_e32 v2, s1
	flat_load_dwordx2 v[1:2], v[1:2]
	s_cselect_b32 s0, s12, s9
	s_cselect_b32 s1, s11, s8
	v_mov_b32_e32 v3, s1
	v_mov_b32_e32 v4, s0
	flat_load_dwordx2 v[3:4], v[3:4]
	s_waitcnt vmcnt(0) lgkmcnt(0)
	v_cmp_eq_f32_e32 vcc, 0, v1
	v_cmp_eq_f32_e64 s[0:1], 0, v2
	s_and_b64 s[10:11], vcc, s[0:1]
	s_mov_b64 s[0:1], -1
	s_and_saveexec_b64 s[8:9], s[10:11]
; %bb.1:
	v_cmp_neq_f32_e32 vcc, 1.0, v3
	v_cmp_neq_f32_e64 s[0:1], 0, v4
	s_or_b64 s[0:1], vcc, s[0:1]
	s_orn2_b64 s[0:1], s[0:1], exec
; %bb.2:
	s_or_b64 exec, exec, s[8:9]
	s_and_saveexec_b64 s[8:9], s[0:1]
	s_cbranch_execz .LBB77_21
; %bb.3:
	s_load_dwordx2 s[0:1], s[4:5], 0x0
	v_lshrrev_b32_e32 v5, 5, v0
	v_lshl_or_b32 v5, s6, 2, v5
	s_waitcnt lgkmcnt(0)
	v_cmp_gt_i32_e32 vcc, s0, v5
	s_and_b64 exec, exec, vcc
	s_cbranch_execz .LBB77_21
; %bb.4:
	s_load_dwordx8 s[8:15], s[4:5], 0x10
	v_ashrrev_i32_e32 v6, 31, v5
	v_lshlrev_b64 v[6:7], 2, v[5:6]
	v_and_b32_e32 v0, 31, v0
	s_cmp_lg_u32 s1, 0
	s_waitcnt lgkmcnt(0)
	v_mov_b32_e32 v8, s9
	v_add_co_u32_e32 v6, vcc, s8, v6
	v_addc_co_u32_e32 v7, vcc, v8, v7, vcc
	global_load_dwordx2 v[6:7], v[6:7], off
	s_waitcnt vmcnt(0)
	v_subrev_u32_e32 v6, s2, v6
	v_subrev_u32_e32 v18, s2, v7
	v_add_u32_e32 v6, v6, v0
	v_cmp_lt_i32_e64 s[0:1], v6, v18
	s_cbranch_scc0 .LBB77_10
; %bb.5:
	v_mov_b32_e32 v15, 0
	v_mov_b32_e32 v16, 0
	;; [unrolled: 1-line block ×8, first 2 shown]
	s_and_saveexec_b64 s[6:7], s[0:1]
	s_cbranch_execz .LBB77_9
; %bb.6:
	v_mov_b32_e32 v8, 0
	v_lshlrev_b32_e32 v7, 2, v6
	s_mov_b64 s[8:9], 0
	v_mov_b32_e32 v20, s11
	v_mov_b32_e32 v21, s13
	;; [unrolled: 1-line block ×12, first 2 shown]
.LBB77_7:                               ; =>This Inner Loop Header: Depth=1
	v_ashrrev_i32_e32 v10, 31, v9
	v_lshlrev_b64 v[23:24], 2, v[9:10]
	v_mov_b32_e32 v32, v8
	v_add_co_u32_e32 v23, vcc, s10, v23
	v_addc_co_u32_e32 v24, vcc, v20, v24, vcc
	global_load_dword v10, v[23:24], off
	v_lshlrev_b64 v[23:24], 3, v[7:8]
	v_add_u32_e32 v9, 32, v9
	v_add_co_u32_e32 v33, vcc, s12, v23
	v_addc_co_u32_e32 v34, vcc, v21, v24, vcc
	global_load_dwordx4 v[23:26], v[33:34], off
	global_load_dwordx4 v[27:30], v[33:34], off offset:16
	v_add_u32_e32 v7, 0x80, v7
	s_waitcnt vmcnt(2)
	v_subrev_u32_e32 v31, s2, v10
	v_lshlrev_b64 v[31:32], 3, v[31:32]
	v_add_co_u32_e32 v31, vcc, s14, v31
	v_addc_co_u32_e32 v32, vcc, v22, v32, vcc
	global_load_dwordx2 v[31:32], v[31:32], off
	v_cmp_ge_i32_e32 vcc, v9, v18
	s_or_b64 s[8:9], vcc, s[8:9]
	s_waitcnt vmcnt(0)
	v_fmac_f32_e32 v16, v23, v31
	v_fmac_f32_e32 v15, v24, v31
	;; [unrolled: 1-line block ×8, first 2 shown]
	v_fma_f32 v16, -v24, v32, v16
	v_fmac_f32_e32 v15, v23, v32
	v_fma_f32 v19, -v26, v32, v19
	v_fmac_f32_e32 v17, v25, v32
	v_fma_f32 v14, -v28, v32, v14
	v_fmac_f32_e32 v13, v27, v32
	v_fma_f32 v12, -v30, v32, v12
	v_fmac_f32_e32 v11, v29, v32
	s_andn2_b64 exec, exec, s[8:9]
	s_cbranch_execnz .LBB77_7
; %bb.8:
	s_or_b64 exec, exec, s[8:9]
.LBB77_9:
	s_or_b64 exec, exec, s[6:7]
	s_cbranch_execz .LBB77_11
	s_branch .LBB77_16
.LBB77_10:
                                        ; implicit-def: $vgpr15
                                        ; implicit-def: $vgpr16
                                        ; implicit-def: $vgpr12
                                        ; implicit-def: $vgpr11
                                        ; implicit-def: $vgpr14
                                        ; implicit-def: $vgpr13
                                        ; implicit-def: $vgpr19
                                        ; implicit-def: $vgpr17
.LBB77_11:
	v_mov_b32_e32 v15, 0
	v_mov_b32_e32 v16, 0
	;; [unrolled: 1-line block ×8, first 2 shown]
	s_and_saveexec_b64 s[6:7], s[0:1]
	s_cbranch_execz .LBB77_15
; %bb.12:
	v_mov_b32_e32 v9, 0
	v_lshlrev_b32_e32 v8, 2, v6
	s_mov_b64 s[0:1], 0
	v_mov_b32_e32 v10, s11
	v_mov_b32_e32 v20, s13
	v_mov_b32_e32 v21, s15
	v_mov_b32_e32 v15, v9
	v_mov_b32_e32 v16, v9
	v_mov_b32_e32 v12, v9
	v_mov_b32_e32 v11, v9
	v_mov_b32_e32 v14, v9
	v_mov_b32_e32 v13, v9
	v_mov_b32_e32 v19, v9
	v_mov_b32_e32 v17, v9
.LBB77_13:                              ; =>This Inner Loop Header: Depth=1
	v_ashrrev_i32_e32 v7, 31, v6
	v_lshlrev_b64 v[22:23], 2, v[6:7]
	v_mov_b32_e32 v31, v9
	v_add_co_u32_e32 v22, vcc, s10, v22
	v_addc_co_u32_e32 v23, vcc, v10, v23, vcc
	global_load_dword v7, v[22:23], off
	v_lshlrev_b64 v[22:23], 3, v[8:9]
	v_add_u32_e32 v6, 32, v6
	v_add_co_u32_e32 v32, vcc, s12, v22
	v_addc_co_u32_e32 v33, vcc, v20, v23, vcc
	global_load_dwordx4 v[22:25], v[32:33], off
	global_load_dwordx4 v[26:29], v[32:33], off offset:16
	v_add_u32_e32 v8, 0x80, v8
	s_waitcnt vmcnt(2)
	v_subrev_u32_e32 v30, s2, v7
	v_lshlrev_b64 v[30:31], 3, v[30:31]
	v_add_co_u32_e32 v30, vcc, s14, v30
	v_addc_co_u32_e32 v31, vcc, v21, v31, vcc
	global_load_dwordx2 v[30:31], v[30:31], off
	v_cmp_ge_i32_e32 vcc, v6, v18
	s_or_b64 s[0:1], vcc, s[0:1]
	s_waitcnt vmcnt(0)
	v_fmac_f32_e32 v16, v22, v30
	v_fmac_f32_e32 v15, v23, v30
	;; [unrolled: 1-line block ×8, first 2 shown]
	v_fma_f32 v16, -v23, v31, v16
	v_fmac_f32_e32 v15, v22, v31
	v_fma_f32 v19, -v25, v31, v19
	v_fmac_f32_e32 v17, v24, v31
	;; [unrolled: 2-line block ×4, first 2 shown]
	s_andn2_b64 exec, exec, s[0:1]
	s_cbranch_execnz .LBB77_13
; %bb.14:
	s_or_b64 exec, exec, s[0:1]
.LBB77_15:
	s_or_b64 exec, exec, s[6:7]
.LBB77_16:
	v_mov_b32_dpp v10, v19 row_shr:1 row_mask:0xf bank_mask:0xf
	v_mov_b32_dpp v8, v15 row_shr:1 row_mask:0xf bank_mask:0xf
	v_add_f32_e32 v10, v19, v10
	v_add_f32_e32 v8, v15, v8
	v_mov_b32_dpp v6, v16 row_shr:1 row_mask:0xf bank_mask:0xf
	v_mov_b32_dpp v15, v10 row_shr:2 row_mask:0xf bank_mask:0xf
	v_add_f32_e32 v10, v10, v15
	v_add_f32_e32 v6, v16, v6
	v_mov_b32_dpp v9, v8 row_shr:2 row_mask:0xf bank_mask:0xf
	v_mov_b32_dpp v15, v10 row_shr:4 row_mask:0xf bank_mask:0xe
	v_add_f32_e32 v10, v10, v15
	v_mov_b32_dpp v7, v6 row_shr:2 row_mask:0xf bank_mask:0xf
	v_add_f32_e32 v6, v6, v7
	;; [unrolled: 2-line block ×4, first 2 shown]
	v_add_f32_e32 v8, v8, v9
	v_mov_b32_dpp v7, v6 row_shr:4 row_mask:0xf bank_mask:0xe
	v_mov_b32_dpp v17, v10 row_shr:2 row_mask:0xf bank_mask:0xf
	v_add_f32_e32 v10, v10, v17
	v_mov_b32_dpp v9, v8 row_shr:4 row_mask:0xf bank_mask:0xe
	v_add_f32_e32 v6, v6, v7
	;; [unrolled: 2-line block ×3, first 2 shown]
	v_add_f32_e32 v8, v8, v9
	v_mov_b32_dpp v7, v6 row_shr:8 row_mask:0xf bank_mask:0xc
	v_mov_b32_dpp v17, v10 row_shr:8 row_mask:0xf bank_mask:0xc
	v_add_f32_e32 v17, v10, v17
	v_mov_b32_dpp v10, v14 row_shr:1 row_mask:0xf bank_mask:0xf
	v_add_f32_e32 v10, v14, v10
	;; [unrolled: 2-line block ×4, first 2 shown]
	v_add_f32_e32 v8, v8, v9
	v_mov_b32_dpp v7, v6 row_bcast:15 row_mask:0xa bank_mask:0xf
	v_mov_b32_dpp v14, v10 row_shr:4 row_mask:0xf bank_mask:0xe
	v_add_f32_e32 v10, v10, v14
	v_mov_b32_dpp v9, v8 row_bcast:15 row_mask:0xa bank_mask:0xf
	v_mov_b32_dpp v16, v15 row_bcast:15 row_mask:0xa bank_mask:0xf
	v_mov_b32_dpp v14, v10 row_shr:8 row_mask:0xf bank_mask:0xc
	v_add_f32_e32 v14, v10, v14
	v_mov_b32_dpp v10, v13 row_shr:1 row_mask:0xf bank_mask:0xf
	v_add_f32_e32 v10, v13, v10
	v_mov_b32_dpp v18, v17 row_bcast:15 row_mask:0xa bank_mask:0xf
	v_mov_b32_dpp v19, v14 row_bcast:15 row_mask:0xa bank_mask:0xf
	v_mov_b32_dpp v13, v10 row_shr:2 row_mask:0xf bank_mask:0xf
	v_add_f32_e32 v10, v10, v13
	v_cmp_eq_u32_e32 vcc, 31, v0
	s_nop 0
	v_mov_b32_dpp v13, v10 row_shr:4 row_mask:0xf bank_mask:0xe
	v_add_f32_e32 v10, v10, v13
	s_nop 1
	v_mov_b32_dpp v13, v10 row_shr:8 row_mask:0xf bank_mask:0xc
	v_add_f32_e32 v13, v10, v13
	v_mov_b32_dpp v10, v12 row_shr:1 row_mask:0xf bank_mask:0xf
	v_add_f32_e32 v10, v12, v10
	v_mov_b32_dpp v20, v13 row_bcast:15 row_mask:0xa bank_mask:0xf
	s_nop 0
	v_mov_b32_dpp v12, v10 row_shr:2 row_mask:0xf bank_mask:0xf
	v_add_f32_e32 v10, v10, v12
	s_nop 1
	v_mov_b32_dpp v12, v10 row_shr:4 row_mask:0xf bank_mask:0xe
	v_add_f32_e32 v10, v10, v12
	s_nop 1
	v_mov_b32_dpp v12, v10 row_shr:8 row_mask:0xf bank_mask:0xc
	v_add_f32_e32 v21, v10, v12
	v_mov_b32_dpp v10, v11 row_shr:1 row_mask:0xf bank_mask:0xf
	v_add_f32_e32 v10, v11, v10
	v_mov_b32_dpp v22, v21 row_bcast:15 row_mask:0xa bank_mask:0xf
	s_nop 0
	v_mov_b32_dpp v11, v10 row_shr:2 row_mask:0xf bank_mask:0xf
	v_add_f32_e32 v10, v10, v11
	s_nop 1
	v_mov_b32_dpp v11, v10 row_shr:4 row_mask:0xf bank_mask:0xe
	v_add_f32_e32 v10, v10, v11
	;; [unrolled: 3-line block ×3, first 2 shown]
	s_nop 1
	v_mov_b32_dpp v24, v23 row_bcast:15 row_mask:0xa bank_mask:0xf
	s_and_b64 exec, exec, vcc
	s_cbranch_execz .LBB77_21
; %bb.17:
	s_load_dwordx2 s[2:3], s[4:5], 0x38
	v_cmp_eq_f32_e32 vcc, 0, v3
	v_cmp_eq_f32_e64 s[0:1], 0, v4
	v_add_f32_e32 v10, v6, v7
	v_add_f32_e32 v12, v8, v9
	;; [unrolled: 1-line block ×8, first 2 shown]
	s_and_b64 s[0:1], vcc, s[0:1]
	s_and_saveexec_b64 s[4:5], s[0:1]
	s_xor_b64 s[0:1], exec, s[4:5]
	s_cbranch_execz .LBB77_19
; %bb.18:
	v_lshlrev_b32_e32 v3, 2, v5
	v_ashrrev_i32_e32 v4, 31, v3
	v_lshlrev_b64 v[3:4], 3, v[3:4]
	s_waitcnt lgkmcnt(0)
	v_mov_b32_e32 v5, s3
	v_add_co_u32_e32 v17, vcc, s2, v3
	v_addc_co_u32_e32 v18, vcc, v5, v4, vcc
	v_mul_f32_e64 v3, v9, -v2
	v_mul_f32_e32 v4, v1, v9
	v_mul_f32_e64 v13, v12, -v2
	v_mul_f32_e32 v14, v1, v12
	;; [unrolled: 2-line block ×3, first 2 shown]
	v_fmac_f32_e32 v3, v1, v6
	v_fmac_f32_e32 v4, v2, v6
	v_mul_f32_e64 v5, v7, -v2
	v_mul_f32_e32 v6, v1, v7
	v_fmac_f32_e32 v13, v1, v10
	v_fmac_f32_e32 v14, v2, v10
	;; [unrolled: 1-line block ×6, first 2 shown]
	global_store_dwordx4 v[17:18], v[13:16], off
	global_store_dwordx4 v[17:18], v[3:6], off offset:16
                                        ; implicit-def: $vgpr5
                                        ; implicit-def: $vgpr10
                                        ; implicit-def: $vgpr12
                                        ; implicit-def: $vgpr8
                                        ; implicit-def: $vgpr11
                                        ; implicit-def: $vgpr6
                                        ; implicit-def: $vgpr9
                                        ; implicit-def: $vgpr0
                                        ; implicit-def: $vgpr7
                                        ; implicit-def: $vgpr1_vgpr2
                                        ; implicit-def: $vgpr3_vgpr4
.LBB77_19:
	s_andn2_saveexec_b64 s[0:1], s[0:1]
	s_cbranch_execz .LBB77_21
; %bb.20:
	v_lshlrev_b32_e32 v13, 2, v5
	v_ashrrev_i32_e32 v14, 31, v13
	v_lshlrev_b64 v[13:14], 3, v[13:14]
	s_waitcnt lgkmcnt(0)
	v_mov_b32_e32 v5, s3
	v_add_co_u32_e32 v25, vcc, s2, v13
	v_addc_co_u32_e32 v26, vcc, v5, v14, vcc
	global_load_dwordx4 v[13:16], v[25:26], off
	global_load_dwordx4 v[17:20], v[25:26], off offset:16
	v_mul_f32_e64 v5, v12, -v2
	v_mul_f32_e32 v22, v1, v12
	v_mul_f32_e64 v12, v11, -v2
	v_mul_f32_e32 v24, v1, v11
	;; [unrolled: 2-line block ×4, first 2 shown]
	v_fmac_f32_e32 v5, v1, v10
	v_fmac_f32_e32 v22, v2, v10
	;; [unrolled: 1-line block ×8, first 2 shown]
	s_waitcnt vmcnt(1)
	v_fmac_f32_e32 v5, v3, v13
	v_fmac_f32_e32 v22, v4, v13
	;; [unrolled: 1-line block ×4, first 2 shown]
	s_waitcnt vmcnt(0)
	v_fmac_f32_e32 v27, v3, v17
	v_fmac_f32_e32 v9, v4, v17
	;; [unrolled: 1-line block ×4, first 2 shown]
	v_fma_f32 v21, -v4, v14, v5
	v_fmac_f32_e32 v22, v3, v14
	v_fma_f32 v23, -v4, v16, v12
	v_fmac_f32_e32 v24, v3, v16
	;; [unrolled: 2-line block ×4, first 2 shown]
	global_store_dwordx4 v[25:26], v[21:24], off
	global_store_dwordx4 v[25:26], v[8:11], off offset:16
.LBB77_21:
	s_endpgm
	.section	.rodata,"a",@progbits
	.p2align	6, 0x0
	.amdhsa_kernel _ZN9rocsparseL19gebsrmvn_4xn_kernelILj128ELj1ELj32E21rocsparse_complex_numIfEEEvi20rocsparse_direction_NS_24const_host_device_scalarIT2_EEPKiS8_PKS5_SA_S6_PS5_21rocsparse_index_base_b
		.amdhsa_group_segment_fixed_size 0
		.amdhsa_private_segment_fixed_size 0
		.amdhsa_kernarg_size 72
		.amdhsa_user_sgpr_count 6
		.amdhsa_user_sgpr_private_segment_buffer 1
		.amdhsa_user_sgpr_dispatch_ptr 0
		.amdhsa_user_sgpr_queue_ptr 0
		.amdhsa_user_sgpr_kernarg_segment_ptr 1
		.amdhsa_user_sgpr_dispatch_id 0
		.amdhsa_user_sgpr_flat_scratch_init 0
		.amdhsa_user_sgpr_private_segment_size 0
		.amdhsa_uses_dynamic_stack 0
		.amdhsa_system_sgpr_private_segment_wavefront_offset 0
		.amdhsa_system_sgpr_workgroup_id_x 1
		.amdhsa_system_sgpr_workgroup_id_y 0
		.amdhsa_system_sgpr_workgroup_id_z 0
		.amdhsa_system_sgpr_workgroup_info 0
		.amdhsa_system_vgpr_workitem_id 0
		.amdhsa_next_free_vgpr 35
		.amdhsa_next_free_sgpr 16
		.amdhsa_reserve_vcc 1
		.amdhsa_reserve_flat_scratch 0
		.amdhsa_float_round_mode_32 0
		.amdhsa_float_round_mode_16_64 0
		.amdhsa_float_denorm_mode_32 3
		.amdhsa_float_denorm_mode_16_64 3
		.amdhsa_dx10_clamp 1
		.amdhsa_ieee_mode 1
		.amdhsa_fp16_overflow 0
		.amdhsa_exception_fp_ieee_invalid_op 0
		.amdhsa_exception_fp_denorm_src 0
		.amdhsa_exception_fp_ieee_div_zero 0
		.amdhsa_exception_fp_ieee_overflow 0
		.amdhsa_exception_fp_ieee_underflow 0
		.amdhsa_exception_fp_ieee_inexact 0
		.amdhsa_exception_int_div_zero 0
	.end_amdhsa_kernel
	.section	.text._ZN9rocsparseL19gebsrmvn_4xn_kernelILj128ELj1ELj32E21rocsparse_complex_numIfEEEvi20rocsparse_direction_NS_24const_host_device_scalarIT2_EEPKiS8_PKS5_SA_S6_PS5_21rocsparse_index_base_b,"axG",@progbits,_ZN9rocsparseL19gebsrmvn_4xn_kernelILj128ELj1ELj32E21rocsparse_complex_numIfEEEvi20rocsparse_direction_NS_24const_host_device_scalarIT2_EEPKiS8_PKS5_SA_S6_PS5_21rocsparse_index_base_b,comdat
.Lfunc_end77:
	.size	_ZN9rocsparseL19gebsrmvn_4xn_kernelILj128ELj1ELj32E21rocsparse_complex_numIfEEEvi20rocsparse_direction_NS_24const_host_device_scalarIT2_EEPKiS8_PKS5_SA_S6_PS5_21rocsparse_index_base_b, .Lfunc_end77-_ZN9rocsparseL19gebsrmvn_4xn_kernelILj128ELj1ELj32E21rocsparse_complex_numIfEEEvi20rocsparse_direction_NS_24const_host_device_scalarIT2_EEPKiS8_PKS5_SA_S6_PS5_21rocsparse_index_base_b
                                        ; -- End function
	.set _ZN9rocsparseL19gebsrmvn_4xn_kernelILj128ELj1ELj32E21rocsparse_complex_numIfEEEvi20rocsparse_direction_NS_24const_host_device_scalarIT2_EEPKiS8_PKS5_SA_S6_PS5_21rocsparse_index_base_b.num_vgpr, 35
	.set _ZN9rocsparseL19gebsrmvn_4xn_kernelILj128ELj1ELj32E21rocsparse_complex_numIfEEEvi20rocsparse_direction_NS_24const_host_device_scalarIT2_EEPKiS8_PKS5_SA_S6_PS5_21rocsparse_index_base_b.num_agpr, 0
	.set _ZN9rocsparseL19gebsrmvn_4xn_kernelILj128ELj1ELj32E21rocsparse_complex_numIfEEEvi20rocsparse_direction_NS_24const_host_device_scalarIT2_EEPKiS8_PKS5_SA_S6_PS5_21rocsparse_index_base_b.numbered_sgpr, 16
	.set _ZN9rocsparseL19gebsrmvn_4xn_kernelILj128ELj1ELj32E21rocsparse_complex_numIfEEEvi20rocsparse_direction_NS_24const_host_device_scalarIT2_EEPKiS8_PKS5_SA_S6_PS5_21rocsparse_index_base_b.num_named_barrier, 0
	.set _ZN9rocsparseL19gebsrmvn_4xn_kernelILj128ELj1ELj32E21rocsparse_complex_numIfEEEvi20rocsparse_direction_NS_24const_host_device_scalarIT2_EEPKiS8_PKS5_SA_S6_PS5_21rocsparse_index_base_b.private_seg_size, 0
	.set _ZN9rocsparseL19gebsrmvn_4xn_kernelILj128ELj1ELj32E21rocsparse_complex_numIfEEEvi20rocsparse_direction_NS_24const_host_device_scalarIT2_EEPKiS8_PKS5_SA_S6_PS5_21rocsparse_index_base_b.uses_vcc, 1
	.set _ZN9rocsparseL19gebsrmvn_4xn_kernelILj128ELj1ELj32E21rocsparse_complex_numIfEEEvi20rocsparse_direction_NS_24const_host_device_scalarIT2_EEPKiS8_PKS5_SA_S6_PS5_21rocsparse_index_base_b.uses_flat_scratch, 0
	.set _ZN9rocsparseL19gebsrmvn_4xn_kernelILj128ELj1ELj32E21rocsparse_complex_numIfEEEvi20rocsparse_direction_NS_24const_host_device_scalarIT2_EEPKiS8_PKS5_SA_S6_PS5_21rocsparse_index_base_b.has_dyn_sized_stack, 0
	.set _ZN9rocsparseL19gebsrmvn_4xn_kernelILj128ELj1ELj32E21rocsparse_complex_numIfEEEvi20rocsparse_direction_NS_24const_host_device_scalarIT2_EEPKiS8_PKS5_SA_S6_PS5_21rocsparse_index_base_b.has_recursion, 0
	.set _ZN9rocsparseL19gebsrmvn_4xn_kernelILj128ELj1ELj32E21rocsparse_complex_numIfEEEvi20rocsparse_direction_NS_24const_host_device_scalarIT2_EEPKiS8_PKS5_SA_S6_PS5_21rocsparse_index_base_b.has_indirect_call, 0
	.section	.AMDGPU.csdata,"",@progbits
; Kernel info:
; codeLenInByte = 1844
; TotalNumSgprs: 20
; NumVgprs: 35
; ScratchSize: 0
; MemoryBound: 0
; FloatMode: 240
; IeeeMode: 1
; LDSByteSize: 0 bytes/workgroup (compile time only)
; SGPRBlocks: 2
; VGPRBlocks: 8
; NumSGPRsForWavesPerEU: 20
; NumVGPRsForWavesPerEU: 35
; Occupancy: 7
; WaveLimiterHint : 1
; COMPUTE_PGM_RSRC2:SCRATCH_EN: 0
; COMPUTE_PGM_RSRC2:USER_SGPR: 6
; COMPUTE_PGM_RSRC2:TRAP_HANDLER: 0
; COMPUTE_PGM_RSRC2:TGID_X_EN: 1
; COMPUTE_PGM_RSRC2:TGID_Y_EN: 0
; COMPUTE_PGM_RSRC2:TGID_Z_EN: 0
; COMPUTE_PGM_RSRC2:TIDIG_COMP_CNT: 0
	.section	.text._ZN9rocsparseL19gebsrmvn_4xn_kernelILj128ELj1ELj64E21rocsparse_complex_numIfEEEvi20rocsparse_direction_NS_24const_host_device_scalarIT2_EEPKiS8_PKS5_SA_S6_PS5_21rocsparse_index_base_b,"axG",@progbits,_ZN9rocsparseL19gebsrmvn_4xn_kernelILj128ELj1ELj64E21rocsparse_complex_numIfEEEvi20rocsparse_direction_NS_24const_host_device_scalarIT2_EEPKiS8_PKS5_SA_S6_PS5_21rocsparse_index_base_b,comdat
	.globl	_ZN9rocsparseL19gebsrmvn_4xn_kernelILj128ELj1ELj64E21rocsparse_complex_numIfEEEvi20rocsparse_direction_NS_24const_host_device_scalarIT2_EEPKiS8_PKS5_SA_S6_PS5_21rocsparse_index_base_b ; -- Begin function _ZN9rocsparseL19gebsrmvn_4xn_kernelILj128ELj1ELj64E21rocsparse_complex_numIfEEEvi20rocsparse_direction_NS_24const_host_device_scalarIT2_EEPKiS8_PKS5_SA_S6_PS5_21rocsparse_index_base_b
	.p2align	8
	.type	_ZN9rocsparseL19gebsrmvn_4xn_kernelILj128ELj1ELj64E21rocsparse_complex_numIfEEEvi20rocsparse_direction_NS_24const_host_device_scalarIT2_EEPKiS8_PKS5_SA_S6_PS5_21rocsparse_index_base_b,@function
_ZN9rocsparseL19gebsrmvn_4xn_kernelILj128ELj1ELj64E21rocsparse_complex_numIfEEEvi20rocsparse_direction_NS_24const_host_device_scalarIT2_EEPKiS8_PKS5_SA_S6_PS5_21rocsparse_index_base_b: ; @_ZN9rocsparseL19gebsrmvn_4xn_kernelILj128ELj1ELj64E21rocsparse_complex_numIfEEEvi20rocsparse_direction_NS_24const_host_device_scalarIT2_EEPKiS8_PKS5_SA_S6_PS5_21rocsparse_index_base_b
; %bb.0:
	s_load_dwordx2 s[0:1], s[4:5], 0x8
	s_load_dwordx2 s[8:9], s[4:5], 0x30
	;; [unrolled: 1-line block ×3, first 2 shown]
	s_add_u32 s7, s4, 8
	s_addc_u32 s10, s5, 0
	s_add_u32 s11, s4, 48
	s_addc_u32 s12, s5, 0
	s_waitcnt lgkmcnt(0)
	s_bitcmp1_b32 s3, 0
	s_cselect_b32 s1, s10, s1
	s_cselect_b32 s0, s7, s0
	v_mov_b32_e32 v1, s0
	v_mov_b32_e32 v2, s1
	flat_load_dwordx2 v[1:2], v[1:2]
	s_cselect_b32 s0, s12, s9
	s_cselect_b32 s1, s11, s8
	v_mov_b32_e32 v3, s1
	v_mov_b32_e32 v4, s0
	flat_load_dwordx2 v[3:4], v[3:4]
	s_waitcnt vmcnt(0) lgkmcnt(0)
	v_cmp_eq_f32_e32 vcc, 0, v1
	v_cmp_eq_f32_e64 s[0:1], 0, v2
	s_and_b64 s[10:11], vcc, s[0:1]
	s_mov_b64 s[0:1], -1
	s_and_saveexec_b64 s[8:9], s[10:11]
; %bb.1:
	v_cmp_neq_f32_e32 vcc, 1.0, v3
	v_cmp_neq_f32_e64 s[0:1], 0, v4
	s_or_b64 s[0:1], vcc, s[0:1]
	s_orn2_b64 s[0:1], s[0:1], exec
; %bb.2:
	s_or_b64 exec, exec, s[8:9]
	s_and_saveexec_b64 s[8:9], s[0:1]
	s_cbranch_execz .LBB78_21
; %bb.3:
	s_load_dwordx2 s[0:1], s[4:5], 0x0
	v_lshrrev_b32_e32 v5, 6, v0
	v_lshl_or_b32 v5, s6, 1, v5
	s_waitcnt lgkmcnt(0)
	v_cmp_gt_i32_e32 vcc, s0, v5
	s_and_b64 exec, exec, vcc
	s_cbranch_execz .LBB78_21
; %bb.4:
	s_load_dwordx8 s[8:15], s[4:5], 0x10
	v_ashrrev_i32_e32 v6, 31, v5
	v_lshlrev_b64 v[6:7], 2, v[5:6]
	v_and_b32_e32 v0, 63, v0
	s_cmp_lg_u32 s1, 0
	s_waitcnt lgkmcnt(0)
	v_mov_b32_e32 v8, s9
	v_add_co_u32_e32 v6, vcc, s8, v6
	v_addc_co_u32_e32 v7, vcc, v8, v7, vcc
	global_load_dwordx2 v[6:7], v[6:7], off
	s_waitcnt vmcnt(0)
	v_subrev_u32_e32 v6, s2, v6
	v_subrev_u32_e32 v19, s2, v7
	v_add_u32_e32 v6, v6, v0
	v_cmp_lt_i32_e64 s[0:1], v6, v19
	s_cbranch_scc0 .LBB78_10
; %bb.5:
	v_mov_b32_e32 v15, 0
	v_mov_b32_e32 v17, 0
	;; [unrolled: 1-line block ×8, first 2 shown]
	s_and_saveexec_b64 s[6:7], s[0:1]
	s_cbranch_execz .LBB78_9
; %bb.6:
	v_mov_b32_e32 v8, 0
	v_lshlrev_b32_e32 v7, 2, v6
	s_mov_b64 s[8:9], 0
	v_mov_b32_e32 v20, s11
	v_mov_b32_e32 v21, s13
	v_mov_b32_e32 v22, s15
	v_mov_b32_e32 v9, v6
	v_mov_b32_e32 v15, v8
	v_mov_b32_e32 v17, v8
	v_mov_b32_e32 v12, v8
	v_mov_b32_e32 v11, v8
	v_mov_b32_e32 v14, v8
	v_mov_b32_e32 v13, v8
	v_mov_b32_e32 v18, v8
	v_mov_b32_e32 v16, v8
.LBB78_7:                               ; =>This Inner Loop Header: Depth=1
	v_ashrrev_i32_e32 v10, 31, v9
	v_lshlrev_b64 v[23:24], 2, v[9:10]
	v_mov_b32_e32 v32, v8
	v_add_co_u32_e32 v23, vcc, s10, v23
	v_addc_co_u32_e32 v24, vcc, v20, v24, vcc
	global_load_dword v10, v[23:24], off
	v_lshlrev_b64 v[23:24], 3, v[7:8]
	v_add_u32_e32 v9, 64, v9
	v_add_co_u32_e32 v33, vcc, s12, v23
	v_addc_co_u32_e32 v34, vcc, v21, v24, vcc
	global_load_dwordx4 v[23:26], v[33:34], off
	global_load_dwordx4 v[27:30], v[33:34], off offset:16
	v_add_u32_e32 v7, 0x100, v7
	s_waitcnt vmcnt(2)
	v_subrev_u32_e32 v31, s2, v10
	v_lshlrev_b64 v[31:32], 3, v[31:32]
	v_add_co_u32_e32 v31, vcc, s14, v31
	v_addc_co_u32_e32 v32, vcc, v22, v32, vcc
	global_load_dwordx2 v[31:32], v[31:32], off
	v_cmp_ge_i32_e32 vcc, v9, v19
	s_or_b64 s[8:9], vcc, s[8:9]
	s_waitcnt vmcnt(0)
	v_fmac_f32_e32 v17, v23, v31
	v_fmac_f32_e32 v15, v24, v31
	;; [unrolled: 1-line block ×8, first 2 shown]
	v_fma_f32 v17, -v24, v32, v17
	v_fmac_f32_e32 v15, v23, v32
	v_fma_f32 v18, -v26, v32, v18
	v_fmac_f32_e32 v16, v25, v32
	;; [unrolled: 2-line block ×4, first 2 shown]
	s_andn2_b64 exec, exec, s[8:9]
	s_cbranch_execnz .LBB78_7
; %bb.8:
	s_or_b64 exec, exec, s[8:9]
.LBB78_9:
	s_or_b64 exec, exec, s[6:7]
	s_cbranch_execz .LBB78_11
	s_branch .LBB78_16
.LBB78_10:
                                        ; implicit-def: $vgpr15
                                        ; implicit-def: $vgpr17
                                        ; implicit-def: $vgpr12
                                        ; implicit-def: $vgpr11
                                        ; implicit-def: $vgpr14
                                        ; implicit-def: $vgpr13
                                        ; implicit-def: $vgpr18
                                        ; implicit-def: $vgpr16
.LBB78_11:
	v_mov_b32_e32 v15, 0
	v_mov_b32_e32 v17, 0
	;; [unrolled: 1-line block ×8, first 2 shown]
	s_and_saveexec_b64 s[6:7], s[0:1]
	s_cbranch_execz .LBB78_15
; %bb.12:
	v_mov_b32_e32 v9, 0
	v_lshlrev_b32_e32 v8, 2, v6
	s_mov_b64 s[0:1], 0
	v_mov_b32_e32 v10, s11
	v_mov_b32_e32 v20, s13
	;; [unrolled: 1-line block ×11, first 2 shown]
.LBB78_13:                              ; =>This Inner Loop Header: Depth=1
	v_ashrrev_i32_e32 v7, 31, v6
	v_lshlrev_b64 v[22:23], 2, v[6:7]
	v_mov_b32_e32 v31, v9
	v_add_co_u32_e32 v22, vcc, s10, v22
	v_addc_co_u32_e32 v23, vcc, v10, v23, vcc
	global_load_dword v7, v[22:23], off
	v_lshlrev_b64 v[22:23], 3, v[8:9]
	v_add_u32_e32 v6, 64, v6
	v_add_co_u32_e32 v32, vcc, s12, v22
	v_addc_co_u32_e32 v33, vcc, v20, v23, vcc
	global_load_dwordx4 v[22:25], v[32:33], off
	global_load_dwordx4 v[26:29], v[32:33], off offset:16
	v_add_u32_e32 v8, 0x100, v8
	s_waitcnt vmcnt(2)
	v_subrev_u32_e32 v30, s2, v7
	v_lshlrev_b64 v[30:31], 3, v[30:31]
	v_add_co_u32_e32 v30, vcc, s14, v30
	v_addc_co_u32_e32 v31, vcc, v21, v31, vcc
	global_load_dwordx2 v[30:31], v[30:31], off
	v_cmp_ge_i32_e32 vcc, v6, v19
	s_or_b64 s[0:1], vcc, s[0:1]
	s_waitcnt vmcnt(0)
	v_fmac_f32_e32 v17, v22, v30
	v_fmac_f32_e32 v15, v23, v30
	;; [unrolled: 1-line block ×8, first 2 shown]
	v_fma_f32 v17, -v23, v31, v17
	v_fmac_f32_e32 v15, v22, v31
	v_fma_f32 v18, -v25, v31, v18
	v_fmac_f32_e32 v16, v24, v31
	;; [unrolled: 2-line block ×4, first 2 shown]
	s_andn2_b64 exec, exec, s[0:1]
	s_cbranch_execnz .LBB78_13
; %bb.14:
	s_or_b64 exec, exec, s[0:1]
.LBB78_15:
	s_or_b64 exec, exec, s[6:7]
.LBB78_16:
	v_mov_b32_dpp v10, v18 row_shr:1 row_mask:0xf bank_mask:0xf
	v_mov_b32_dpp v8, v15 row_shr:1 row_mask:0xf bank_mask:0xf
	v_add_f32_e32 v10, v18, v10
	v_add_f32_e32 v8, v15, v8
	v_mov_b32_dpp v6, v17 row_shr:1 row_mask:0xf bank_mask:0xf
	v_mov_b32_dpp v15, v10 row_shr:2 row_mask:0xf bank_mask:0xf
	v_add_f32_e32 v10, v10, v15
	v_add_f32_e32 v6, v17, v6
	v_mov_b32_dpp v9, v8 row_shr:2 row_mask:0xf bank_mask:0xf
	v_mov_b32_dpp v15, v10 row_shr:4 row_mask:0xf bank_mask:0xe
	v_add_f32_e32 v10, v10, v15
	v_mov_b32_dpp v7, v6 row_shr:2 row_mask:0xf bank_mask:0xf
	v_add_f32_e32 v6, v6, v7
	;; [unrolled: 2-line block ×3, first 2 shown]
	v_add_f32_e32 v8, v8, v9
	v_mov_b32_dpp v7, v6 row_shr:4 row_mask:0xf bank_mask:0xe
	v_mov_b32_dpp v15, v10 row_bcast:15 row_mask:0xa bank_mask:0xf
	v_add_f32_e32 v15, v10, v15
	v_mov_b32_dpp v10, v16 row_shr:1 row_mask:0xf bank_mask:0xf
	v_add_f32_e32 v10, v16, v10
	v_mov_b32_dpp v9, v8 row_shr:4 row_mask:0xf bank_mask:0xe
	v_add_f32_e32 v6, v6, v7
	v_mov_b32_dpp v16, v10 row_shr:2 row_mask:0xf bank_mask:0xf
	v_add_f32_e32 v10, v10, v16
	v_add_f32_e32 v8, v8, v9
	v_mov_b32_dpp v7, v6 row_shr:8 row_mask:0xf bank_mask:0xc
	v_mov_b32_dpp v16, v10 row_shr:4 row_mask:0xf bank_mask:0xe
	v_add_f32_e32 v10, v10, v16
	v_mov_b32_dpp v9, v8 row_shr:8 row_mask:0xf bank_mask:0xc
	v_add_f32_e32 v6, v6, v7
	;; [unrolled: 2-line block ×3, first 2 shown]
	v_add_f32_e32 v8, v8, v9
	v_mov_b32_dpp v7, v6 row_bcast:15 row_mask:0xa bank_mask:0xf
	v_mov_b32_dpp v16, v10 row_bcast:15 row_mask:0xa bank_mask:0xf
	v_add_f32_e32 v16, v10, v16
	v_mov_b32_dpp v10, v14 row_shr:1 row_mask:0xf bank_mask:0xf
	v_add_f32_e32 v10, v14, v10
	v_mov_b32_dpp v9, v8 row_bcast:15 row_mask:0xa bank_mask:0xf
	v_add_f32_e32 v6, v6, v7
	v_mov_b32_dpp v14, v10 row_shr:2 row_mask:0xf bank_mask:0xf
	v_add_f32_e32 v10, v10, v14
	v_add_f32_e32 v8, v8, v9
	v_mov_b32_dpp v7, v6 row_bcast:31 row_mask:0xc bank_mask:0xf
	v_mov_b32_dpp v14, v10 row_shr:4 row_mask:0xf bank_mask:0xe
	v_add_f32_e32 v10, v10, v14
	v_mov_b32_dpp v9, v8 row_bcast:31 row_mask:0xc bank_mask:0xf
	v_mov_b32_dpp v17, v15 row_bcast:31 row_mask:0xc bank_mask:0xf
	v_mov_b32_dpp v14, v10 row_shr:8 row_mask:0xf bank_mask:0xc
	v_add_f32_e32 v10, v10, v14
	v_mov_b32_dpp v18, v16 row_bcast:31 row_mask:0xc bank_mask:0xf
	v_cmp_eq_u32_e32 vcc, 63, v0
	v_mov_b32_dpp v14, v10 row_bcast:15 row_mask:0xa bank_mask:0xf
	v_add_f32_e32 v14, v10, v14
	v_mov_b32_dpp v10, v13 row_shr:1 row_mask:0xf bank_mask:0xf
	v_add_f32_e32 v10, v13, v10
	v_mov_b32_dpp v19, v14 row_bcast:31 row_mask:0xc bank_mask:0xf
	s_nop 0
	v_mov_b32_dpp v13, v10 row_shr:2 row_mask:0xf bank_mask:0xf
	v_add_f32_e32 v10, v10, v13
	s_nop 1
	v_mov_b32_dpp v13, v10 row_shr:4 row_mask:0xf bank_mask:0xe
	v_add_f32_e32 v10, v10, v13
	s_nop 1
	v_mov_b32_dpp v13, v10 row_shr:8 row_mask:0xf bank_mask:0xc
	v_add_f32_e32 v10, v10, v13
	s_nop 1
	v_mov_b32_dpp v13, v10 row_bcast:15 row_mask:0xa bank_mask:0xf
	v_add_f32_e32 v13, v10, v13
	v_mov_b32_dpp v10, v12 row_shr:1 row_mask:0xf bank_mask:0xf
	v_add_f32_e32 v10, v12, v10
	v_mov_b32_dpp v20, v13 row_bcast:31 row_mask:0xc bank_mask:0xf
	s_nop 0
	v_mov_b32_dpp v12, v10 row_shr:2 row_mask:0xf bank_mask:0xf
	v_add_f32_e32 v10, v10, v12
	s_nop 1
	v_mov_b32_dpp v12, v10 row_shr:4 row_mask:0xf bank_mask:0xe
	v_add_f32_e32 v10, v10, v12
	s_nop 1
	v_mov_b32_dpp v12, v10 row_shr:8 row_mask:0xf bank_mask:0xc
	v_add_f32_e32 v10, v10, v12
	s_nop 1
	v_mov_b32_dpp v12, v10 row_bcast:15 row_mask:0xa bank_mask:0xf
	v_add_f32_e32 v21, v10, v12
	v_mov_b32_dpp v10, v11 row_shr:1 row_mask:0xf bank_mask:0xf
	v_add_f32_e32 v10, v11, v10
	v_mov_b32_dpp v22, v21 row_bcast:31 row_mask:0xc bank_mask:0xf
	s_nop 0
	v_mov_b32_dpp v11, v10 row_shr:2 row_mask:0xf bank_mask:0xf
	v_add_f32_e32 v10, v10, v11
	s_nop 1
	v_mov_b32_dpp v11, v10 row_shr:4 row_mask:0xf bank_mask:0xe
	v_add_f32_e32 v10, v10, v11
	s_nop 1
	v_mov_b32_dpp v11, v10 row_shr:8 row_mask:0xf bank_mask:0xc
	v_add_f32_e32 v10, v10, v11
	s_nop 1
	v_mov_b32_dpp v11, v10 row_bcast:15 row_mask:0xa bank_mask:0xf
	v_add_f32_e32 v23, v10, v11
	s_nop 1
	v_mov_b32_dpp v24, v23 row_bcast:31 row_mask:0xc bank_mask:0xf
	s_and_b64 exec, exec, vcc
	s_cbranch_execz .LBB78_21
; %bb.17:
	s_load_dwordx2 s[2:3], s[4:5], 0x38
	v_cmp_eq_f32_e32 vcc, 0, v3
	v_cmp_eq_f32_e64 s[0:1], 0, v4
	v_add_f32_e32 v10, v6, v7
	v_add_f32_e32 v12, v8, v9
	;; [unrolled: 1-line block ×8, first 2 shown]
	s_and_b64 s[0:1], vcc, s[0:1]
	s_and_saveexec_b64 s[4:5], s[0:1]
	s_xor_b64 s[0:1], exec, s[4:5]
	s_cbranch_execz .LBB78_19
; %bb.18:
	v_lshlrev_b32_e32 v3, 2, v5
	v_ashrrev_i32_e32 v4, 31, v3
	v_lshlrev_b64 v[3:4], 3, v[3:4]
	s_waitcnt lgkmcnt(0)
	v_mov_b32_e32 v5, s3
	v_add_co_u32_e32 v17, vcc, s2, v3
	v_addc_co_u32_e32 v18, vcc, v5, v4, vcc
	v_mul_f32_e64 v3, v9, -v2
	v_mul_f32_e32 v4, v1, v9
	v_mul_f32_e64 v13, v12, -v2
	v_mul_f32_e32 v14, v1, v12
	;; [unrolled: 2-line block ×3, first 2 shown]
	v_fmac_f32_e32 v3, v1, v6
	v_fmac_f32_e32 v4, v2, v6
	v_mul_f32_e64 v5, v7, -v2
	v_mul_f32_e32 v6, v1, v7
	v_fmac_f32_e32 v13, v1, v10
	v_fmac_f32_e32 v14, v2, v10
	v_fmac_f32_e32 v15, v1, v8
	v_fmac_f32_e32 v16, v2, v8
	v_fmac_f32_e32 v5, v1, v0
	v_fmac_f32_e32 v6, v2, v0
	global_store_dwordx4 v[17:18], v[13:16], off
	global_store_dwordx4 v[17:18], v[3:6], off offset:16
                                        ; implicit-def: $vgpr5
                                        ; implicit-def: $vgpr10
                                        ; implicit-def: $vgpr12
                                        ; implicit-def: $vgpr8
                                        ; implicit-def: $vgpr11
                                        ; implicit-def: $vgpr6
                                        ; implicit-def: $vgpr9
                                        ; implicit-def: $vgpr0
                                        ; implicit-def: $vgpr7
                                        ; implicit-def: $vgpr1_vgpr2
                                        ; implicit-def: $vgpr3_vgpr4
.LBB78_19:
	s_andn2_saveexec_b64 s[0:1], s[0:1]
	s_cbranch_execz .LBB78_21
; %bb.20:
	v_lshlrev_b32_e32 v13, 2, v5
	v_ashrrev_i32_e32 v14, 31, v13
	v_lshlrev_b64 v[13:14], 3, v[13:14]
	s_waitcnt lgkmcnt(0)
	v_mov_b32_e32 v5, s3
	v_add_co_u32_e32 v25, vcc, s2, v13
	v_addc_co_u32_e32 v26, vcc, v5, v14, vcc
	global_load_dwordx4 v[13:16], v[25:26], off
	global_load_dwordx4 v[17:20], v[25:26], off offset:16
	v_mul_f32_e64 v5, v12, -v2
	v_mul_f32_e32 v22, v1, v12
	v_mul_f32_e64 v12, v11, -v2
	v_mul_f32_e32 v24, v1, v11
	;; [unrolled: 2-line block ×4, first 2 shown]
	v_fmac_f32_e32 v5, v1, v10
	v_fmac_f32_e32 v22, v2, v10
	;; [unrolled: 1-line block ×8, first 2 shown]
	s_waitcnt vmcnt(1)
	v_fmac_f32_e32 v5, v3, v13
	v_fmac_f32_e32 v22, v4, v13
	;; [unrolled: 1-line block ×4, first 2 shown]
	s_waitcnt vmcnt(0)
	v_fmac_f32_e32 v27, v3, v17
	v_fmac_f32_e32 v9, v4, v17
	;; [unrolled: 1-line block ×4, first 2 shown]
	v_fma_f32 v21, -v4, v14, v5
	v_fmac_f32_e32 v22, v3, v14
	v_fma_f32 v23, -v4, v16, v12
	v_fmac_f32_e32 v24, v3, v16
	;; [unrolled: 2-line block ×4, first 2 shown]
	global_store_dwordx4 v[25:26], v[21:24], off
	global_store_dwordx4 v[25:26], v[8:11], off offset:16
.LBB78_21:
	s_endpgm
	.section	.rodata,"a",@progbits
	.p2align	6, 0x0
	.amdhsa_kernel _ZN9rocsparseL19gebsrmvn_4xn_kernelILj128ELj1ELj64E21rocsparse_complex_numIfEEEvi20rocsparse_direction_NS_24const_host_device_scalarIT2_EEPKiS8_PKS5_SA_S6_PS5_21rocsparse_index_base_b
		.amdhsa_group_segment_fixed_size 0
		.amdhsa_private_segment_fixed_size 0
		.amdhsa_kernarg_size 72
		.amdhsa_user_sgpr_count 6
		.amdhsa_user_sgpr_private_segment_buffer 1
		.amdhsa_user_sgpr_dispatch_ptr 0
		.amdhsa_user_sgpr_queue_ptr 0
		.amdhsa_user_sgpr_kernarg_segment_ptr 1
		.amdhsa_user_sgpr_dispatch_id 0
		.amdhsa_user_sgpr_flat_scratch_init 0
		.amdhsa_user_sgpr_private_segment_size 0
		.amdhsa_uses_dynamic_stack 0
		.amdhsa_system_sgpr_private_segment_wavefront_offset 0
		.amdhsa_system_sgpr_workgroup_id_x 1
		.amdhsa_system_sgpr_workgroup_id_y 0
		.amdhsa_system_sgpr_workgroup_id_z 0
		.amdhsa_system_sgpr_workgroup_info 0
		.amdhsa_system_vgpr_workitem_id 0
		.amdhsa_next_free_vgpr 35
		.amdhsa_next_free_sgpr 16
		.amdhsa_reserve_vcc 1
		.amdhsa_reserve_flat_scratch 0
		.amdhsa_float_round_mode_32 0
		.amdhsa_float_round_mode_16_64 0
		.amdhsa_float_denorm_mode_32 3
		.amdhsa_float_denorm_mode_16_64 3
		.amdhsa_dx10_clamp 1
		.amdhsa_ieee_mode 1
		.amdhsa_fp16_overflow 0
		.amdhsa_exception_fp_ieee_invalid_op 0
		.amdhsa_exception_fp_denorm_src 0
		.amdhsa_exception_fp_ieee_div_zero 0
		.amdhsa_exception_fp_ieee_overflow 0
		.amdhsa_exception_fp_ieee_underflow 0
		.amdhsa_exception_fp_ieee_inexact 0
		.amdhsa_exception_int_div_zero 0
	.end_amdhsa_kernel
	.section	.text._ZN9rocsparseL19gebsrmvn_4xn_kernelILj128ELj1ELj64E21rocsparse_complex_numIfEEEvi20rocsparse_direction_NS_24const_host_device_scalarIT2_EEPKiS8_PKS5_SA_S6_PS5_21rocsparse_index_base_b,"axG",@progbits,_ZN9rocsparseL19gebsrmvn_4xn_kernelILj128ELj1ELj64E21rocsparse_complex_numIfEEEvi20rocsparse_direction_NS_24const_host_device_scalarIT2_EEPKiS8_PKS5_SA_S6_PS5_21rocsparse_index_base_b,comdat
.Lfunc_end78:
	.size	_ZN9rocsparseL19gebsrmvn_4xn_kernelILj128ELj1ELj64E21rocsparse_complex_numIfEEEvi20rocsparse_direction_NS_24const_host_device_scalarIT2_EEPKiS8_PKS5_SA_S6_PS5_21rocsparse_index_base_b, .Lfunc_end78-_ZN9rocsparseL19gebsrmvn_4xn_kernelILj128ELj1ELj64E21rocsparse_complex_numIfEEEvi20rocsparse_direction_NS_24const_host_device_scalarIT2_EEPKiS8_PKS5_SA_S6_PS5_21rocsparse_index_base_b
                                        ; -- End function
	.set _ZN9rocsparseL19gebsrmvn_4xn_kernelILj128ELj1ELj64E21rocsparse_complex_numIfEEEvi20rocsparse_direction_NS_24const_host_device_scalarIT2_EEPKiS8_PKS5_SA_S6_PS5_21rocsparse_index_base_b.num_vgpr, 35
	.set _ZN9rocsparseL19gebsrmvn_4xn_kernelILj128ELj1ELj64E21rocsparse_complex_numIfEEEvi20rocsparse_direction_NS_24const_host_device_scalarIT2_EEPKiS8_PKS5_SA_S6_PS5_21rocsparse_index_base_b.num_agpr, 0
	.set _ZN9rocsparseL19gebsrmvn_4xn_kernelILj128ELj1ELj64E21rocsparse_complex_numIfEEEvi20rocsparse_direction_NS_24const_host_device_scalarIT2_EEPKiS8_PKS5_SA_S6_PS5_21rocsparse_index_base_b.numbered_sgpr, 16
	.set _ZN9rocsparseL19gebsrmvn_4xn_kernelILj128ELj1ELj64E21rocsparse_complex_numIfEEEvi20rocsparse_direction_NS_24const_host_device_scalarIT2_EEPKiS8_PKS5_SA_S6_PS5_21rocsparse_index_base_b.num_named_barrier, 0
	.set _ZN9rocsparseL19gebsrmvn_4xn_kernelILj128ELj1ELj64E21rocsparse_complex_numIfEEEvi20rocsparse_direction_NS_24const_host_device_scalarIT2_EEPKiS8_PKS5_SA_S6_PS5_21rocsparse_index_base_b.private_seg_size, 0
	.set _ZN9rocsparseL19gebsrmvn_4xn_kernelILj128ELj1ELj64E21rocsparse_complex_numIfEEEvi20rocsparse_direction_NS_24const_host_device_scalarIT2_EEPKiS8_PKS5_SA_S6_PS5_21rocsparse_index_base_b.uses_vcc, 1
	.set _ZN9rocsparseL19gebsrmvn_4xn_kernelILj128ELj1ELj64E21rocsparse_complex_numIfEEEvi20rocsparse_direction_NS_24const_host_device_scalarIT2_EEPKiS8_PKS5_SA_S6_PS5_21rocsparse_index_base_b.uses_flat_scratch, 0
	.set _ZN9rocsparseL19gebsrmvn_4xn_kernelILj128ELj1ELj64E21rocsparse_complex_numIfEEEvi20rocsparse_direction_NS_24const_host_device_scalarIT2_EEPKiS8_PKS5_SA_S6_PS5_21rocsparse_index_base_b.has_dyn_sized_stack, 0
	.set _ZN9rocsparseL19gebsrmvn_4xn_kernelILj128ELj1ELj64E21rocsparse_complex_numIfEEEvi20rocsparse_direction_NS_24const_host_device_scalarIT2_EEPKiS8_PKS5_SA_S6_PS5_21rocsparse_index_base_b.has_recursion, 0
	.set _ZN9rocsparseL19gebsrmvn_4xn_kernelILj128ELj1ELj64E21rocsparse_complex_numIfEEEvi20rocsparse_direction_NS_24const_host_device_scalarIT2_EEPKiS8_PKS5_SA_S6_PS5_21rocsparse_index_base_b.has_indirect_call, 0
	.section	.AMDGPU.csdata,"",@progbits
; Kernel info:
; codeLenInByte = 1956
; TotalNumSgprs: 20
; NumVgprs: 35
; ScratchSize: 0
; MemoryBound: 0
; FloatMode: 240
; IeeeMode: 1
; LDSByteSize: 0 bytes/workgroup (compile time only)
; SGPRBlocks: 2
; VGPRBlocks: 8
; NumSGPRsForWavesPerEU: 20
; NumVGPRsForWavesPerEU: 35
; Occupancy: 7
; WaveLimiterHint : 1
; COMPUTE_PGM_RSRC2:SCRATCH_EN: 0
; COMPUTE_PGM_RSRC2:USER_SGPR: 6
; COMPUTE_PGM_RSRC2:TRAP_HANDLER: 0
; COMPUTE_PGM_RSRC2:TGID_X_EN: 1
; COMPUTE_PGM_RSRC2:TGID_Y_EN: 0
; COMPUTE_PGM_RSRC2:TGID_Z_EN: 0
; COMPUTE_PGM_RSRC2:TIDIG_COMP_CNT: 0
	.section	.text._ZN9rocsparseL19gebsrmvn_4xn_kernelILj128ELj2ELj4E21rocsparse_complex_numIfEEEvi20rocsparse_direction_NS_24const_host_device_scalarIT2_EEPKiS8_PKS5_SA_S6_PS5_21rocsparse_index_base_b,"axG",@progbits,_ZN9rocsparseL19gebsrmvn_4xn_kernelILj128ELj2ELj4E21rocsparse_complex_numIfEEEvi20rocsparse_direction_NS_24const_host_device_scalarIT2_EEPKiS8_PKS5_SA_S6_PS5_21rocsparse_index_base_b,comdat
	.globl	_ZN9rocsparseL19gebsrmvn_4xn_kernelILj128ELj2ELj4E21rocsparse_complex_numIfEEEvi20rocsparse_direction_NS_24const_host_device_scalarIT2_EEPKiS8_PKS5_SA_S6_PS5_21rocsparse_index_base_b ; -- Begin function _ZN9rocsparseL19gebsrmvn_4xn_kernelILj128ELj2ELj4E21rocsparse_complex_numIfEEEvi20rocsparse_direction_NS_24const_host_device_scalarIT2_EEPKiS8_PKS5_SA_S6_PS5_21rocsparse_index_base_b
	.p2align	8
	.type	_ZN9rocsparseL19gebsrmvn_4xn_kernelILj128ELj2ELj4E21rocsparse_complex_numIfEEEvi20rocsparse_direction_NS_24const_host_device_scalarIT2_EEPKiS8_PKS5_SA_S6_PS5_21rocsparse_index_base_b,@function
_ZN9rocsparseL19gebsrmvn_4xn_kernelILj128ELj2ELj4E21rocsparse_complex_numIfEEEvi20rocsparse_direction_NS_24const_host_device_scalarIT2_EEPKiS8_PKS5_SA_S6_PS5_21rocsparse_index_base_b: ; @_ZN9rocsparseL19gebsrmvn_4xn_kernelILj128ELj2ELj4E21rocsparse_complex_numIfEEEvi20rocsparse_direction_NS_24const_host_device_scalarIT2_EEPKiS8_PKS5_SA_S6_PS5_21rocsparse_index_base_b
; %bb.0:
	s_load_dwordx2 s[0:1], s[4:5], 0x8
	s_load_dwordx2 s[8:9], s[4:5], 0x30
	;; [unrolled: 1-line block ×3, first 2 shown]
	s_add_u32 s7, s4, 8
	s_addc_u32 s10, s5, 0
	s_add_u32 s11, s4, 48
	s_addc_u32 s12, s5, 0
	s_waitcnt lgkmcnt(0)
	s_bitcmp1_b32 s3, 0
	s_cselect_b32 s1, s10, s1
	s_cselect_b32 s0, s7, s0
	v_mov_b32_e32 v1, s0
	v_mov_b32_e32 v2, s1
	flat_load_dwordx2 v[1:2], v[1:2]
	s_cselect_b32 s0, s12, s9
	s_cselect_b32 s1, s11, s8
	v_mov_b32_e32 v3, s1
	v_mov_b32_e32 v4, s0
	flat_load_dwordx2 v[3:4], v[3:4]
	s_waitcnt vmcnt(0) lgkmcnt(0)
	v_cmp_eq_f32_e32 vcc, 0, v1
	v_cmp_eq_f32_e64 s[0:1], 0, v2
	s_and_b64 s[10:11], vcc, s[0:1]
	s_mov_b64 s[0:1], -1
	s_and_saveexec_b64 s[8:9], s[10:11]
; %bb.1:
	v_cmp_neq_f32_e32 vcc, 1.0, v3
	v_cmp_neq_f32_e64 s[0:1], 0, v4
	s_or_b64 s[0:1], vcc, s[0:1]
	s_orn2_b64 s[0:1], s[0:1], exec
; %bb.2:
	s_or_b64 exec, exec, s[8:9]
	s_and_saveexec_b64 s[8:9], s[0:1]
	s_cbranch_execz .LBB79_21
; %bb.3:
	s_load_dwordx2 s[0:1], s[4:5], 0x0
	v_lshrrev_b32_e32 v5, 2, v0
	v_lshl_or_b32 v5, s6, 5, v5
	s_waitcnt lgkmcnt(0)
	v_cmp_gt_i32_e32 vcc, s0, v5
	s_and_b64 exec, exec, vcc
	s_cbranch_execz .LBB79_21
; %bb.4:
	s_load_dwordx8 s[8:15], s[4:5], 0x10
	v_ashrrev_i32_e32 v6, 31, v5
	v_lshlrev_b64 v[6:7], 2, v[5:6]
	v_and_b32_e32 v0, 3, v0
	s_cmp_lg_u32 s1, 0
	s_waitcnt lgkmcnt(0)
	v_mov_b32_e32 v8, s9
	v_add_co_u32_e32 v6, vcc, s8, v6
	v_addc_co_u32_e32 v7, vcc, v8, v7, vcc
	global_load_dwordx2 v[6:7], v[6:7], off
	s_waitcnt vmcnt(0)
	v_subrev_u32_e32 v6, s2, v6
	v_subrev_u32_e32 v13, s2, v7
	v_add_u32_e32 v6, v6, v0
	v_cmp_lt_i32_e64 s[0:1], v6, v13
	s_cbranch_scc0 .LBB79_10
; %bb.5:
	v_mov_b32_e32 v12, 0
	v_mov_b32_e32 v16, 0
	;; [unrolled: 1-line block ×8, first 2 shown]
	s_and_saveexec_b64 s[6:7], s[0:1]
	s_cbranch_execz .LBB79_9
; %bb.6:
	v_mov_b32_e32 v8, 0
	v_lshlrev_b32_e32 v7, 3, v6
	s_mov_b64 s[8:9], 0
	v_mov_b32_e32 v20, s11
	v_mov_b32_e32 v21, s13
	;; [unrolled: 1-line block ×12, first 2 shown]
.LBB79_7:                               ; =>This Inner Loop Header: Depth=1
	v_ashrrev_i32_e32 v10, 31, v9
	v_lshlrev_b64 v[23:24], 2, v[9:10]
	v_mov_b32_e32 v36, v8
	v_add_co_u32_e32 v23, vcc, s10, v23
	v_addc_co_u32_e32 v24, vcc, v20, v24, vcc
	global_load_dword v10, v[23:24], off
	v_lshlrev_b64 v[23:24], 3, v[7:8]
	v_add_u32_e32 v9, 4, v9
	v_add_co_u32_e32 v43, vcc, s12, v23
	v_addc_co_u32_e32 v44, vcc, v21, v24, vcc
	global_load_dwordx4 v[23:26], v[43:44], off
	global_load_dwordx4 v[27:30], v[43:44], off offset:16
	global_load_dwordx4 v[31:34], v[43:44], off offset:32
	v_add_u32_e32 v7, 32, v7
	s_waitcnt vmcnt(3)
	v_subrev_u32_e32 v10, s2, v10
	v_lshlrev_b32_e32 v35, 1, v10
	v_lshlrev_b64 v[35:36], 3, v[35:36]
	v_add_co_u32_e32 v45, vcc, s14, v35
	v_addc_co_u32_e32 v46, vcc, v22, v36, vcc
	global_load_dwordx4 v[35:38], v[45:46], off
	global_load_dwordx4 v[39:42], v[43:44], off offset:48
	v_cmp_ge_i32_e32 vcc, v9, v13
	s_or_b64 s[8:9], vcc, s[8:9]
	s_waitcnt vmcnt(1)
	v_fmac_f32_e32 v16, v23, v35
	v_fmac_f32_e32 v12, v24, v35
	;; [unrolled: 1-line block ×8, first 2 shown]
	v_fma_f32 v10, -v24, v36, v16
	v_fmac_f32_e32 v12, v23, v36
	v_fma_f32 v19, -v26, v36, v19
	v_fmac_f32_e32 v17, v25, v36
	;; [unrolled: 2-line block ×4, first 2 shown]
	v_fmac_f32_e32 v10, v31, v37
	v_fmac_f32_e32 v12, v32, v37
	;; [unrolled: 1-line block ×4, first 2 shown]
	s_waitcnt vmcnt(0)
	v_fmac_f32_e32 v18, v39, v37
	v_fmac_f32_e32 v14, v40, v37
	;; [unrolled: 1-line block ×4, first 2 shown]
	v_fma_f32 v16, -v32, v38, v10
	v_fmac_f32_e32 v12, v31, v38
	v_fma_f32 v19, -v34, v38, v19
	v_fmac_f32_e32 v17, v33, v38
	v_fma_f32 v18, -v40, v38, v18
	v_fmac_f32_e32 v14, v39, v38
	v_fma_f32 v15, -v42, v38, v15
	v_fmac_f32_e32 v11, v41, v38
	s_andn2_b64 exec, exec, s[8:9]
	s_cbranch_execnz .LBB79_7
; %bb.8:
	s_or_b64 exec, exec, s[8:9]
.LBB79_9:
	s_or_b64 exec, exec, s[6:7]
	s_cbranch_execz .LBB79_11
	s_branch .LBB79_16
.LBB79_10:
                                        ; implicit-def: $vgpr12
                                        ; implicit-def: $vgpr16
                                        ; implicit-def: $vgpr15
                                        ; implicit-def: $vgpr11
                                        ; implicit-def: $vgpr18
                                        ; implicit-def: $vgpr14
                                        ; implicit-def: $vgpr19
                                        ; implicit-def: $vgpr17
.LBB79_11:
	v_mov_b32_e32 v12, 0
	v_mov_b32_e32 v16, 0
	;; [unrolled: 1-line block ×8, first 2 shown]
	s_and_saveexec_b64 s[6:7], s[0:1]
	s_cbranch_execz .LBB79_15
; %bb.12:
	v_mov_b32_e32 v9, 0
	v_lshlrev_b32_e32 v8, 3, v6
	s_mov_b64 s[0:1], 0
	v_mov_b32_e32 v10, s11
	v_mov_b32_e32 v20, s13
	;; [unrolled: 1-line block ×11, first 2 shown]
.LBB79_13:                              ; =>This Inner Loop Header: Depth=1
	v_lshlrev_b64 v[22:23], 3, v[8:9]
	v_ashrrev_i32_e32 v7, 31, v6
	v_lshlrev_b64 v[24:25], 2, v[6:7]
	v_add_co_u32_e32 v38, vcc, s12, v22
	v_addc_co_u32_e32 v39, vcc, v20, v23, vcc
	v_add_co_u32_e32 v32, vcc, s10, v24
	v_addc_co_u32_e32 v33, vcc, v10, v25, vcc
	global_load_dwordx4 v[22:25], v[38:39], off
	global_load_dwordx4 v[26:29], v[38:39], off offset:16
	global_load_dword v7, v[32:33], off
	v_mov_b32_e32 v31, v9
	v_add_u32_e32 v6, 4, v6
	v_add_u32_e32 v8, 32, v8
	s_waitcnt vmcnt(0)
	v_subrev_u32_e32 v7, s2, v7
	v_lshlrev_b32_e32 v30, 1, v7
	v_lshlrev_b64 v[30:31], 3, v[30:31]
	v_add_co_u32_e32 v30, vcc, s14, v30
	v_addc_co_u32_e32 v31, vcc, v21, v31, vcc
	global_load_dwordx4 v[30:33], v[30:31], off
	v_cmp_ge_i32_e32 vcc, v6, v13
	s_or_b64 s[0:1], vcc, s[0:1]
	s_waitcnt vmcnt(0)
	v_fmac_f32_e32 v16, v22, v30
	v_fmac_f32_e32 v12, v23, v30
	v_fma_f32 v7, -v23, v31, v16
	v_fmac_f32_e32 v12, v22, v31
	v_fmac_f32_e32 v7, v24, v32
	;; [unrolled: 1-line block ×3, first 2 shown]
	v_fma_f32 v16, -v25, v33, v7
	v_fmac_f32_e32 v12, v24, v33
	global_load_dwordx4 v[22:25], v[38:39], off offset:32
	global_load_dwordx4 v[34:37], v[38:39], off offset:48
	v_fmac_f32_e32 v19, v26, v30
	v_fmac_f32_e32 v17, v27, v30
	v_fma_f32 v7, -v27, v31, v19
	v_fmac_f32_e32 v17, v26, v31
	v_fmac_f32_e32 v7, v28, v32
	;; [unrolled: 1-line block ×3, first 2 shown]
	v_fma_f32 v19, -v29, v33, v7
	v_fmac_f32_e32 v17, v28, v33
	s_waitcnt vmcnt(1)
	v_fmac_f32_e32 v18, v22, v30
	v_fmac_f32_e32 v14, v23, v30
	s_waitcnt vmcnt(0)
	v_fmac_f32_e32 v15, v34, v30
	v_fmac_f32_e32 v11, v35, v30
	v_fma_f32 v18, -v23, v31, v18
	v_fmac_f32_e32 v14, v22, v31
	v_fma_f32 v15, -v35, v31, v15
	v_fmac_f32_e32 v11, v34, v31
	v_fmac_f32_e32 v18, v24, v32
	;; [unrolled: 1-line block ×5, first 2 shown]
	v_fma_f32 v18, -v25, v33, v18
	v_fmac_f32_e32 v14, v24, v33
	v_fma_f32 v15, -v37, v33, v15
	v_fmac_f32_e32 v11, v36, v33
	s_andn2_b64 exec, exec, s[0:1]
	s_cbranch_execnz .LBB79_13
; %bb.14:
	s_or_b64 exec, exec, s[0:1]
.LBB79_15:
	s_or_b64 exec, exec, s[6:7]
.LBB79_16:
	v_mov_b32_dpp v10, v19 row_shr:1 row_mask:0xf bank_mask:0xf
	v_add_f32_e32 v13, v19, v10
	v_mov_b32_dpp v6, v16 row_shr:1 row_mask:0xf bank_mask:0xf
	v_mov_b32_dpp v10, v17 row_shr:1 row_mask:0xf bank_mask:0xf
	v_add_f32_e32 v17, v17, v10
	v_mov_b32_dpp v8, v12 row_shr:1 row_mask:0xf bank_mask:0xf
	v_mov_b32_dpp v10, v18 row_shr:1 row_mask:0xf bank_mask:0xf
	v_add_f32_e32 v18, v18, v10
	v_add_f32_e32 v6, v16, v6
	v_mov_b32_dpp v10, v14 row_shr:1 row_mask:0xf bank_mask:0xf
	v_add_f32_e32 v14, v14, v10
	v_add_f32_e32 v8, v12, v8
	v_mov_b32_dpp v10, v15 row_shr:1 row_mask:0xf bank_mask:0xf
	v_add_f32_e32 v15, v15, v10
	v_mov_b32_dpp v7, v6 row_shr:2 row_mask:0xf bank_mask:0xf
	v_mov_b32_dpp v10, v11 row_shr:1 row_mask:0xf bank_mask:0xf
	v_add_f32_e32 v23, v11, v10
	v_mov_b32_dpp v9, v8 row_shr:2 row_mask:0xf bank_mask:0xf
	v_mov_b32_dpp v16, v13 row_shr:2 row_mask:0xf bank_mask:0xf
	;; [unrolled: 1-line block ×7, first 2 shown]
	v_cmp_eq_u32_e32 vcc, 3, v0
	s_and_b64 exec, exec, vcc
	s_cbranch_execz .LBB79_21
; %bb.17:
	s_load_dwordx2 s[2:3], s[4:5], 0x38
	v_cmp_eq_f32_e32 vcc, 0, v3
	v_cmp_eq_f32_e64 s[0:1], 0, v4
	v_add_f32_e32 v10, v6, v7
	v_add_f32_e32 v12, v8, v9
	;; [unrolled: 1-line block ×8, first 2 shown]
	s_and_b64 s[0:1], vcc, s[0:1]
	s_and_saveexec_b64 s[4:5], s[0:1]
	s_xor_b64 s[0:1], exec, s[4:5]
	s_cbranch_execz .LBB79_19
; %bb.18:
	v_lshlrev_b32_e32 v3, 2, v5
	v_ashrrev_i32_e32 v4, 31, v3
	v_lshlrev_b64 v[3:4], 3, v[3:4]
	s_waitcnt lgkmcnt(0)
	v_mov_b32_e32 v5, s3
	v_add_co_u32_e32 v17, vcc, s2, v3
	v_addc_co_u32_e32 v18, vcc, v5, v4, vcc
	v_mul_f32_e64 v3, v9, -v2
	v_mul_f32_e32 v4, v1, v9
	v_mul_f32_e64 v13, v12, -v2
	v_mul_f32_e32 v14, v1, v12
	;; [unrolled: 2-line block ×3, first 2 shown]
	v_fmac_f32_e32 v3, v1, v6
	v_fmac_f32_e32 v4, v2, v6
	v_mul_f32_e64 v5, v7, -v2
	v_mul_f32_e32 v6, v1, v7
	v_fmac_f32_e32 v13, v1, v10
	v_fmac_f32_e32 v14, v2, v10
	;; [unrolled: 1-line block ×6, first 2 shown]
	global_store_dwordx4 v[17:18], v[13:16], off
	global_store_dwordx4 v[17:18], v[3:6], off offset:16
                                        ; implicit-def: $vgpr5
                                        ; implicit-def: $vgpr10
                                        ; implicit-def: $vgpr12
                                        ; implicit-def: $vgpr8
                                        ; implicit-def: $vgpr11
                                        ; implicit-def: $vgpr6
                                        ; implicit-def: $vgpr9
                                        ; implicit-def: $vgpr0
                                        ; implicit-def: $vgpr7
                                        ; implicit-def: $vgpr1_vgpr2
                                        ; implicit-def: $vgpr3_vgpr4
.LBB79_19:
	s_andn2_saveexec_b64 s[0:1], s[0:1]
	s_cbranch_execz .LBB79_21
; %bb.20:
	v_lshlrev_b32_e32 v13, 2, v5
	v_ashrrev_i32_e32 v14, 31, v13
	v_lshlrev_b64 v[13:14], 3, v[13:14]
	s_waitcnt lgkmcnt(0)
	v_mov_b32_e32 v5, s3
	v_add_co_u32_e32 v25, vcc, s2, v13
	v_addc_co_u32_e32 v26, vcc, v5, v14, vcc
	global_load_dwordx4 v[13:16], v[25:26], off
	global_load_dwordx4 v[17:20], v[25:26], off offset:16
	v_mul_f32_e64 v5, v12, -v2
	v_mul_f32_e32 v22, v1, v12
	v_mul_f32_e64 v12, v11, -v2
	v_mul_f32_e32 v24, v1, v11
	;; [unrolled: 2-line block ×4, first 2 shown]
	v_fmac_f32_e32 v5, v1, v10
	v_fmac_f32_e32 v22, v2, v10
	;; [unrolled: 1-line block ×8, first 2 shown]
	s_waitcnt vmcnt(1)
	v_fmac_f32_e32 v5, v3, v13
	v_fmac_f32_e32 v22, v4, v13
	;; [unrolled: 1-line block ×4, first 2 shown]
	s_waitcnt vmcnt(0)
	v_fmac_f32_e32 v27, v3, v17
	v_fmac_f32_e32 v9, v4, v17
	;; [unrolled: 1-line block ×4, first 2 shown]
	v_fma_f32 v21, -v4, v14, v5
	v_fmac_f32_e32 v22, v3, v14
	v_fma_f32 v23, -v4, v16, v12
	v_fmac_f32_e32 v24, v3, v16
	;; [unrolled: 2-line block ×4, first 2 shown]
	global_store_dwordx4 v[25:26], v[21:24], off
	global_store_dwordx4 v[25:26], v[8:11], off offset:16
.LBB79_21:
	s_endpgm
	.section	.rodata,"a",@progbits
	.p2align	6, 0x0
	.amdhsa_kernel _ZN9rocsparseL19gebsrmvn_4xn_kernelILj128ELj2ELj4E21rocsparse_complex_numIfEEEvi20rocsparse_direction_NS_24const_host_device_scalarIT2_EEPKiS8_PKS5_SA_S6_PS5_21rocsparse_index_base_b
		.amdhsa_group_segment_fixed_size 0
		.amdhsa_private_segment_fixed_size 0
		.amdhsa_kernarg_size 72
		.amdhsa_user_sgpr_count 6
		.amdhsa_user_sgpr_private_segment_buffer 1
		.amdhsa_user_sgpr_dispatch_ptr 0
		.amdhsa_user_sgpr_queue_ptr 0
		.amdhsa_user_sgpr_kernarg_segment_ptr 1
		.amdhsa_user_sgpr_dispatch_id 0
		.amdhsa_user_sgpr_flat_scratch_init 0
		.amdhsa_user_sgpr_private_segment_size 0
		.amdhsa_uses_dynamic_stack 0
		.amdhsa_system_sgpr_private_segment_wavefront_offset 0
		.amdhsa_system_sgpr_workgroup_id_x 1
		.amdhsa_system_sgpr_workgroup_id_y 0
		.amdhsa_system_sgpr_workgroup_id_z 0
		.amdhsa_system_sgpr_workgroup_info 0
		.amdhsa_system_vgpr_workitem_id 0
		.amdhsa_next_free_vgpr 47
		.amdhsa_next_free_sgpr 16
		.amdhsa_reserve_vcc 1
		.amdhsa_reserve_flat_scratch 0
		.amdhsa_float_round_mode_32 0
		.amdhsa_float_round_mode_16_64 0
		.amdhsa_float_denorm_mode_32 3
		.amdhsa_float_denorm_mode_16_64 3
		.amdhsa_dx10_clamp 1
		.amdhsa_ieee_mode 1
		.amdhsa_fp16_overflow 0
		.amdhsa_exception_fp_ieee_invalid_op 0
		.amdhsa_exception_fp_denorm_src 0
		.amdhsa_exception_fp_ieee_div_zero 0
		.amdhsa_exception_fp_ieee_overflow 0
		.amdhsa_exception_fp_ieee_underflow 0
		.amdhsa_exception_fp_ieee_inexact 0
		.amdhsa_exception_int_div_zero 0
	.end_amdhsa_kernel
	.section	.text._ZN9rocsparseL19gebsrmvn_4xn_kernelILj128ELj2ELj4E21rocsparse_complex_numIfEEEvi20rocsparse_direction_NS_24const_host_device_scalarIT2_EEPKiS8_PKS5_SA_S6_PS5_21rocsparse_index_base_b,"axG",@progbits,_ZN9rocsparseL19gebsrmvn_4xn_kernelILj128ELj2ELj4E21rocsparse_complex_numIfEEEvi20rocsparse_direction_NS_24const_host_device_scalarIT2_EEPKiS8_PKS5_SA_S6_PS5_21rocsparse_index_base_b,comdat
.Lfunc_end79:
	.size	_ZN9rocsparseL19gebsrmvn_4xn_kernelILj128ELj2ELj4E21rocsparse_complex_numIfEEEvi20rocsparse_direction_NS_24const_host_device_scalarIT2_EEPKiS8_PKS5_SA_S6_PS5_21rocsparse_index_base_b, .Lfunc_end79-_ZN9rocsparseL19gebsrmvn_4xn_kernelILj128ELj2ELj4E21rocsparse_complex_numIfEEEvi20rocsparse_direction_NS_24const_host_device_scalarIT2_EEPKiS8_PKS5_SA_S6_PS5_21rocsparse_index_base_b
                                        ; -- End function
	.set _ZN9rocsparseL19gebsrmvn_4xn_kernelILj128ELj2ELj4E21rocsparse_complex_numIfEEEvi20rocsparse_direction_NS_24const_host_device_scalarIT2_EEPKiS8_PKS5_SA_S6_PS5_21rocsparse_index_base_b.num_vgpr, 47
	.set _ZN9rocsparseL19gebsrmvn_4xn_kernelILj128ELj2ELj4E21rocsparse_complex_numIfEEEvi20rocsparse_direction_NS_24const_host_device_scalarIT2_EEPKiS8_PKS5_SA_S6_PS5_21rocsparse_index_base_b.num_agpr, 0
	.set _ZN9rocsparseL19gebsrmvn_4xn_kernelILj128ELj2ELj4E21rocsparse_complex_numIfEEEvi20rocsparse_direction_NS_24const_host_device_scalarIT2_EEPKiS8_PKS5_SA_S6_PS5_21rocsparse_index_base_b.numbered_sgpr, 16
	.set _ZN9rocsparseL19gebsrmvn_4xn_kernelILj128ELj2ELj4E21rocsparse_complex_numIfEEEvi20rocsparse_direction_NS_24const_host_device_scalarIT2_EEPKiS8_PKS5_SA_S6_PS5_21rocsparse_index_base_b.num_named_barrier, 0
	.set _ZN9rocsparseL19gebsrmvn_4xn_kernelILj128ELj2ELj4E21rocsparse_complex_numIfEEEvi20rocsparse_direction_NS_24const_host_device_scalarIT2_EEPKiS8_PKS5_SA_S6_PS5_21rocsparse_index_base_b.private_seg_size, 0
	.set _ZN9rocsparseL19gebsrmvn_4xn_kernelILj128ELj2ELj4E21rocsparse_complex_numIfEEEvi20rocsparse_direction_NS_24const_host_device_scalarIT2_EEPKiS8_PKS5_SA_S6_PS5_21rocsparse_index_base_b.uses_vcc, 1
	.set _ZN9rocsparseL19gebsrmvn_4xn_kernelILj128ELj2ELj4E21rocsparse_complex_numIfEEEvi20rocsparse_direction_NS_24const_host_device_scalarIT2_EEPKiS8_PKS5_SA_S6_PS5_21rocsparse_index_base_b.uses_flat_scratch, 0
	.set _ZN9rocsparseL19gebsrmvn_4xn_kernelILj128ELj2ELj4E21rocsparse_complex_numIfEEEvi20rocsparse_direction_NS_24const_host_device_scalarIT2_EEPKiS8_PKS5_SA_S6_PS5_21rocsparse_index_base_b.has_dyn_sized_stack, 0
	.set _ZN9rocsparseL19gebsrmvn_4xn_kernelILj128ELj2ELj4E21rocsparse_complex_numIfEEEvi20rocsparse_direction_NS_24const_host_device_scalarIT2_EEPKiS8_PKS5_SA_S6_PS5_21rocsparse_index_base_b.has_recursion, 0
	.set _ZN9rocsparseL19gebsrmvn_4xn_kernelILj128ELj2ELj4E21rocsparse_complex_numIfEEEvi20rocsparse_direction_NS_24const_host_device_scalarIT2_EEPKiS8_PKS5_SA_S6_PS5_21rocsparse_index_base_b.has_indirect_call, 0
	.section	.AMDGPU.csdata,"",@progbits
; Kernel info:
; codeLenInByte = 1724
; TotalNumSgprs: 20
; NumVgprs: 47
; ScratchSize: 0
; MemoryBound: 0
; FloatMode: 240
; IeeeMode: 1
; LDSByteSize: 0 bytes/workgroup (compile time only)
; SGPRBlocks: 2
; VGPRBlocks: 11
; NumSGPRsForWavesPerEU: 20
; NumVGPRsForWavesPerEU: 47
; Occupancy: 5
; WaveLimiterHint : 1
; COMPUTE_PGM_RSRC2:SCRATCH_EN: 0
; COMPUTE_PGM_RSRC2:USER_SGPR: 6
; COMPUTE_PGM_RSRC2:TRAP_HANDLER: 0
; COMPUTE_PGM_RSRC2:TGID_X_EN: 1
; COMPUTE_PGM_RSRC2:TGID_Y_EN: 0
; COMPUTE_PGM_RSRC2:TGID_Z_EN: 0
; COMPUTE_PGM_RSRC2:TIDIG_COMP_CNT: 0
	.section	.text._ZN9rocsparseL19gebsrmvn_4xn_kernelILj128ELj2ELj8E21rocsparse_complex_numIfEEEvi20rocsparse_direction_NS_24const_host_device_scalarIT2_EEPKiS8_PKS5_SA_S6_PS5_21rocsparse_index_base_b,"axG",@progbits,_ZN9rocsparseL19gebsrmvn_4xn_kernelILj128ELj2ELj8E21rocsparse_complex_numIfEEEvi20rocsparse_direction_NS_24const_host_device_scalarIT2_EEPKiS8_PKS5_SA_S6_PS5_21rocsparse_index_base_b,comdat
	.globl	_ZN9rocsparseL19gebsrmvn_4xn_kernelILj128ELj2ELj8E21rocsparse_complex_numIfEEEvi20rocsparse_direction_NS_24const_host_device_scalarIT2_EEPKiS8_PKS5_SA_S6_PS5_21rocsparse_index_base_b ; -- Begin function _ZN9rocsparseL19gebsrmvn_4xn_kernelILj128ELj2ELj8E21rocsparse_complex_numIfEEEvi20rocsparse_direction_NS_24const_host_device_scalarIT2_EEPKiS8_PKS5_SA_S6_PS5_21rocsparse_index_base_b
	.p2align	8
	.type	_ZN9rocsparseL19gebsrmvn_4xn_kernelILj128ELj2ELj8E21rocsparse_complex_numIfEEEvi20rocsparse_direction_NS_24const_host_device_scalarIT2_EEPKiS8_PKS5_SA_S6_PS5_21rocsparse_index_base_b,@function
_ZN9rocsparseL19gebsrmvn_4xn_kernelILj128ELj2ELj8E21rocsparse_complex_numIfEEEvi20rocsparse_direction_NS_24const_host_device_scalarIT2_EEPKiS8_PKS5_SA_S6_PS5_21rocsparse_index_base_b: ; @_ZN9rocsparseL19gebsrmvn_4xn_kernelILj128ELj2ELj8E21rocsparse_complex_numIfEEEvi20rocsparse_direction_NS_24const_host_device_scalarIT2_EEPKiS8_PKS5_SA_S6_PS5_21rocsparse_index_base_b
; %bb.0:
	s_load_dwordx2 s[0:1], s[4:5], 0x8
	s_load_dwordx2 s[8:9], s[4:5], 0x30
	;; [unrolled: 1-line block ×3, first 2 shown]
	s_add_u32 s7, s4, 8
	s_addc_u32 s10, s5, 0
	s_add_u32 s11, s4, 48
	s_addc_u32 s12, s5, 0
	s_waitcnt lgkmcnt(0)
	s_bitcmp1_b32 s3, 0
	s_cselect_b32 s1, s10, s1
	s_cselect_b32 s0, s7, s0
	v_mov_b32_e32 v1, s0
	v_mov_b32_e32 v2, s1
	flat_load_dwordx2 v[1:2], v[1:2]
	s_cselect_b32 s0, s12, s9
	s_cselect_b32 s1, s11, s8
	v_mov_b32_e32 v3, s1
	v_mov_b32_e32 v4, s0
	flat_load_dwordx2 v[3:4], v[3:4]
	s_waitcnt vmcnt(0) lgkmcnt(0)
	v_cmp_eq_f32_e32 vcc, 0, v1
	v_cmp_eq_f32_e64 s[0:1], 0, v2
	s_and_b64 s[10:11], vcc, s[0:1]
	s_mov_b64 s[0:1], -1
	s_and_saveexec_b64 s[8:9], s[10:11]
; %bb.1:
	v_cmp_neq_f32_e32 vcc, 1.0, v3
	v_cmp_neq_f32_e64 s[0:1], 0, v4
	s_or_b64 s[0:1], vcc, s[0:1]
	s_orn2_b64 s[0:1], s[0:1], exec
; %bb.2:
	s_or_b64 exec, exec, s[8:9]
	s_and_saveexec_b64 s[8:9], s[0:1]
	s_cbranch_execz .LBB80_21
; %bb.3:
	s_load_dwordx2 s[0:1], s[4:5], 0x0
	v_lshrrev_b32_e32 v5, 3, v0
	v_lshl_or_b32 v5, s6, 4, v5
	s_waitcnt lgkmcnt(0)
	v_cmp_gt_i32_e32 vcc, s0, v5
	s_and_b64 exec, exec, vcc
	s_cbranch_execz .LBB80_21
; %bb.4:
	s_load_dwordx8 s[8:15], s[4:5], 0x10
	v_ashrrev_i32_e32 v6, 31, v5
	v_lshlrev_b64 v[6:7], 2, v[5:6]
	v_and_b32_e32 v0, 7, v0
	s_cmp_lg_u32 s1, 0
	s_waitcnt lgkmcnt(0)
	v_mov_b32_e32 v8, s9
	v_add_co_u32_e32 v6, vcc, s8, v6
	v_addc_co_u32_e32 v7, vcc, v8, v7, vcc
	global_load_dwordx2 v[6:7], v[6:7], off
	s_waitcnt vmcnt(0)
	v_subrev_u32_e32 v6, s2, v6
	v_subrev_u32_e32 v15, s2, v7
	v_add_u32_e32 v6, v6, v0
	v_cmp_lt_i32_e64 s[0:1], v6, v15
	s_cbranch_scc0 .LBB80_10
; %bb.5:
	v_mov_b32_e32 v12, 0
	v_mov_b32_e32 v17, 0
	;; [unrolled: 1-line block ×8, first 2 shown]
	s_and_saveexec_b64 s[6:7], s[0:1]
	s_cbranch_execz .LBB80_9
; %bb.6:
	v_mov_b32_e32 v8, 0
	v_lshlrev_b32_e32 v7, 3, v6
	s_mov_b64 s[8:9], 0
	v_mov_b32_e32 v20, s11
	v_mov_b32_e32 v21, s13
	;; [unrolled: 1-line block ×12, first 2 shown]
.LBB80_7:                               ; =>This Inner Loop Header: Depth=1
	v_ashrrev_i32_e32 v10, 31, v9
	v_lshlrev_b64 v[23:24], 2, v[9:10]
	v_mov_b32_e32 v36, v8
	v_add_co_u32_e32 v23, vcc, s10, v23
	v_addc_co_u32_e32 v24, vcc, v20, v24, vcc
	global_load_dword v10, v[23:24], off
	v_lshlrev_b64 v[23:24], 3, v[7:8]
	v_add_u32_e32 v9, 8, v9
	v_add_co_u32_e32 v43, vcc, s12, v23
	v_addc_co_u32_e32 v44, vcc, v21, v24, vcc
	global_load_dwordx4 v[23:26], v[43:44], off
	global_load_dwordx4 v[27:30], v[43:44], off offset:16
	global_load_dwordx4 v[31:34], v[43:44], off offset:32
	v_add_u32_e32 v7, 64, v7
	s_waitcnt vmcnt(3)
	v_subrev_u32_e32 v10, s2, v10
	v_lshlrev_b32_e32 v35, 1, v10
	v_lshlrev_b64 v[35:36], 3, v[35:36]
	v_add_co_u32_e32 v45, vcc, s14, v35
	v_addc_co_u32_e32 v46, vcc, v22, v36, vcc
	global_load_dwordx4 v[35:38], v[45:46], off
	global_load_dwordx4 v[39:42], v[43:44], off offset:48
	v_cmp_ge_i32_e32 vcc, v9, v15
	s_or_b64 s[8:9], vcc, s[8:9]
	s_waitcnt vmcnt(1)
	v_fmac_f32_e32 v17, v23, v35
	v_fmac_f32_e32 v12, v24, v35
	;; [unrolled: 1-line block ×8, first 2 shown]
	v_fma_f32 v10, -v24, v36, v17
	v_fmac_f32_e32 v12, v23, v36
	v_fma_f32 v19, -v26, v36, v19
	v_fmac_f32_e32 v16, v25, v36
	;; [unrolled: 2-line block ×4, first 2 shown]
	v_fmac_f32_e32 v10, v31, v37
	v_fmac_f32_e32 v12, v32, v37
	;; [unrolled: 1-line block ×4, first 2 shown]
	s_waitcnt vmcnt(0)
	v_fmac_f32_e32 v18, v39, v37
	v_fmac_f32_e32 v13, v40, v37
	;; [unrolled: 1-line block ×4, first 2 shown]
	v_fma_f32 v17, -v32, v38, v10
	v_fmac_f32_e32 v12, v31, v38
	v_fma_f32 v19, -v34, v38, v19
	v_fmac_f32_e32 v16, v33, v38
	;; [unrolled: 2-line block ×4, first 2 shown]
	s_andn2_b64 exec, exec, s[8:9]
	s_cbranch_execnz .LBB80_7
; %bb.8:
	s_or_b64 exec, exec, s[8:9]
.LBB80_9:
	s_or_b64 exec, exec, s[6:7]
	s_cbranch_execz .LBB80_11
	s_branch .LBB80_16
.LBB80_10:
                                        ; implicit-def: $vgpr12
                                        ; implicit-def: $vgpr17
                                        ; implicit-def: $vgpr14
                                        ; implicit-def: $vgpr11
                                        ; implicit-def: $vgpr18
                                        ; implicit-def: $vgpr13
                                        ; implicit-def: $vgpr19
                                        ; implicit-def: $vgpr16
.LBB80_11:
	v_mov_b32_e32 v12, 0
	v_mov_b32_e32 v17, 0
	;; [unrolled: 1-line block ×8, first 2 shown]
	s_and_saveexec_b64 s[6:7], s[0:1]
	s_cbranch_execz .LBB80_15
; %bb.12:
	v_mov_b32_e32 v9, 0
	v_lshlrev_b32_e32 v8, 3, v6
	s_mov_b64 s[0:1], 0
	v_mov_b32_e32 v10, s11
	v_mov_b32_e32 v20, s13
	;; [unrolled: 1-line block ×11, first 2 shown]
.LBB80_13:                              ; =>This Inner Loop Header: Depth=1
	v_lshlrev_b64 v[22:23], 3, v[8:9]
	v_ashrrev_i32_e32 v7, 31, v6
	v_lshlrev_b64 v[24:25], 2, v[6:7]
	v_add_co_u32_e32 v38, vcc, s12, v22
	v_addc_co_u32_e32 v39, vcc, v20, v23, vcc
	v_add_co_u32_e32 v32, vcc, s10, v24
	v_addc_co_u32_e32 v33, vcc, v10, v25, vcc
	global_load_dwordx4 v[22:25], v[38:39], off
	global_load_dwordx4 v[26:29], v[38:39], off offset:16
	global_load_dword v7, v[32:33], off
	v_mov_b32_e32 v31, v9
	v_add_u32_e32 v6, 8, v6
	v_add_u32_e32 v8, 64, v8
	s_waitcnt vmcnt(0)
	v_subrev_u32_e32 v7, s2, v7
	v_lshlrev_b32_e32 v30, 1, v7
	v_lshlrev_b64 v[30:31], 3, v[30:31]
	v_add_co_u32_e32 v30, vcc, s14, v30
	v_addc_co_u32_e32 v31, vcc, v21, v31, vcc
	global_load_dwordx4 v[30:33], v[30:31], off
	v_cmp_ge_i32_e32 vcc, v6, v15
	s_or_b64 s[0:1], vcc, s[0:1]
	s_waitcnt vmcnt(0)
	v_fmac_f32_e32 v17, v22, v30
	v_fmac_f32_e32 v12, v23, v30
	v_fma_f32 v7, -v23, v31, v17
	v_fmac_f32_e32 v12, v22, v31
	v_fmac_f32_e32 v7, v24, v32
	;; [unrolled: 1-line block ×3, first 2 shown]
	v_fma_f32 v17, -v25, v33, v7
	v_fmac_f32_e32 v12, v24, v33
	global_load_dwordx4 v[22:25], v[38:39], off offset:32
	global_load_dwordx4 v[34:37], v[38:39], off offset:48
	v_fmac_f32_e32 v19, v26, v30
	v_fmac_f32_e32 v16, v27, v30
	v_fma_f32 v7, -v27, v31, v19
	v_fmac_f32_e32 v16, v26, v31
	v_fmac_f32_e32 v7, v28, v32
	;; [unrolled: 1-line block ×3, first 2 shown]
	v_fma_f32 v19, -v29, v33, v7
	v_fmac_f32_e32 v16, v28, v33
	s_waitcnt vmcnt(1)
	v_fmac_f32_e32 v18, v22, v30
	v_fmac_f32_e32 v13, v23, v30
	s_waitcnt vmcnt(0)
	v_fmac_f32_e32 v14, v34, v30
	v_fmac_f32_e32 v11, v35, v30
	v_fma_f32 v18, -v23, v31, v18
	v_fmac_f32_e32 v13, v22, v31
	v_fma_f32 v14, -v35, v31, v14
	v_fmac_f32_e32 v11, v34, v31
	v_fmac_f32_e32 v18, v24, v32
	;; [unrolled: 1-line block ×5, first 2 shown]
	v_fma_f32 v18, -v25, v33, v18
	v_fmac_f32_e32 v13, v24, v33
	v_fma_f32 v14, -v37, v33, v14
	v_fmac_f32_e32 v11, v36, v33
	s_andn2_b64 exec, exec, s[0:1]
	s_cbranch_execnz .LBB80_13
; %bb.14:
	s_or_b64 exec, exec, s[0:1]
.LBB80_15:
	s_or_b64 exec, exec, s[6:7]
.LBB80_16:
	v_mov_b32_dpp v10, v19 row_shr:1 row_mask:0xf bank_mask:0xf
	v_mov_b32_dpp v8, v12 row_shr:1 row_mask:0xf bank_mask:0xf
	v_add_f32_e32 v10, v19, v10
	v_add_f32_e32 v8, v12, v8
	v_mov_b32_dpp v6, v17 row_shr:1 row_mask:0xf bank_mask:0xf
	v_mov_b32_dpp v12, v10 row_shr:2 row_mask:0xf bank_mask:0xf
	v_add_f32_e32 v15, v10, v12
	v_mov_b32_dpp v10, v16 row_shr:1 row_mask:0xf bank_mask:0xf
	v_add_f32_e32 v10, v16, v10
	v_add_f32_e32 v6, v17, v6
	v_mov_b32_dpp v9, v8 row_shr:2 row_mask:0xf bank_mask:0xf
	v_mov_b32_dpp v12, v10 row_shr:2 row_mask:0xf bank_mask:0xf
	v_add_f32_e32 v16, v10, v12
	v_mov_b32_dpp v10, v18 row_shr:1 row_mask:0xf bank_mask:0xf
	v_add_f32_e32 v10, v18, v10
	v_mov_b32_dpp v7, v6 row_shr:2 row_mask:0xf bank_mask:0xf
	v_add_f32_e32 v6, v6, v7
	v_mov_b32_dpp v12, v10 row_shr:2 row_mask:0xf bank_mask:0xf
	v_add_f32_e32 v18, v10, v12
	v_mov_b32_dpp v10, v13 row_shr:1 row_mask:0xf bank_mask:0xf
	v_add_f32_e32 v10, v13, v10
	v_add_f32_e32 v8, v8, v9
	v_mov_b32_dpp v7, v6 row_shr:4 row_mask:0xf bank_mask:0xe
	v_mov_b32_dpp v12, v10 row_shr:2 row_mask:0xf bank_mask:0xf
	v_add_f32_e32 v13, v10, v12
	v_mov_b32_dpp v10, v14 row_shr:1 row_mask:0xf bank_mask:0xf
	v_add_f32_e32 v10, v14, v10
	v_mov_b32_dpp v9, v8 row_shr:4 row_mask:0xf bank_mask:0xe
	v_mov_b32_dpp v17, v15 row_shr:4 row_mask:0xf bank_mask:0xe
	;; [unrolled: 1-line block ×3, first 2 shown]
	v_add_f32_e32 v14, v10, v12
	v_mov_b32_dpp v10, v11 row_shr:1 row_mask:0xf bank_mask:0xf
	v_add_f32_e32 v10, v11, v10
	v_mov_b32_dpp v19, v16 row_shr:4 row_mask:0xf bank_mask:0xe
	v_mov_b32_dpp v20, v18 row_shr:4 row_mask:0xf bank_mask:0xe
	;; [unrolled: 1-line block ×3, first 2 shown]
	v_add_f32_e32 v23, v10, v11
	v_mov_b32_dpp v21, v13 row_shr:4 row_mask:0xf bank_mask:0xe
	v_mov_b32_dpp v22, v14 row_shr:4 row_mask:0xf bank_mask:0xe
	v_mov_b32_dpp v24, v23 row_shr:4 row_mask:0xf bank_mask:0xe
	v_cmp_eq_u32_e32 vcc, 7, v0
	s_and_b64 exec, exec, vcc
	s_cbranch_execz .LBB80_21
; %bb.17:
	s_load_dwordx2 s[2:3], s[4:5], 0x38
	v_cmp_eq_f32_e32 vcc, 0, v3
	v_cmp_eq_f32_e64 s[0:1], 0, v4
	v_add_f32_e32 v10, v6, v7
	v_add_f32_e32 v12, v8, v9
	;; [unrolled: 1-line block ×8, first 2 shown]
	s_and_b64 s[0:1], vcc, s[0:1]
	s_and_saveexec_b64 s[4:5], s[0:1]
	s_xor_b64 s[0:1], exec, s[4:5]
	s_cbranch_execz .LBB80_19
; %bb.18:
	v_lshlrev_b32_e32 v3, 2, v5
	v_ashrrev_i32_e32 v4, 31, v3
	v_lshlrev_b64 v[3:4], 3, v[3:4]
	s_waitcnt lgkmcnt(0)
	v_mov_b32_e32 v5, s3
	v_add_co_u32_e32 v17, vcc, s2, v3
	v_addc_co_u32_e32 v18, vcc, v5, v4, vcc
	v_mul_f32_e64 v3, v9, -v2
	v_mul_f32_e32 v4, v1, v9
	v_mul_f32_e64 v13, v12, -v2
	v_mul_f32_e32 v14, v1, v12
	;; [unrolled: 2-line block ×3, first 2 shown]
	v_fmac_f32_e32 v3, v1, v6
	v_fmac_f32_e32 v4, v2, v6
	v_mul_f32_e64 v5, v7, -v2
	v_mul_f32_e32 v6, v1, v7
	v_fmac_f32_e32 v13, v1, v10
	v_fmac_f32_e32 v14, v2, v10
	;; [unrolled: 1-line block ×6, first 2 shown]
	global_store_dwordx4 v[17:18], v[13:16], off
	global_store_dwordx4 v[17:18], v[3:6], off offset:16
                                        ; implicit-def: $vgpr5
                                        ; implicit-def: $vgpr10
                                        ; implicit-def: $vgpr12
                                        ; implicit-def: $vgpr8
                                        ; implicit-def: $vgpr11
                                        ; implicit-def: $vgpr6
                                        ; implicit-def: $vgpr9
                                        ; implicit-def: $vgpr0
                                        ; implicit-def: $vgpr7
                                        ; implicit-def: $vgpr1_vgpr2
                                        ; implicit-def: $vgpr3_vgpr4
.LBB80_19:
	s_andn2_saveexec_b64 s[0:1], s[0:1]
	s_cbranch_execz .LBB80_21
; %bb.20:
	v_lshlrev_b32_e32 v13, 2, v5
	v_ashrrev_i32_e32 v14, 31, v13
	v_lshlrev_b64 v[13:14], 3, v[13:14]
	s_waitcnt lgkmcnt(0)
	v_mov_b32_e32 v5, s3
	v_add_co_u32_e32 v25, vcc, s2, v13
	v_addc_co_u32_e32 v26, vcc, v5, v14, vcc
	global_load_dwordx4 v[13:16], v[25:26], off
	global_load_dwordx4 v[17:20], v[25:26], off offset:16
	v_mul_f32_e64 v5, v12, -v2
	v_mul_f32_e32 v22, v1, v12
	v_mul_f32_e64 v12, v11, -v2
	v_mul_f32_e32 v24, v1, v11
	;; [unrolled: 2-line block ×4, first 2 shown]
	v_fmac_f32_e32 v5, v1, v10
	v_fmac_f32_e32 v22, v2, v10
	;; [unrolled: 1-line block ×8, first 2 shown]
	s_waitcnt vmcnt(1)
	v_fmac_f32_e32 v5, v3, v13
	v_fmac_f32_e32 v22, v4, v13
	;; [unrolled: 1-line block ×4, first 2 shown]
	s_waitcnt vmcnt(0)
	v_fmac_f32_e32 v27, v3, v17
	v_fmac_f32_e32 v9, v4, v17
	;; [unrolled: 1-line block ×4, first 2 shown]
	v_fma_f32 v21, -v4, v14, v5
	v_fmac_f32_e32 v22, v3, v14
	v_fma_f32 v23, -v4, v16, v12
	v_fmac_f32_e32 v24, v3, v16
	;; [unrolled: 2-line block ×4, first 2 shown]
	global_store_dwordx4 v[25:26], v[21:24], off
	global_store_dwordx4 v[25:26], v[8:11], off offset:16
.LBB80_21:
	s_endpgm
	.section	.rodata,"a",@progbits
	.p2align	6, 0x0
	.amdhsa_kernel _ZN9rocsparseL19gebsrmvn_4xn_kernelILj128ELj2ELj8E21rocsparse_complex_numIfEEEvi20rocsparse_direction_NS_24const_host_device_scalarIT2_EEPKiS8_PKS5_SA_S6_PS5_21rocsparse_index_base_b
		.amdhsa_group_segment_fixed_size 0
		.amdhsa_private_segment_fixed_size 0
		.amdhsa_kernarg_size 72
		.amdhsa_user_sgpr_count 6
		.amdhsa_user_sgpr_private_segment_buffer 1
		.amdhsa_user_sgpr_dispatch_ptr 0
		.amdhsa_user_sgpr_queue_ptr 0
		.amdhsa_user_sgpr_kernarg_segment_ptr 1
		.amdhsa_user_sgpr_dispatch_id 0
		.amdhsa_user_sgpr_flat_scratch_init 0
		.amdhsa_user_sgpr_private_segment_size 0
		.amdhsa_uses_dynamic_stack 0
		.amdhsa_system_sgpr_private_segment_wavefront_offset 0
		.amdhsa_system_sgpr_workgroup_id_x 1
		.amdhsa_system_sgpr_workgroup_id_y 0
		.amdhsa_system_sgpr_workgroup_id_z 0
		.amdhsa_system_sgpr_workgroup_info 0
		.amdhsa_system_vgpr_workitem_id 0
		.amdhsa_next_free_vgpr 47
		.amdhsa_next_free_sgpr 16
		.amdhsa_reserve_vcc 1
		.amdhsa_reserve_flat_scratch 0
		.amdhsa_float_round_mode_32 0
		.amdhsa_float_round_mode_16_64 0
		.amdhsa_float_denorm_mode_32 3
		.amdhsa_float_denorm_mode_16_64 3
		.amdhsa_dx10_clamp 1
		.amdhsa_ieee_mode 1
		.amdhsa_fp16_overflow 0
		.amdhsa_exception_fp_ieee_invalid_op 0
		.amdhsa_exception_fp_denorm_src 0
		.amdhsa_exception_fp_ieee_div_zero 0
		.amdhsa_exception_fp_ieee_overflow 0
		.amdhsa_exception_fp_ieee_underflow 0
		.amdhsa_exception_fp_ieee_inexact 0
		.amdhsa_exception_int_div_zero 0
	.end_amdhsa_kernel
	.section	.text._ZN9rocsparseL19gebsrmvn_4xn_kernelILj128ELj2ELj8E21rocsparse_complex_numIfEEEvi20rocsparse_direction_NS_24const_host_device_scalarIT2_EEPKiS8_PKS5_SA_S6_PS5_21rocsparse_index_base_b,"axG",@progbits,_ZN9rocsparseL19gebsrmvn_4xn_kernelILj128ELj2ELj8E21rocsparse_complex_numIfEEEvi20rocsparse_direction_NS_24const_host_device_scalarIT2_EEPKiS8_PKS5_SA_S6_PS5_21rocsparse_index_base_b,comdat
.Lfunc_end80:
	.size	_ZN9rocsparseL19gebsrmvn_4xn_kernelILj128ELj2ELj8E21rocsparse_complex_numIfEEEvi20rocsparse_direction_NS_24const_host_device_scalarIT2_EEPKiS8_PKS5_SA_S6_PS5_21rocsparse_index_base_b, .Lfunc_end80-_ZN9rocsparseL19gebsrmvn_4xn_kernelILj128ELj2ELj8E21rocsparse_complex_numIfEEEvi20rocsparse_direction_NS_24const_host_device_scalarIT2_EEPKiS8_PKS5_SA_S6_PS5_21rocsparse_index_base_b
                                        ; -- End function
	.set _ZN9rocsparseL19gebsrmvn_4xn_kernelILj128ELj2ELj8E21rocsparse_complex_numIfEEEvi20rocsparse_direction_NS_24const_host_device_scalarIT2_EEPKiS8_PKS5_SA_S6_PS5_21rocsparse_index_base_b.num_vgpr, 47
	.set _ZN9rocsparseL19gebsrmvn_4xn_kernelILj128ELj2ELj8E21rocsparse_complex_numIfEEEvi20rocsparse_direction_NS_24const_host_device_scalarIT2_EEPKiS8_PKS5_SA_S6_PS5_21rocsparse_index_base_b.num_agpr, 0
	.set _ZN9rocsparseL19gebsrmvn_4xn_kernelILj128ELj2ELj8E21rocsparse_complex_numIfEEEvi20rocsparse_direction_NS_24const_host_device_scalarIT2_EEPKiS8_PKS5_SA_S6_PS5_21rocsparse_index_base_b.numbered_sgpr, 16
	.set _ZN9rocsparseL19gebsrmvn_4xn_kernelILj128ELj2ELj8E21rocsparse_complex_numIfEEEvi20rocsparse_direction_NS_24const_host_device_scalarIT2_EEPKiS8_PKS5_SA_S6_PS5_21rocsparse_index_base_b.num_named_barrier, 0
	.set _ZN9rocsparseL19gebsrmvn_4xn_kernelILj128ELj2ELj8E21rocsparse_complex_numIfEEEvi20rocsparse_direction_NS_24const_host_device_scalarIT2_EEPKiS8_PKS5_SA_S6_PS5_21rocsparse_index_base_b.private_seg_size, 0
	.set _ZN9rocsparseL19gebsrmvn_4xn_kernelILj128ELj2ELj8E21rocsparse_complex_numIfEEEvi20rocsparse_direction_NS_24const_host_device_scalarIT2_EEPKiS8_PKS5_SA_S6_PS5_21rocsparse_index_base_b.uses_vcc, 1
	.set _ZN9rocsparseL19gebsrmvn_4xn_kernelILj128ELj2ELj8E21rocsparse_complex_numIfEEEvi20rocsparse_direction_NS_24const_host_device_scalarIT2_EEPKiS8_PKS5_SA_S6_PS5_21rocsparse_index_base_b.uses_flat_scratch, 0
	.set _ZN9rocsparseL19gebsrmvn_4xn_kernelILj128ELj2ELj8E21rocsparse_complex_numIfEEEvi20rocsparse_direction_NS_24const_host_device_scalarIT2_EEPKiS8_PKS5_SA_S6_PS5_21rocsparse_index_base_b.has_dyn_sized_stack, 0
	.set _ZN9rocsparseL19gebsrmvn_4xn_kernelILj128ELj2ELj8E21rocsparse_complex_numIfEEEvi20rocsparse_direction_NS_24const_host_device_scalarIT2_EEPKiS8_PKS5_SA_S6_PS5_21rocsparse_index_base_b.has_recursion, 0
	.set _ZN9rocsparseL19gebsrmvn_4xn_kernelILj128ELj2ELj8E21rocsparse_complex_numIfEEEvi20rocsparse_direction_NS_24const_host_device_scalarIT2_EEPKiS8_PKS5_SA_S6_PS5_21rocsparse_index_base_b.has_indirect_call, 0
	.section	.AMDGPU.csdata,"",@progbits
; Kernel info:
; codeLenInByte = 1820
; TotalNumSgprs: 20
; NumVgprs: 47
; ScratchSize: 0
; MemoryBound: 0
; FloatMode: 240
; IeeeMode: 1
; LDSByteSize: 0 bytes/workgroup (compile time only)
; SGPRBlocks: 2
; VGPRBlocks: 11
; NumSGPRsForWavesPerEU: 20
; NumVGPRsForWavesPerEU: 47
; Occupancy: 5
; WaveLimiterHint : 1
; COMPUTE_PGM_RSRC2:SCRATCH_EN: 0
; COMPUTE_PGM_RSRC2:USER_SGPR: 6
; COMPUTE_PGM_RSRC2:TRAP_HANDLER: 0
; COMPUTE_PGM_RSRC2:TGID_X_EN: 1
; COMPUTE_PGM_RSRC2:TGID_Y_EN: 0
; COMPUTE_PGM_RSRC2:TGID_Z_EN: 0
; COMPUTE_PGM_RSRC2:TIDIG_COMP_CNT: 0
	.section	.text._ZN9rocsparseL19gebsrmvn_4xn_kernelILj128ELj2ELj16E21rocsparse_complex_numIfEEEvi20rocsparse_direction_NS_24const_host_device_scalarIT2_EEPKiS8_PKS5_SA_S6_PS5_21rocsparse_index_base_b,"axG",@progbits,_ZN9rocsparseL19gebsrmvn_4xn_kernelILj128ELj2ELj16E21rocsparse_complex_numIfEEEvi20rocsparse_direction_NS_24const_host_device_scalarIT2_EEPKiS8_PKS5_SA_S6_PS5_21rocsparse_index_base_b,comdat
	.globl	_ZN9rocsparseL19gebsrmvn_4xn_kernelILj128ELj2ELj16E21rocsparse_complex_numIfEEEvi20rocsparse_direction_NS_24const_host_device_scalarIT2_EEPKiS8_PKS5_SA_S6_PS5_21rocsparse_index_base_b ; -- Begin function _ZN9rocsparseL19gebsrmvn_4xn_kernelILj128ELj2ELj16E21rocsparse_complex_numIfEEEvi20rocsparse_direction_NS_24const_host_device_scalarIT2_EEPKiS8_PKS5_SA_S6_PS5_21rocsparse_index_base_b
	.p2align	8
	.type	_ZN9rocsparseL19gebsrmvn_4xn_kernelILj128ELj2ELj16E21rocsparse_complex_numIfEEEvi20rocsparse_direction_NS_24const_host_device_scalarIT2_EEPKiS8_PKS5_SA_S6_PS5_21rocsparse_index_base_b,@function
_ZN9rocsparseL19gebsrmvn_4xn_kernelILj128ELj2ELj16E21rocsparse_complex_numIfEEEvi20rocsparse_direction_NS_24const_host_device_scalarIT2_EEPKiS8_PKS5_SA_S6_PS5_21rocsparse_index_base_b: ; @_ZN9rocsparseL19gebsrmvn_4xn_kernelILj128ELj2ELj16E21rocsparse_complex_numIfEEEvi20rocsparse_direction_NS_24const_host_device_scalarIT2_EEPKiS8_PKS5_SA_S6_PS5_21rocsparse_index_base_b
; %bb.0:
	s_load_dwordx2 s[0:1], s[4:5], 0x8
	s_load_dwordx2 s[8:9], s[4:5], 0x30
	;; [unrolled: 1-line block ×3, first 2 shown]
	s_add_u32 s7, s4, 8
	s_addc_u32 s10, s5, 0
	s_add_u32 s11, s4, 48
	s_addc_u32 s12, s5, 0
	s_waitcnt lgkmcnt(0)
	s_bitcmp1_b32 s3, 0
	s_cselect_b32 s1, s10, s1
	s_cselect_b32 s0, s7, s0
	v_mov_b32_e32 v1, s0
	v_mov_b32_e32 v2, s1
	flat_load_dwordx2 v[1:2], v[1:2]
	s_cselect_b32 s0, s12, s9
	s_cselect_b32 s1, s11, s8
	v_mov_b32_e32 v3, s1
	v_mov_b32_e32 v4, s0
	flat_load_dwordx2 v[3:4], v[3:4]
	s_waitcnt vmcnt(0) lgkmcnt(0)
	v_cmp_eq_f32_e32 vcc, 0, v1
	v_cmp_eq_f32_e64 s[0:1], 0, v2
	s_and_b64 s[10:11], vcc, s[0:1]
	s_mov_b64 s[0:1], -1
	s_and_saveexec_b64 s[8:9], s[10:11]
; %bb.1:
	v_cmp_neq_f32_e32 vcc, 1.0, v3
	v_cmp_neq_f32_e64 s[0:1], 0, v4
	s_or_b64 s[0:1], vcc, s[0:1]
	s_orn2_b64 s[0:1], s[0:1], exec
; %bb.2:
	s_or_b64 exec, exec, s[8:9]
	s_and_saveexec_b64 s[8:9], s[0:1]
	s_cbranch_execz .LBB81_21
; %bb.3:
	s_load_dwordx2 s[0:1], s[4:5], 0x0
	v_lshrrev_b32_e32 v5, 4, v0
	v_lshl_or_b32 v5, s6, 3, v5
	s_waitcnt lgkmcnt(0)
	v_cmp_gt_i32_e32 vcc, s0, v5
	s_and_b64 exec, exec, vcc
	s_cbranch_execz .LBB81_21
; %bb.4:
	s_load_dwordx8 s[8:15], s[4:5], 0x10
	v_ashrrev_i32_e32 v6, 31, v5
	v_lshlrev_b64 v[6:7], 2, v[5:6]
	v_and_b32_e32 v0, 15, v0
	s_cmp_lg_u32 s1, 0
	s_waitcnt lgkmcnt(0)
	v_mov_b32_e32 v8, s9
	v_add_co_u32_e32 v6, vcc, s8, v6
	v_addc_co_u32_e32 v7, vcc, v8, v7, vcc
	global_load_dwordx2 v[6:7], v[6:7], off
	s_waitcnt vmcnt(0)
	v_subrev_u32_e32 v6, s2, v6
	v_subrev_u32_e32 v15, s2, v7
	v_add_u32_e32 v6, v6, v0
	v_cmp_lt_i32_e64 s[0:1], v6, v15
	s_cbranch_scc0 .LBB81_10
; %bb.5:
	v_mov_b32_e32 v13, 0
	v_mov_b32_e32 v18, 0
	;; [unrolled: 1-line block ×8, first 2 shown]
	s_and_saveexec_b64 s[6:7], s[0:1]
	s_cbranch_execz .LBB81_9
; %bb.6:
	v_mov_b32_e32 v8, 0
	v_lshlrev_b32_e32 v7, 3, v6
	s_mov_b64 s[8:9], 0
	v_mov_b32_e32 v20, s11
	v_mov_b32_e32 v21, s13
	;; [unrolled: 1-line block ×12, first 2 shown]
.LBB81_7:                               ; =>This Inner Loop Header: Depth=1
	v_ashrrev_i32_e32 v10, 31, v9
	v_lshlrev_b64 v[23:24], 2, v[9:10]
	v_mov_b32_e32 v36, v8
	v_add_co_u32_e32 v23, vcc, s10, v23
	v_addc_co_u32_e32 v24, vcc, v20, v24, vcc
	global_load_dword v10, v[23:24], off
	v_lshlrev_b64 v[23:24], 3, v[7:8]
	v_add_u32_e32 v9, 16, v9
	v_add_co_u32_e32 v43, vcc, s12, v23
	v_addc_co_u32_e32 v44, vcc, v21, v24, vcc
	global_load_dwordx4 v[23:26], v[43:44], off
	global_load_dwordx4 v[27:30], v[43:44], off offset:16
	global_load_dwordx4 v[31:34], v[43:44], off offset:32
	v_add_u32_e32 v7, 0x80, v7
	s_waitcnt vmcnt(3)
	v_subrev_u32_e32 v10, s2, v10
	v_lshlrev_b32_e32 v35, 1, v10
	v_lshlrev_b64 v[35:36], 3, v[35:36]
	v_add_co_u32_e32 v45, vcc, s14, v35
	v_addc_co_u32_e32 v46, vcc, v22, v36, vcc
	global_load_dwordx4 v[35:38], v[45:46], off
	global_load_dwordx4 v[39:42], v[43:44], off offset:48
	v_cmp_ge_i32_e32 vcc, v9, v15
	s_or_b64 s[8:9], vcc, s[8:9]
	s_waitcnt vmcnt(1)
	v_fmac_f32_e32 v18, v23, v35
	v_fmac_f32_e32 v13, v24, v35
	;; [unrolled: 1-line block ×8, first 2 shown]
	v_fma_f32 v10, -v24, v36, v18
	v_fmac_f32_e32 v13, v23, v36
	v_fma_f32 v19, -v26, v36, v19
	v_fmac_f32_e32 v16, v25, v36
	;; [unrolled: 2-line block ×4, first 2 shown]
	v_fmac_f32_e32 v10, v31, v37
	v_fmac_f32_e32 v13, v32, v37
	;; [unrolled: 1-line block ×4, first 2 shown]
	s_waitcnt vmcnt(0)
	v_fmac_f32_e32 v17, v39, v37
	v_fmac_f32_e32 v12, v40, v37
	;; [unrolled: 1-line block ×4, first 2 shown]
	v_fma_f32 v18, -v32, v38, v10
	v_fmac_f32_e32 v13, v31, v38
	v_fma_f32 v19, -v34, v38, v19
	v_fmac_f32_e32 v16, v33, v38
	;; [unrolled: 2-line block ×4, first 2 shown]
	s_andn2_b64 exec, exec, s[8:9]
	s_cbranch_execnz .LBB81_7
; %bb.8:
	s_or_b64 exec, exec, s[8:9]
.LBB81_9:
	s_or_b64 exec, exec, s[6:7]
	s_cbranch_execz .LBB81_11
	s_branch .LBB81_16
.LBB81_10:
                                        ; implicit-def: $vgpr13
                                        ; implicit-def: $vgpr18
                                        ; implicit-def: $vgpr14
                                        ; implicit-def: $vgpr11
                                        ; implicit-def: $vgpr17
                                        ; implicit-def: $vgpr12
                                        ; implicit-def: $vgpr19
                                        ; implicit-def: $vgpr16
.LBB81_11:
	v_mov_b32_e32 v13, 0
	v_mov_b32_e32 v18, 0
	v_mov_b32_e32 v14, 0
	v_mov_b32_e32 v11, 0
	v_mov_b32_e32 v17, 0
	v_mov_b32_e32 v12, 0
	v_mov_b32_e32 v19, 0
	v_mov_b32_e32 v16, 0
	s_and_saveexec_b64 s[6:7], s[0:1]
	s_cbranch_execz .LBB81_15
; %bb.12:
	v_mov_b32_e32 v9, 0
	v_lshlrev_b32_e32 v8, 3, v6
	s_mov_b64 s[0:1], 0
	v_mov_b32_e32 v10, s11
	v_mov_b32_e32 v20, s13
	;; [unrolled: 1-line block ×11, first 2 shown]
.LBB81_13:                              ; =>This Inner Loop Header: Depth=1
	v_lshlrev_b64 v[22:23], 3, v[8:9]
	v_ashrrev_i32_e32 v7, 31, v6
	v_lshlrev_b64 v[24:25], 2, v[6:7]
	v_add_co_u32_e32 v38, vcc, s12, v22
	v_addc_co_u32_e32 v39, vcc, v20, v23, vcc
	v_add_co_u32_e32 v32, vcc, s10, v24
	v_addc_co_u32_e32 v33, vcc, v10, v25, vcc
	global_load_dwordx4 v[22:25], v[38:39], off
	global_load_dwordx4 v[26:29], v[38:39], off offset:16
	global_load_dword v7, v[32:33], off
	v_mov_b32_e32 v31, v9
	v_add_u32_e32 v6, 16, v6
	v_add_u32_e32 v8, 0x80, v8
	s_waitcnt vmcnt(0)
	v_subrev_u32_e32 v7, s2, v7
	v_lshlrev_b32_e32 v30, 1, v7
	v_lshlrev_b64 v[30:31], 3, v[30:31]
	v_add_co_u32_e32 v30, vcc, s14, v30
	v_addc_co_u32_e32 v31, vcc, v21, v31, vcc
	global_load_dwordx4 v[30:33], v[30:31], off
	v_cmp_ge_i32_e32 vcc, v6, v15
	s_or_b64 s[0:1], vcc, s[0:1]
	s_waitcnt vmcnt(0)
	v_fmac_f32_e32 v18, v22, v30
	v_fmac_f32_e32 v13, v23, v30
	v_fma_f32 v7, -v23, v31, v18
	v_fmac_f32_e32 v13, v22, v31
	v_fmac_f32_e32 v7, v24, v32
	;; [unrolled: 1-line block ×3, first 2 shown]
	v_fma_f32 v18, -v25, v33, v7
	v_fmac_f32_e32 v13, v24, v33
	global_load_dwordx4 v[22:25], v[38:39], off offset:32
	global_load_dwordx4 v[34:37], v[38:39], off offset:48
	v_fmac_f32_e32 v19, v26, v30
	v_fmac_f32_e32 v16, v27, v30
	v_fma_f32 v7, -v27, v31, v19
	v_fmac_f32_e32 v16, v26, v31
	v_fmac_f32_e32 v7, v28, v32
	;; [unrolled: 1-line block ×3, first 2 shown]
	v_fma_f32 v19, -v29, v33, v7
	v_fmac_f32_e32 v16, v28, v33
	s_waitcnt vmcnt(1)
	v_fmac_f32_e32 v17, v22, v30
	v_fmac_f32_e32 v12, v23, v30
	s_waitcnt vmcnt(0)
	v_fmac_f32_e32 v14, v34, v30
	v_fmac_f32_e32 v11, v35, v30
	v_fma_f32 v17, -v23, v31, v17
	v_fmac_f32_e32 v12, v22, v31
	v_fma_f32 v14, -v35, v31, v14
	v_fmac_f32_e32 v11, v34, v31
	v_fmac_f32_e32 v17, v24, v32
	;; [unrolled: 1-line block ×5, first 2 shown]
	v_fma_f32 v17, -v25, v33, v17
	v_fmac_f32_e32 v12, v24, v33
	v_fma_f32 v14, -v37, v33, v14
	v_fmac_f32_e32 v11, v36, v33
	s_andn2_b64 exec, exec, s[0:1]
	s_cbranch_execnz .LBB81_13
; %bb.14:
	s_or_b64 exec, exec, s[0:1]
.LBB81_15:
	s_or_b64 exec, exec, s[6:7]
.LBB81_16:
	v_mov_b32_dpp v10, v19 row_shr:1 row_mask:0xf bank_mask:0xf
	v_mov_b32_dpp v8, v13 row_shr:1 row_mask:0xf bank_mask:0xf
	v_add_f32_e32 v10, v19, v10
	v_add_f32_e32 v8, v13, v8
	v_mov_b32_dpp v6, v18 row_shr:1 row_mask:0xf bank_mask:0xf
	v_mov_b32_dpp v13, v10 row_shr:2 row_mask:0xf bank_mask:0xf
	v_add_f32_e32 v10, v10, v13
	v_add_f32_e32 v6, v18, v6
	v_mov_b32_dpp v9, v8 row_shr:2 row_mask:0xf bank_mask:0xf
	v_mov_b32_dpp v13, v10 row_shr:4 row_mask:0xf bank_mask:0xe
	v_add_f32_e32 v13, v10, v13
	v_mov_b32_dpp v10, v16 row_shr:1 row_mask:0xf bank_mask:0xf
	v_add_f32_e32 v10, v16, v10
	;; [unrolled: 2-line block ×4, first 2 shown]
	v_add_f32_e32 v8, v8, v9
	v_mov_b32_dpp v7, v6 row_shr:4 row_mask:0xf bank_mask:0xe
	v_mov_b32_dpp v16, v10 row_shr:4 row_mask:0xf bank_mask:0xe
	v_add_f32_e32 v16, v10, v16
	v_mov_b32_dpp v10, v17 row_shr:1 row_mask:0xf bank_mask:0xf
	v_add_f32_e32 v10, v17, v10
	;; [unrolled: 2-line block ×4, first 2 shown]
	v_add_f32_e32 v8, v8, v9
	v_mov_b32_dpp v7, v6 row_shr:8 row_mask:0xf bank_mask:0xc
	v_mov_b32_dpp v17, v10 row_shr:4 row_mask:0xf bank_mask:0xe
	v_add_f32_e32 v17, v10, v17
	v_mov_b32_dpp v10, v12 row_shr:1 row_mask:0xf bank_mask:0xf
	v_add_f32_e32 v10, v12, v10
	v_mov_b32_dpp v9, v8 row_shr:8 row_mask:0xf bank_mask:0xc
	v_mov_b32_dpp v15, v13 row_shr:8 row_mask:0xf bank_mask:0xc
	v_mov_b32_dpp v12, v10 row_shr:2 row_mask:0xf bank_mask:0xf
	v_add_f32_e32 v10, v10, v12
	v_mov_b32_dpp v18, v16 row_shr:8 row_mask:0xf bank_mask:0xc
	v_mov_b32_dpp v19, v17 row_shr:8 row_mask:0xf bank_mask:0xc
	;; [unrolled: 1-line block ×3, first 2 shown]
	v_add_f32_e32 v20, v10, v12
	v_mov_b32_dpp v10, v14 row_shr:1 row_mask:0xf bank_mask:0xf
	v_add_f32_e32 v10, v14, v10
	v_mov_b32_dpp v21, v20 row_shr:8 row_mask:0xf bank_mask:0xc
	v_cmp_eq_u32_e32 vcc, 15, v0
	v_mov_b32_dpp v12, v10 row_shr:2 row_mask:0xf bank_mask:0xf
	v_add_f32_e32 v10, v10, v12
	s_nop 1
	v_mov_b32_dpp v12, v10 row_shr:4 row_mask:0xf bank_mask:0xe
	v_add_f32_e32 v14, v10, v12
	v_mov_b32_dpp v10, v11 row_shr:1 row_mask:0xf bank_mask:0xf
	v_add_f32_e32 v10, v11, v10
	v_mov_b32_dpp v22, v14 row_shr:8 row_mask:0xf bank_mask:0xc
	s_nop 0
	v_mov_b32_dpp v11, v10 row_shr:2 row_mask:0xf bank_mask:0xf
	v_add_f32_e32 v10, v10, v11
	s_nop 1
	v_mov_b32_dpp v11, v10 row_shr:4 row_mask:0xf bank_mask:0xe
	v_add_f32_e32 v23, v10, v11
	s_nop 1
	v_mov_b32_dpp v24, v23 row_shr:8 row_mask:0xf bank_mask:0xc
	s_and_b64 exec, exec, vcc
	s_cbranch_execz .LBB81_21
; %bb.17:
	s_load_dwordx2 s[2:3], s[4:5], 0x38
	v_cmp_eq_f32_e32 vcc, 0, v3
	v_cmp_eq_f32_e64 s[0:1], 0, v4
	v_add_f32_e32 v10, v6, v7
	v_add_f32_e32 v12, v8, v9
	;; [unrolled: 1-line block ×8, first 2 shown]
	s_and_b64 s[0:1], vcc, s[0:1]
	s_and_saveexec_b64 s[4:5], s[0:1]
	s_xor_b64 s[0:1], exec, s[4:5]
	s_cbranch_execz .LBB81_19
; %bb.18:
	v_lshlrev_b32_e32 v3, 2, v5
	v_ashrrev_i32_e32 v4, 31, v3
	v_lshlrev_b64 v[3:4], 3, v[3:4]
	s_waitcnt lgkmcnt(0)
	v_mov_b32_e32 v5, s3
	v_add_co_u32_e32 v17, vcc, s2, v3
	v_addc_co_u32_e32 v18, vcc, v5, v4, vcc
	v_mul_f32_e64 v3, v9, -v2
	v_mul_f32_e32 v4, v1, v9
	v_mul_f32_e64 v13, v12, -v2
	v_mul_f32_e32 v14, v1, v12
	;; [unrolled: 2-line block ×3, first 2 shown]
	v_fmac_f32_e32 v3, v1, v6
	v_fmac_f32_e32 v4, v2, v6
	v_mul_f32_e64 v5, v7, -v2
	v_mul_f32_e32 v6, v1, v7
	v_fmac_f32_e32 v13, v1, v10
	v_fmac_f32_e32 v14, v2, v10
	;; [unrolled: 1-line block ×6, first 2 shown]
	global_store_dwordx4 v[17:18], v[13:16], off
	global_store_dwordx4 v[17:18], v[3:6], off offset:16
                                        ; implicit-def: $vgpr5
                                        ; implicit-def: $vgpr10
                                        ; implicit-def: $vgpr12
                                        ; implicit-def: $vgpr8
                                        ; implicit-def: $vgpr11
                                        ; implicit-def: $vgpr6
                                        ; implicit-def: $vgpr9
                                        ; implicit-def: $vgpr0
                                        ; implicit-def: $vgpr7
                                        ; implicit-def: $vgpr1_vgpr2
                                        ; implicit-def: $vgpr3_vgpr4
.LBB81_19:
	s_andn2_saveexec_b64 s[0:1], s[0:1]
	s_cbranch_execz .LBB81_21
; %bb.20:
	v_lshlrev_b32_e32 v13, 2, v5
	v_ashrrev_i32_e32 v14, 31, v13
	v_lshlrev_b64 v[13:14], 3, v[13:14]
	s_waitcnt lgkmcnt(0)
	v_mov_b32_e32 v5, s3
	v_add_co_u32_e32 v25, vcc, s2, v13
	v_addc_co_u32_e32 v26, vcc, v5, v14, vcc
	global_load_dwordx4 v[13:16], v[25:26], off
	global_load_dwordx4 v[17:20], v[25:26], off offset:16
	v_mul_f32_e64 v5, v12, -v2
	v_mul_f32_e32 v22, v1, v12
	v_mul_f32_e64 v12, v11, -v2
	v_mul_f32_e32 v24, v1, v11
	;; [unrolled: 2-line block ×4, first 2 shown]
	v_fmac_f32_e32 v5, v1, v10
	v_fmac_f32_e32 v22, v2, v10
	;; [unrolled: 1-line block ×8, first 2 shown]
	s_waitcnt vmcnt(1)
	v_fmac_f32_e32 v5, v3, v13
	v_fmac_f32_e32 v22, v4, v13
	;; [unrolled: 1-line block ×4, first 2 shown]
	s_waitcnt vmcnt(0)
	v_fmac_f32_e32 v27, v3, v17
	v_fmac_f32_e32 v9, v4, v17
	;; [unrolled: 1-line block ×4, first 2 shown]
	v_fma_f32 v21, -v4, v14, v5
	v_fmac_f32_e32 v22, v3, v14
	v_fma_f32 v23, -v4, v16, v12
	v_fmac_f32_e32 v24, v3, v16
	;; [unrolled: 2-line block ×4, first 2 shown]
	global_store_dwordx4 v[25:26], v[21:24], off
	global_store_dwordx4 v[25:26], v[8:11], off offset:16
.LBB81_21:
	s_endpgm
	.section	.rodata,"a",@progbits
	.p2align	6, 0x0
	.amdhsa_kernel _ZN9rocsparseL19gebsrmvn_4xn_kernelILj128ELj2ELj16E21rocsparse_complex_numIfEEEvi20rocsparse_direction_NS_24const_host_device_scalarIT2_EEPKiS8_PKS5_SA_S6_PS5_21rocsparse_index_base_b
		.amdhsa_group_segment_fixed_size 0
		.amdhsa_private_segment_fixed_size 0
		.amdhsa_kernarg_size 72
		.amdhsa_user_sgpr_count 6
		.amdhsa_user_sgpr_private_segment_buffer 1
		.amdhsa_user_sgpr_dispatch_ptr 0
		.amdhsa_user_sgpr_queue_ptr 0
		.amdhsa_user_sgpr_kernarg_segment_ptr 1
		.amdhsa_user_sgpr_dispatch_id 0
		.amdhsa_user_sgpr_flat_scratch_init 0
		.amdhsa_user_sgpr_private_segment_size 0
		.amdhsa_uses_dynamic_stack 0
		.amdhsa_system_sgpr_private_segment_wavefront_offset 0
		.amdhsa_system_sgpr_workgroup_id_x 1
		.amdhsa_system_sgpr_workgroup_id_y 0
		.amdhsa_system_sgpr_workgroup_id_z 0
		.amdhsa_system_sgpr_workgroup_info 0
		.amdhsa_system_vgpr_workitem_id 0
		.amdhsa_next_free_vgpr 47
		.amdhsa_next_free_sgpr 16
		.amdhsa_reserve_vcc 1
		.amdhsa_reserve_flat_scratch 0
		.amdhsa_float_round_mode_32 0
		.amdhsa_float_round_mode_16_64 0
		.amdhsa_float_denorm_mode_32 3
		.amdhsa_float_denorm_mode_16_64 3
		.amdhsa_dx10_clamp 1
		.amdhsa_ieee_mode 1
		.amdhsa_fp16_overflow 0
		.amdhsa_exception_fp_ieee_invalid_op 0
		.amdhsa_exception_fp_denorm_src 0
		.amdhsa_exception_fp_ieee_div_zero 0
		.amdhsa_exception_fp_ieee_overflow 0
		.amdhsa_exception_fp_ieee_underflow 0
		.amdhsa_exception_fp_ieee_inexact 0
		.amdhsa_exception_int_div_zero 0
	.end_amdhsa_kernel
	.section	.text._ZN9rocsparseL19gebsrmvn_4xn_kernelILj128ELj2ELj16E21rocsparse_complex_numIfEEEvi20rocsparse_direction_NS_24const_host_device_scalarIT2_EEPKiS8_PKS5_SA_S6_PS5_21rocsparse_index_base_b,"axG",@progbits,_ZN9rocsparseL19gebsrmvn_4xn_kernelILj128ELj2ELj16E21rocsparse_complex_numIfEEEvi20rocsparse_direction_NS_24const_host_device_scalarIT2_EEPKiS8_PKS5_SA_S6_PS5_21rocsparse_index_base_b,comdat
.Lfunc_end81:
	.size	_ZN9rocsparseL19gebsrmvn_4xn_kernelILj128ELj2ELj16E21rocsparse_complex_numIfEEEvi20rocsparse_direction_NS_24const_host_device_scalarIT2_EEPKiS8_PKS5_SA_S6_PS5_21rocsparse_index_base_b, .Lfunc_end81-_ZN9rocsparseL19gebsrmvn_4xn_kernelILj128ELj2ELj16E21rocsparse_complex_numIfEEEvi20rocsparse_direction_NS_24const_host_device_scalarIT2_EEPKiS8_PKS5_SA_S6_PS5_21rocsparse_index_base_b
                                        ; -- End function
	.set _ZN9rocsparseL19gebsrmvn_4xn_kernelILj128ELj2ELj16E21rocsparse_complex_numIfEEEvi20rocsparse_direction_NS_24const_host_device_scalarIT2_EEPKiS8_PKS5_SA_S6_PS5_21rocsparse_index_base_b.num_vgpr, 47
	.set _ZN9rocsparseL19gebsrmvn_4xn_kernelILj128ELj2ELj16E21rocsparse_complex_numIfEEEvi20rocsparse_direction_NS_24const_host_device_scalarIT2_EEPKiS8_PKS5_SA_S6_PS5_21rocsparse_index_base_b.num_agpr, 0
	.set _ZN9rocsparseL19gebsrmvn_4xn_kernelILj128ELj2ELj16E21rocsparse_complex_numIfEEEvi20rocsparse_direction_NS_24const_host_device_scalarIT2_EEPKiS8_PKS5_SA_S6_PS5_21rocsparse_index_base_b.numbered_sgpr, 16
	.set _ZN9rocsparseL19gebsrmvn_4xn_kernelILj128ELj2ELj16E21rocsparse_complex_numIfEEEvi20rocsparse_direction_NS_24const_host_device_scalarIT2_EEPKiS8_PKS5_SA_S6_PS5_21rocsparse_index_base_b.num_named_barrier, 0
	.set _ZN9rocsparseL19gebsrmvn_4xn_kernelILj128ELj2ELj16E21rocsparse_complex_numIfEEEvi20rocsparse_direction_NS_24const_host_device_scalarIT2_EEPKiS8_PKS5_SA_S6_PS5_21rocsparse_index_base_b.private_seg_size, 0
	.set _ZN9rocsparseL19gebsrmvn_4xn_kernelILj128ELj2ELj16E21rocsparse_complex_numIfEEEvi20rocsparse_direction_NS_24const_host_device_scalarIT2_EEPKiS8_PKS5_SA_S6_PS5_21rocsparse_index_base_b.uses_vcc, 1
	.set _ZN9rocsparseL19gebsrmvn_4xn_kernelILj128ELj2ELj16E21rocsparse_complex_numIfEEEvi20rocsparse_direction_NS_24const_host_device_scalarIT2_EEPKiS8_PKS5_SA_S6_PS5_21rocsparse_index_base_b.uses_flat_scratch, 0
	.set _ZN9rocsparseL19gebsrmvn_4xn_kernelILj128ELj2ELj16E21rocsparse_complex_numIfEEEvi20rocsparse_direction_NS_24const_host_device_scalarIT2_EEPKiS8_PKS5_SA_S6_PS5_21rocsparse_index_base_b.has_dyn_sized_stack, 0
	.set _ZN9rocsparseL19gebsrmvn_4xn_kernelILj128ELj2ELj16E21rocsparse_complex_numIfEEEvi20rocsparse_direction_NS_24const_host_device_scalarIT2_EEPKiS8_PKS5_SA_S6_PS5_21rocsparse_index_base_b.has_recursion, 0
	.set _ZN9rocsparseL19gebsrmvn_4xn_kernelILj128ELj2ELj16E21rocsparse_complex_numIfEEEvi20rocsparse_direction_NS_24const_host_device_scalarIT2_EEPKiS8_PKS5_SA_S6_PS5_21rocsparse_index_base_b.has_indirect_call, 0
	.section	.AMDGPU.csdata,"",@progbits
; Kernel info:
; codeLenInByte = 1940
; TotalNumSgprs: 20
; NumVgprs: 47
; ScratchSize: 0
; MemoryBound: 0
; FloatMode: 240
; IeeeMode: 1
; LDSByteSize: 0 bytes/workgroup (compile time only)
; SGPRBlocks: 2
; VGPRBlocks: 11
; NumSGPRsForWavesPerEU: 20
; NumVGPRsForWavesPerEU: 47
; Occupancy: 5
; WaveLimiterHint : 1
; COMPUTE_PGM_RSRC2:SCRATCH_EN: 0
; COMPUTE_PGM_RSRC2:USER_SGPR: 6
; COMPUTE_PGM_RSRC2:TRAP_HANDLER: 0
; COMPUTE_PGM_RSRC2:TGID_X_EN: 1
; COMPUTE_PGM_RSRC2:TGID_Y_EN: 0
; COMPUTE_PGM_RSRC2:TGID_Z_EN: 0
; COMPUTE_PGM_RSRC2:TIDIG_COMP_CNT: 0
	.section	.text._ZN9rocsparseL19gebsrmvn_4xn_kernelILj128ELj2ELj32E21rocsparse_complex_numIfEEEvi20rocsparse_direction_NS_24const_host_device_scalarIT2_EEPKiS8_PKS5_SA_S6_PS5_21rocsparse_index_base_b,"axG",@progbits,_ZN9rocsparseL19gebsrmvn_4xn_kernelILj128ELj2ELj32E21rocsparse_complex_numIfEEEvi20rocsparse_direction_NS_24const_host_device_scalarIT2_EEPKiS8_PKS5_SA_S6_PS5_21rocsparse_index_base_b,comdat
	.globl	_ZN9rocsparseL19gebsrmvn_4xn_kernelILj128ELj2ELj32E21rocsparse_complex_numIfEEEvi20rocsparse_direction_NS_24const_host_device_scalarIT2_EEPKiS8_PKS5_SA_S6_PS5_21rocsparse_index_base_b ; -- Begin function _ZN9rocsparseL19gebsrmvn_4xn_kernelILj128ELj2ELj32E21rocsparse_complex_numIfEEEvi20rocsparse_direction_NS_24const_host_device_scalarIT2_EEPKiS8_PKS5_SA_S6_PS5_21rocsparse_index_base_b
	.p2align	8
	.type	_ZN9rocsparseL19gebsrmvn_4xn_kernelILj128ELj2ELj32E21rocsparse_complex_numIfEEEvi20rocsparse_direction_NS_24const_host_device_scalarIT2_EEPKiS8_PKS5_SA_S6_PS5_21rocsparse_index_base_b,@function
_ZN9rocsparseL19gebsrmvn_4xn_kernelILj128ELj2ELj32E21rocsparse_complex_numIfEEEvi20rocsparse_direction_NS_24const_host_device_scalarIT2_EEPKiS8_PKS5_SA_S6_PS5_21rocsparse_index_base_b: ; @_ZN9rocsparseL19gebsrmvn_4xn_kernelILj128ELj2ELj32E21rocsparse_complex_numIfEEEvi20rocsparse_direction_NS_24const_host_device_scalarIT2_EEPKiS8_PKS5_SA_S6_PS5_21rocsparse_index_base_b
; %bb.0:
	s_load_dwordx2 s[0:1], s[4:5], 0x8
	s_load_dwordx2 s[8:9], s[4:5], 0x30
	;; [unrolled: 1-line block ×3, first 2 shown]
	s_add_u32 s7, s4, 8
	s_addc_u32 s10, s5, 0
	s_add_u32 s11, s4, 48
	s_addc_u32 s12, s5, 0
	s_waitcnt lgkmcnt(0)
	s_bitcmp1_b32 s3, 0
	s_cselect_b32 s1, s10, s1
	s_cselect_b32 s0, s7, s0
	v_mov_b32_e32 v1, s0
	v_mov_b32_e32 v2, s1
	flat_load_dwordx2 v[1:2], v[1:2]
	s_cselect_b32 s0, s12, s9
	s_cselect_b32 s1, s11, s8
	v_mov_b32_e32 v3, s1
	v_mov_b32_e32 v4, s0
	flat_load_dwordx2 v[3:4], v[3:4]
	s_waitcnt vmcnt(0) lgkmcnt(0)
	v_cmp_eq_f32_e32 vcc, 0, v1
	v_cmp_eq_f32_e64 s[0:1], 0, v2
	s_and_b64 s[10:11], vcc, s[0:1]
	s_mov_b64 s[0:1], -1
	s_and_saveexec_b64 s[8:9], s[10:11]
; %bb.1:
	v_cmp_neq_f32_e32 vcc, 1.0, v3
	v_cmp_neq_f32_e64 s[0:1], 0, v4
	s_or_b64 s[0:1], vcc, s[0:1]
	s_orn2_b64 s[0:1], s[0:1], exec
; %bb.2:
	s_or_b64 exec, exec, s[8:9]
	s_and_saveexec_b64 s[8:9], s[0:1]
	s_cbranch_execz .LBB82_21
; %bb.3:
	s_load_dwordx2 s[0:1], s[4:5], 0x0
	v_lshrrev_b32_e32 v5, 5, v0
	v_lshl_or_b32 v5, s6, 2, v5
	s_waitcnt lgkmcnt(0)
	v_cmp_gt_i32_e32 vcc, s0, v5
	s_and_b64 exec, exec, vcc
	s_cbranch_execz .LBB82_21
; %bb.4:
	s_load_dwordx8 s[8:15], s[4:5], 0x10
	v_ashrrev_i32_e32 v6, 31, v5
	v_lshlrev_b64 v[6:7], 2, v[5:6]
	v_and_b32_e32 v0, 31, v0
	s_cmp_lg_u32 s1, 0
	s_waitcnt lgkmcnt(0)
	v_mov_b32_e32 v8, s9
	v_add_co_u32_e32 v6, vcc, s8, v6
	v_addc_co_u32_e32 v7, vcc, v8, v7, vcc
	global_load_dwordx2 v[6:7], v[6:7], off
	s_waitcnt vmcnt(0)
	v_subrev_u32_e32 v6, s2, v6
	v_subrev_u32_e32 v16, s2, v7
	v_add_u32_e32 v6, v6, v0
	v_cmp_lt_i32_e64 s[0:1], v6, v16
	s_cbranch_scc0 .LBB82_10
; %bb.5:
	v_mov_b32_e32 v14, 0
	v_mov_b32_e32 v18, 0
	;; [unrolled: 1-line block ×8, first 2 shown]
	s_and_saveexec_b64 s[6:7], s[0:1]
	s_cbranch_execz .LBB82_9
; %bb.6:
	v_mov_b32_e32 v8, 0
	v_lshlrev_b32_e32 v7, 3, v6
	s_mov_b64 s[8:9], 0
	v_mov_b32_e32 v20, s11
	v_mov_b32_e32 v21, s13
	;; [unrolled: 1-line block ×12, first 2 shown]
.LBB82_7:                               ; =>This Inner Loop Header: Depth=1
	v_ashrrev_i32_e32 v10, 31, v9
	v_lshlrev_b64 v[23:24], 2, v[9:10]
	v_mov_b32_e32 v36, v8
	v_add_co_u32_e32 v23, vcc, s10, v23
	v_addc_co_u32_e32 v24, vcc, v20, v24, vcc
	global_load_dword v10, v[23:24], off
	v_lshlrev_b64 v[23:24], 3, v[7:8]
	v_add_u32_e32 v9, 32, v9
	v_add_co_u32_e32 v43, vcc, s12, v23
	v_addc_co_u32_e32 v44, vcc, v21, v24, vcc
	global_load_dwordx4 v[23:26], v[43:44], off
	global_load_dwordx4 v[27:30], v[43:44], off offset:16
	global_load_dwordx4 v[31:34], v[43:44], off offset:32
	v_add_u32_e32 v7, 0x100, v7
	s_waitcnt vmcnt(3)
	v_subrev_u32_e32 v10, s2, v10
	v_lshlrev_b32_e32 v35, 1, v10
	v_lshlrev_b64 v[35:36], 3, v[35:36]
	v_add_co_u32_e32 v45, vcc, s14, v35
	v_addc_co_u32_e32 v46, vcc, v22, v36, vcc
	global_load_dwordx4 v[35:38], v[45:46], off
	global_load_dwordx4 v[39:42], v[43:44], off offset:48
	v_cmp_ge_i32_e32 vcc, v9, v16
	s_or_b64 s[8:9], vcc, s[8:9]
	s_waitcnt vmcnt(1)
	v_fmac_f32_e32 v18, v23, v35
	v_fmac_f32_e32 v14, v24, v35
	;; [unrolled: 1-line block ×8, first 2 shown]
	v_fma_f32 v10, -v24, v36, v18
	v_fmac_f32_e32 v14, v23, v36
	v_fma_f32 v19, -v26, v36, v19
	v_fmac_f32_e32 v15, v25, v36
	;; [unrolled: 2-line block ×4, first 2 shown]
	v_fmac_f32_e32 v10, v31, v37
	v_fmac_f32_e32 v14, v32, v37
	;; [unrolled: 1-line block ×4, first 2 shown]
	s_waitcnt vmcnt(0)
	v_fmac_f32_e32 v17, v39, v37
	v_fmac_f32_e32 v12, v40, v37
	;; [unrolled: 1-line block ×4, first 2 shown]
	v_fma_f32 v18, -v32, v38, v10
	v_fmac_f32_e32 v14, v31, v38
	v_fma_f32 v19, -v34, v38, v19
	v_fmac_f32_e32 v15, v33, v38
	;; [unrolled: 2-line block ×4, first 2 shown]
	s_andn2_b64 exec, exec, s[8:9]
	s_cbranch_execnz .LBB82_7
; %bb.8:
	s_or_b64 exec, exec, s[8:9]
.LBB82_9:
	s_or_b64 exec, exec, s[6:7]
	s_cbranch_execz .LBB82_11
	s_branch .LBB82_16
.LBB82_10:
                                        ; implicit-def: $vgpr14
                                        ; implicit-def: $vgpr18
                                        ; implicit-def: $vgpr13
                                        ; implicit-def: $vgpr11
                                        ; implicit-def: $vgpr17
                                        ; implicit-def: $vgpr12
                                        ; implicit-def: $vgpr19
                                        ; implicit-def: $vgpr15
.LBB82_11:
	v_mov_b32_e32 v14, 0
	v_mov_b32_e32 v18, 0
	v_mov_b32_e32 v13, 0
	v_mov_b32_e32 v11, 0
	v_mov_b32_e32 v17, 0
	v_mov_b32_e32 v12, 0
	v_mov_b32_e32 v19, 0
	v_mov_b32_e32 v15, 0
	s_and_saveexec_b64 s[6:7], s[0:1]
	s_cbranch_execz .LBB82_15
; %bb.12:
	v_mov_b32_e32 v9, 0
	v_lshlrev_b32_e32 v8, 3, v6
	s_mov_b64 s[0:1], 0
	v_mov_b32_e32 v10, s11
	v_mov_b32_e32 v20, s13
	;; [unrolled: 1-line block ×11, first 2 shown]
.LBB82_13:                              ; =>This Inner Loop Header: Depth=1
	v_lshlrev_b64 v[22:23], 3, v[8:9]
	v_ashrrev_i32_e32 v7, 31, v6
	v_lshlrev_b64 v[24:25], 2, v[6:7]
	v_add_co_u32_e32 v38, vcc, s12, v22
	v_addc_co_u32_e32 v39, vcc, v20, v23, vcc
	v_add_co_u32_e32 v32, vcc, s10, v24
	v_addc_co_u32_e32 v33, vcc, v10, v25, vcc
	global_load_dwordx4 v[22:25], v[38:39], off
	global_load_dwordx4 v[26:29], v[38:39], off offset:16
	global_load_dword v7, v[32:33], off
	v_mov_b32_e32 v31, v9
	v_add_u32_e32 v6, 32, v6
	v_add_u32_e32 v8, 0x100, v8
	s_waitcnt vmcnt(0)
	v_subrev_u32_e32 v7, s2, v7
	v_lshlrev_b32_e32 v30, 1, v7
	v_lshlrev_b64 v[30:31], 3, v[30:31]
	v_add_co_u32_e32 v30, vcc, s14, v30
	v_addc_co_u32_e32 v31, vcc, v21, v31, vcc
	global_load_dwordx4 v[30:33], v[30:31], off
	v_cmp_ge_i32_e32 vcc, v6, v16
	s_or_b64 s[0:1], vcc, s[0:1]
	s_waitcnt vmcnt(0)
	v_fmac_f32_e32 v18, v22, v30
	v_fmac_f32_e32 v14, v23, v30
	v_fma_f32 v7, -v23, v31, v18
	v_fmac_f32_e32 v14, v22, v31
	v_fmac_f32_e32 v7, v24, v32
	;; [unrolled: 1-line block ×3, first 2 shown]
	v_fma_f32 v18, -v25, v33, v7
	v_fmac_f32_e32 v14, v24, v33
	global_load_dwordx4 v[22:25], v[38:39], off offset:32
	global_load_dwordx4 v[34:37], v[38:39], off offset:48
	v_fmac_f32_e32 v19, v26, v30
	v_fmac_f32_e32 v15, v27, v30
	v_fma_f32 v7, -v27, v31, v19
	v_fmac_f32_e32 v15, v26, v31
	v_fmac_f32_e32 v7, v28, v32
	;; [unrolled: 1-line block ×3, first 2 shown]
	v_fma_f32 v19, -v29, v33, v7
	v_fmac_f32_e32 v15, v28, v33
	s_waitcnt vmcnt(1)
	v_fmac_f32_e32 v17, v22, v30
	v_fmac_f32_e32 v12, v23, v30
	s_waitcnt vmcnt(0)
	v_fmac_f32_e32 v13, v34, v30
	v_fmac_f32_e32 v11, v35, v30
	v_fma_f32 v17, -v23, v31, v17
	v_fmac_f32_e32 v12, v22, v31
	v_fma_f32 v13, -v35, v31, v13
	v_fmac_f32_e32 v11, v34, v31
	v_fmac_f32_e32 v17, v24, v32
	;; [unrolled: 1-line block ×5, first 2 shown]
	v_fma_f32 v17, -v25, v33, v17
	v_fmac_f32_e32 v12, v24, v33
	v_fma_f32 v13, -v37, v33, v13
	v_fmac_f32_e32 v11, v36, v33
	s_andn2_b64 exec, exec, s[0:1]
	s_cbranch_execnz .LBB82_13
; %bb.14:
	s_or_b64 exec, exec, s[0:1]
.LBB82_15:
	s_or_b64 exec, exec, s[6:7]
.LBB82_16:
	v_mov_b32_dpp v10, v19 row_shr:1 row_mask:0xf bank_mask:0xf
	v_mov_b32_dpp v8, v14 row_shr:1 row_mask:0xf bank_mask:0xf
	v_add_f32_e32 v10, v19, v10
	v_add_f32_e32 v8, v14, v8
	v_mov_b32_dpp v6, v18 row_shr:1 row_mask:0xf bank_mask:0xf
	v_mov_b32_dpp v14, v10 row_shr:2 row_mask:0xf bank_mask:0xf
	v_add_f32_e32 v10, v10, v14
	v_add_f32_e32 v6, v18, v6
	v_mov_b32_dpp v9, v8 row_shr:2 row_mask:0xf bank_mask:0xf
	v_mov_b32_dpp v14, v10 row_shr:4 row_mask:0xf bank_mask:0xe
	v_add_f32_e32 v10, v10, v14
	v_mov_b32_dpp v7, v6 row_shr:2 row_mask:0xf bank_mask:0xf
	v_add_f32_e32 v6, v6, v7
	;; [unrolled: 2-line block ×4, first 2 shown]
	v_add_f32_e32 v8, v8, v9
	v_mov_b32_dpp v7, v6 row_shr:4 row_mask:0xf bank_mask:0xe
	v_mov_b32_dpp v15, v10 row_shr:2 row_mask:0xf bank_mask:0xf
	v_add_f32_e32 v10, v10, v15
	v_mov_b32_dpp v9, v8 row_shr:4 row_mask:0xf bank_mask:0xe
	v_add_f32_e32 v6, v6, v7
	;; [unrolled: 2-line block ×3, first 2 shown]
	v_add_f32_e32 v8, v8, v9
	v_mov_b32_dpp v7, v6 row_shr:8 row_mask:0xf bank_mask:0xc
	v_mov_b32_dpp v15, v10 row_shr:8 row_mask:0xf bank_mask:0xc
	v_add_f32_e32 v15, v10, v15
	v_mov_b32_dpp v10, v17 row_shr:1 row_mask:0xf bank_mask:0xf
	v_add_f32_e32 v10, v17, v10
	;; [unrolled: 2-line block ×4, first 2 shown]
	v_add_f32_e32 v8, v8, v9
	v_mov_b32_dpp v7, v6 row_bcast:15 row_mask:0xa bank_mask:0xf
	v_mov_b32_dpp v17, v10 row_shr:4 row_mask:0xf bank_mask:0xe
	v_add_f32_e32 v10, v10, v17
	v_mov_b32_dpp v9, v8 row_bcast:15 row_mask:0xa bank_mask:0xf
	v_mov_b32_dpp v16, v14 row_bcast:15 row_mask:0xa bank_mask:0xf
	v_mov_b32_dpp v17, v10 row_shr:8 row_mask:0xf bank_mask:0xc
	v_add_f32_e32 v17, v10, v17
	v_mov_b32_dpp v10, v12 row_shr:1 row_mask:0xf bank_mask:0xf
	v_add_f32_e32 v10, v12, v10
	v_mov_b32_dpp v18, v15 row_bcast:15 row_mask:0xa bank_mask:0xf
	v_mov_b32_dpp v19, v17 row_bcast:15 row_mask:0xa bank_mask:0xf
	v_mov_b32_dpp v12, v10 row_shr:2 row_mask:0xf bank_mask:0xf
	v_add_f32_e32 v10, v10, v12
	v_cmp_eq_u32_e32 vcc, 31, v0
	s_nop 0
	v_mov_b32_dpp v12, v10 row_shr:4 row_mask:0xf bank_mask:0xe
	v_add_f32_e32 v10, v10, v12
	s_nop 1
	v_mov_b32_dpp v12, v10 row_shr:8 row_mask:0xf bank_mask:0xc
	v_add_f32_e32 v20, v10, v12
	v_mov_b32_dpp v10, v13 row_shr:1 row_mask:0xf bank_mask:0xf
	v_add_f32_e32 v10, v13, v10
	v_mov_b32_dpp v21, v20 row_bcast:15 row_mask:0xa bank_mask:0xf
	s_nop 0
	v_mov_b32_dpp v12, v10 row_shr:2 row_mask:0xf bank_mask:0xf
	v_add_f32_e32 v10, v10, v12
	s_nop 1
	v_mov_b32_dpp v12, v10 row_shr:4 row_mask:0xf bank_mask:0xe
	v_add_f32_e32 v10, v10, v12
	;; [unrolled: 3-line block ×3, first 2 shown]
	v_mov_b32_dpp v10, v11 row_shr:1 row_mask:0xf bank_mask:0xf
	v_add_f32_e32 v10, v11, v10
	v_mov_b32_dpp v22, v13 row_bcast:15 row_mask:0xa bank_mask:0xf
	s_nop 0
	v_mov_b32_dpp v11, v10 row_shr:2 row_mask:0xf bank_mask:0xf
	v_add_f32_e32 v10, v10, v11
	s_nop 1
	v_mov_b32_dpp v11, v10 row_shr:4 row_mask:0xf bank_mask:0xe
	v_add_f32_e32 v10, v10, v11
	;; [unrolled: 3-line block ×3, first 2 shown]
	s_nop 1
	v_mov_b32_dpp v24, v23 row_bcast:15 row_mask:0xa bank_mask:0xf
	s_and_b64 exec, exec, vcc
	s_cbranch_execz .LBB82_21
; %bb.17:
	s_load_dwordx2 s[2:3], s[4:5], 0x38
	v_cmp_eq_f32_e32 vcc, 0, v3
	v_cmp_eq_f32_e64 s[0:1], 0, v4
	v_add_f32_e32 v10, v6, v7
	v_add_f32_e32 v12, v8, v9
	;; [unrolled: 1-line block ×8, first 2 shown]
	s_and_b64 s[0:1], vcc, s[0:1]
	s_and_saveexec_b64 s[4:5], s[0:1]
	s_xor_b64 s[0:1], exec, s[4:5]
	s_cbranch_execz .LBB82_19
; %bb.18:
	v_lshlrev_b32_e32 v3, 2, v5
	v_ashrrev_i32_e32 v4, 31, v3
	v_lshlrev_b64 v[3:4], 3, v[3:4]
	s_waitcnt lgkmcnt(0)
	v_mov_b32_e32 v5, s3
	v_add_co_u32_e32 v17, vcc, s2, v3
	v_addc_co_u32_e32 v18, vcc, v5, v4, vcc
	v_mul_f32_e64 v3, v9, -v2
	v_mul_f32_e32 v4, v1, v9
	v_mul_f32_e64 v13, v12, -v2
	v_mul_f32_e32 v14, v1, v12
	;; [unrolled: 2-line block ×3, first 2 shown]
	v_fmac_f32_e32 v3, v1, v6
	v_fmac_f32_e32 v4, v2, v6
	v_mul_f32_e64 v5, v7, -v2
	v_mul_f32_e32 v6, v1, v7
	v_fmac_f32_e32 v13, v1, v10
	v_fmac_f32_e32 v14, v2, v10
	;; [unrolled: 1-line block ×6, first 2 shown]
	global_store_dwordx4 v[17:18], v[13:16], off
	global_store_dwordx4 v[17:18], v[3:6], off offset:16
                                        ; implicit-def: $vgpr5
                                        ; implicit-def: $vgpr10
                                        ; implicit-def: $vgpr12
                                        ; implicit-def: $vgpr8
                                        ; implicit-def: $vgpr11
                                        ; implicit-def: $vgpr6
                                        ; implicit-def: $vgpr9
                                        ; implicit-def: $vgpr0
                                        ; implicit-def: $vgpr7
                                        ; implicit-def: $vgpr1_vgpr2
                                        ; implicit-def: $vgpr3_vgpr4
.LBB82_19:
	s_andn2_saveexec_b64 s[0:1], s[0:1]
	s_cbranch_execz .LBB82_21
; %bb.20:
	v_lshlrev_b32_e32 v13, 2, v5
	v_ashrrev_i32_e32 v14, 31, v13
	v_lshlrev_b64 v[13:14], 3, v[13:14]
	s_waitcnt lgkmcnt(0)
	v_mov_b32_e32 v5, s3
	v_add_co_u32_e32 v25, vcc, s2, v13
	v_addc_co_u32_e32 v26, vcc, v5, v14, vcc
	global_load_dwordx4 v[13:16], v[25:26], off
	global_load_dwordx4 v[17:20], v[25:26], off offset:16
	v_mul_f32_e64 v5, v12, -v2
	v_mul_f32_e32 v22, v1, v12
	v_mul_f32_e64 v12, v11, -v2
	v_mul_f32_e32 v24, v1, v11
	;; [unrolled: 2-line block ×4, first 2 shown]
	v_fmac_f32_e32 v5, v1, v10
	v_fmac_f32_e32 v22, v2, v10
	;; [unrolled: 1-line block ×8, first 2 shown]
	s_waitcnt vmcnt(1)
	v_fmac_f32_e32 v5, v3, v13
	v_fmac_f32_e32 v22, v4, v13
	;; [unrolled: 1-line block ×4, first 2 shown]
	s_waitcnt vmcnt(0)
	v_fmac_f32_e32 v27, v3, v17
	v_fmac_f32_e32 v9, v4, v17
	;; [unrolled: 1-line block ×4, first 2 shown]
	v_fma_f32 v21, -v4, v14, v5
	v_fmac_f32_e32 v22, v3, v14
	v_fma_f32 v23, -v4, v16, v12
	v_fmac_f32_e32 v24, v3, v16
	v_fma_f32 v8, -v4, v18, v27
	v_fmac_f32_e32 v9, v3, v18
	v_fma_f32 v10, -v4, v20, v28
	v_fmac_f32_e32 v11, v3, v20
	global_store_dwordx4 v[25:26], v[21:24], off
	global_store_dwordx4 v[25:26], v[8:11], off offset:16
.LBB82_21:
	s_endpgm
	.section	.rodata,"a",@progbits
	.p2align	6, 0x0
	.amdhsa_kernel _ZN9rocsparseL19gebsrmvn_4xn_kernelILj128ELj2ELj32E21rocsparse_complex_numIfEEEvi20rocsparse_direction_NS_24const_host_device_scalarIT2_EEPKiS8_PKS5_SA_S6_PS5_21rocsparse_index_base_b
		.amdhsa_group_segment_fixed_size 0
		.amdhsa_private_segment_fixed_size 0
		.amdhsa_kernarg_size 72
		.amdhsa_user_sgpr_count 6
		.amdhsa_user_sgpr_private_segment_buffer 1
		.amdhsa_user_sgpr_dispatch_ptr 0
		.amdhsa_user_sgpr_queue_ptr 0
		.amdhsa_user_sgpr_kernarg_segment_ptr 1
		.amdhsa_user_sgpr_dispatch_id 0
		.amdhsa_user_sgpr_flat_scratch_init 0
		.amdhsa_user_sgpr_private_segment_size 0
		.amdhsa_uses_dynamic_stack 0
		.amdhsa_system_sgpr_private_segment_wavefront_offset 0
		.amdhsa_system_sgpr_workgroup_id_x 1
		.amdhsa_system_sgpr_workgroup_id_y 0
		.amdhsa_system_sgpr_workgroup_id_z 0
		.amdhsa_system_sgpr_workgroup_info 0
		.amdhsa_system_vgpr_workitem_id 0
		.amdhsa_next_free_vgpr 47
		.amdhsa_next_free_sgpr 16
		.amdhsa_reserve_vcc 1
		.amdhsa_reserve_flat_scratch 0
		.amdhsa_float_round_mode_32 0
		.amdhsa_float_round_mode_16_64 0
		.amdhsa_float_denorm_mode_32 3
		.amdhsa_float_denorm_mode_16_64 3
		.amdhsa_dx10_clamp 1
		.amdhsa_ieee_mode 1
		.amdhsa_fp16_overflow 0
		.amdhsa_exception_fp_ieee_invalid_op 0
		.amdhsa_exception_fp_denorm_src 0
		.amdhsa_exception_fp_ieee_div_zero 0
		.amdhsa_exception_fp_ieee_overflow 0
		.amdhsa_exception_fp_ieee_underflow 0
		.amdhsa_exception_fp_ieee_inexact 0
		.amdhsa_exception_int_div_zero 0
	.end_amdhsa_kernel
	.section	.text._ZN9rocsparseL19gebsrmvn_4xn_kernelILj128ELj2ELj32E21rocsparse_complex_numIfEEEvi20rocsparse_direction_NS_24const_host_device_scalarIT2_EEPKiS8_PKS5_SA_S6_PS5_21rocsparse_index_base_b,"axG",@progbits,_ZN9rocsparseL19gebsrmvn_4xn_kernelILj128ELj2ELj32E21rocsparse_complex_numIfEEEvi20rocsparse_direction_NS_24const_host_device_scalarIT2_EEPKiS8_PKS5_SA_S6_PS5_21rocsparse_index_base_b,comdat
.Lfunc_end82:
	.size	_ZN9rocsparseL19gebsrmvn_4xn_kernelILj128ELj2ELj32E21rocsparse_complex_numIfEEEvi20rocsparse_direction_NS_24const_host_device_scalarIT2_EEPKiS8_PKS5_SA_S6_PS5_21rocsparse_index_base_b, .Lfunc_end82-_ZN9rocsparseL19gebsrmvn_4xn_kernelILj128ELj2ELj32E21rocsparse_complex_numIfEEEvi20rocsparse_direction_NS_24const_host_device_scalarIT2_EEPKiS8_PKS5_SA_S6_PS5_21rocsparse_index_base_b
                                        ; -- End function
	.set _ZN9rocsparseL19gebsrmvn_4xn_kernelILj128ELj2ELj32E21rocsparse_complex_numIfEEEvi20rocsparse_direction_NS_24const_host_device_scalarIT2_EEPKiS8_PKS5_SA_S6_PS5_21rocsparse_index_base_b.num_vgpr, 47
	.set _ZN9rocsparseL19gebsrmvn_4xn_kernelILj128ELj2ELj32E21rocsparse_complex_numIfEEEvi20rocsparse_direction_NS_24const_host_device_scalarIT2_EEPKiS8_PKS5_SA_S6_PS5_21rocsparse_index_base_b.num_agpr, 0
	.set _ZN9rocsparseL19gebsrmvn_4xn_kernelILj128ELj2ELj32E21rocsparse_complex_numIfEEEvi20rocsparse_direction_NS_24const_host_device_scalarIT2_EEPKiS8_PKS5_SA_S6_PS5_21rocsparse_index_base_b.numbered_sgpr, 16
	.set _ZN9rocsparseL19gebsrmvn_4xn_kernelILj128ELj2ELj32E21rocsparse_complex_numIfEEEvi20rocsparse_direction_NS_24const_host_device_scalarIT2_EEPKiS8_PKS5_SA_S6_PS5_21rocsparse_index_base_b.num_named_barrier, 0
	.set _ZN9rocsparseL19gebsrmvn_4xn_kernelILj128ELj2ELj32E21rocsparse_complex_numIfEEEvi20rocsparse_direction_NS_24const_host_device_scalarIT2_EEPKiS8_PKS5_SA_S6_PS5_21rocsparse_index_base_b.private_seg_size, 0
	.set _ZN9rocsparseL19gebsrmvn_4xn_kernelILj128ELj2ELj32E21rocsparse_complex_numIfEEEvi20rocsparse_direction_NS_24const_host_device_scalarIT2_EEPKiS8_PKS5_SA_S6_PS5_21rocsparse_index_base_b.uses_vcc, 1
	.set _ZN9rocsparseL19gebsrmvn_4xn_kernelILj128ELj2ELj32E21rocsparse_complex_numIfEEEvi20rocsparse_direction_NS_24const_host_device_scalarIT2_EEPKiS8_PKS5_SA_S6_PS5_21rocsparse_index_base_b.uses_flat_scratch, 0
	.set _ZN9rocsparseL19gebsrmvn_4xn_kernelILj128ELj2ELj32E21rocsparse_complex_numIfEEEvi20rocsparse_direction_NS_24const_host_device_scalarIT2_EEPKiS8_PKS5_SA_S6_PS5_21rocsparse_index_base_b.has_dyn_sized_stack, 0
	.set _ZN9rocsparseL19gebsrmvn_4xn_kernelILj128ELj2ELj32E21rocsparse_complex_numIfEEEvi20rocsparse_direction_NS_24const_host_device_scalarIT2_EEPKiS8_PKS5_SA_S6_PS5_21rocsparse_index_base_b.has_recursion, 0
	.set _ZN9rocsparseL19gebsrmvn_4xn_kernelILj128ELj2ELj32E21rocsparse_complex_numIfEEEvi20rocsparse_direction_NS_24const_host_device_scalarIT2_EEPKiS8_PKS5_SA_S6_PS5_21rocsparse_index_base_b.has_indirect_call, 0
	.section	.AMDGPU.csdata,"",@progbits
; Kernel info:
; codeLenInByte = 2056
; TotalNumSgprs: 20
; NumVgprs: 47
; ScratchSize: 0
; MemoryBound: 0
; FloatMode: 240
; IeeeMode: 1
; LDSByteSize: 0 bytes/workgroup (compile time only)
; SGPRBlocks: 2
; VGPRBlocks: 11
; NumSGPRsForWavesPerEU: 20
; NumVGPRsForWavesPerEU: 47
; Occupancy: 5
; WaveLimiterHint : 1
; COMPUTE_PGM_RSRC2:SCRATCH_EN: 0
; COMPUTE_PGM_RSRC2:USER_SGPR: 6
; COMPUTE_PGM_RSRC2:TRAP_HANDLER: 0
; COMPUTE_PGM_RSRC2:TGID_X_EN: 1
; COMPUTE_PGM_RSRC2:TGID_Y_EN: 0
; COMPUTE_PGM_RSRC2:TGID_Z_EN: 0
; COMPUTE_PGM_RSRC2:TIDIG_COMP_CNT: 0
	.section	.text._ZN9rocsparseL19gebsrmvn_4xn_kernelILj128ELj2ELj64E21rocsparse_complex_numIfEEEvi20rocsparse_direction_NS_24const_host_device_scalarIT2_EEPKiS8_PKS5_SA_S6_PS5_21rocsparse_index_base_b,"axG",@progbits,_ZN9rocsparseL19gebsrmvn_4xn_kernelILj128ELj2ELj64E21rocsparse_complex_numIfEEEvi20rocsparse_direction_NS_24const_host_device_scalarIT2_EEPKiS8_PKS5_SA_S6_PS5_21rocsparse_index_base_b,comdat
	.globl	_ZN9rocsparseL19gebsrmvn_4xn_kernelILj128ELj2ELj64E21rocsparse_complex_numIfEEEvi20rocsparse_direction_NS_24const_host_device_scalarIT2_EEPKiS8_PKS5_SA_S6_PS5_21rocsparse_index_base_b ; -- Begin function _ZN9rocsparseL19gebsrmvn_4xn_kernelILj128ELj2ELj64E21rocsparse_complex_numIfEEEvi20rocsparse_direction_NS_24const_host_device_scalarIT2_EEPKiS8_PKS5_SA_S6_PS5_21rocsparse_index_base_b
	.p2align	8
	.type	_ZN9rocsparseL19gebsrmvn_4xn_kernelILj128ELj2ELj64E21rocsparse_complex_numIfEEEvi20rocsparse_direction_NS_24const_host_device_scalarIT2_EEPKiS8_PKS5_SA_S6_PS5_21rocsparse_index_base_b,@function
_ZN9rocsparseL19gebsrmvn_4xn_kernelILj128ELj2ELj64E21rocsparse_complex_numIfEEEvi20rocsparse_direction_NS_24const_host_device_scalarIT2_EEPKiS8_PKS5_SA_S6_PS5_21rocsparse_index_base_b: ; @_ZN9rocsparseL19gebsrmvn_4xn_kernelILj128ELj2ELj64E21rocsparse_complex_numIfEEEvi20rocsparse_direction_NS_24const_host_device_scalarIT2_EEPKiS8_PKS5_SA_S6_PS5_21rocsparse_index_base_b
; %bb.0:
	s_load_dwordx2 s[0:1], s[4:5], 0x8
	s_load_dwordx2 s[8:9], s[4:5], 0x30
	s_load_dwordx2 s[2:3], s[4:5], 0x40
	s_add_u32 s7, s4, 8
	s_addc_u32 s10, s5, 0
	s_add_u32 s11, s4, 48
	s_addc_u32 s12, s5, 0
	s_waitcnt lgkmcnt(0)
	s_bitcmp1_b32 s3, 0
	s_cselect_b32 s1, s10, s1
	s_cselect_b32 s0, s7, s0
	v_mov_b32_e32 v1, s0
	v_mov_b32_e32 v2, s1
	flat_load_dwordx2 v[1:2], v[1:2]
	s_cselect_b32 s0, s12, s9
	s_cselect_b32 s1, s11, s8
	v_mov_b32_e32 v3, s1
	v_mov_b32_e32 v4, s0
	flat_load_dwordx2 v[3:4], v[3:4]
	s_waitcnt vmcnt(0) lgkmcnt(0)
	v_cmp_eq_f32_e32 vcc, 0, v1
	v_cmp_eq_f32_e64 s[0:1], 0, v2
	s_and_b64 s[10:11], vcc, s[0:1]
	s_mov_b64 s[0:1], -1
	s_and_saveexec_b64 s[8:9], s[10:11]
; %bb.1:
	v_cmp_neq_f32_e32 vcc, 1.0, v3
	v_cmp_neq_f32_e64 s[0:1], 0, v4
	s_or_b64 s[0:1], vcc, s[0:1]
	s_orn2_b64 s[0:1], s[0:1], exec
; %bb.2:
	s_or_b64 exec, exec, s[8:9]
	s_and_saveexec_b64 s[8:9], s[0:1]
	s_cbranch_execz .LBB83_21
; %bb.3:
	s_load_dwordx2 s[0:1], s[4:5], 0x0
	v_lshrrev_b32_e32 v5, 6, v0
	v_lshl_or_b32 v5, s6, 1, v5
	s_waitcnt lgkmcnt(0)
	v_cmp_gt_i32_e32 vcc, s0, v5
	s_and_b64 exec, exec, vcc
	s_cbranch_execz .LBB83_21
; %bb.4:
	s_load_dwordx8 s[8:15], s[4:5], 0x10
	v_ashrrev_i32_e32 v6, 31, v5
	v_lshlrev_b64 v[6:7], 2, v[5:6]
	v_and_b32_e32 v0, 63, v0
	s_cmp_lg_u32 s1, 0
	s_waitcnt lgkmcnt(0)
	v_mov_b32_e32 v8, s9
	v_add_co_u32_e32 v6, vcc, s8, v6
	v_addc_co_u32_e32 v7, vcc, v8, v7, vcc
	global_load_dwordx2 v[6:7], v[6:7], off
	s_waitcnt vmcnt(0)
	v_subrev_u32_e32 v6, s2, v6
	v_subrev_u32_e32 v17, s2, v7
	v_add_u32_e32 v6, v6, v0
	v_cmp_lt_i32_e64 s[0:1], v6, v17
	s_cbranch_scc0 .LBB83_10
; %bb.5:
	v_mov_b32_e32 v14, 0
	v_mov_b32_e32 v18, 0
	;; [unrolled: 1-line block ×8, first 2 shown]
	s_and_saveexec_b64 s[6:7], s[0:1]
	s_cbranch_execz .LBB83_9
; %bb.6:
	v_mov_b32_e32 v8, 0
	v_lshlrev_b32_e32 v7, 3, v6
	s_mov_b64 s[8:9], 0
	v_mov_b32_e32 v20, s11
	v_mov_b32_e32 v21, s13
	;; [unrolled: 1-line block ×12, first 2 shown]
.LBB83_7:                               ; =>This Inner Loop Header: Depth=1
	v_ashrrev_i32_e32 v10, 31, v9
	v_lshlrev_b64 v[23:24], 2, v[9:10]
	v_mov_b32_e32 v36, v8
	v_add_co_u32_e32 v23, vcc, s10, v23
	v_addc_co_u32_e32 v24, vcc, v20, v24, vcc
	global_load_dword v10, v[23:24], off
	v_lshlrev_b64 v[23:24], 3, v[7:8]
	v_add_u32_e32 v9, 64, v9
	v_add_co_u32_e32 v43, vcc, s12, v23
	v_addc_co_u32_e32 v44, vcc, v21, v24, vcc
	global_load_dwordx4 v[23:26], v[43:44], off
	global_load_dwordx4 v[27:30], v[43:44], off offset:16
	global_load_dwordx4 v[31:34], v[43:44], off offset:32
	v_add_u32_e32 v7, 0x200, v7
	s_waitcnt vmcnt(3)
	v_subrev_u32_e32 v10, s2, v10
	v_lshlrev_b32_e32 v35, 1, v10
	v_lshlrev_b64 v[35:36], 3, v[35:36]
	v_add_co_u32_e32 v45, vcc, s14, v35
	v_addc_co_u32_e32 v46, vcc, v22, v36, vcc
	global_load_dwordx4 v[35:38], v[45:46], off
	global_load_dwordx4 v[39:42], v[43:44], off offset:48
	v_cmp_ge_i32_e32 vcc, v9, v17
	s_or_b64 s[8:9], vcc, s[8:9]
	s_waitcnt vmcnt(1)
	v_fmac_f32_e32 v18, v23, v35
	v_fmac_f32_e32 v14, v24, v35
	;; [unrolled: 1-line block ×8, first 2 shown]
	v_fma_f32 v10, -v24, v36, v18
	v_fmac_f32_e32 v14, v23, v36
	v_fma_f32 v19, -v26, v36, v19
	v_fmac_f32_e32 v15, v25, v36
	v_fma_f32 v16, -v28, v36, v16
	v_fmac_f32_e32 v12, v27, v36
	v_fma_f32 v13, -v30, v36, v13
	v_fmac_f32_e32 v11, v29, v36
	v_fmac_f32_e32 v10, v31, v37
	v_fmac_f32_e32 v14, v32, v37
	;; [unrolled: 1-line block ×4, first 2 shown]
	s_waitcnt vmcnt(0)
	v_fmac_f32_e32 v16, v39, v37
	v_fmac_f32_e32 v12, v40, v37
	;; [unrolled: 1-line block ×4, first 2 shown]
	v_fma_f32 v18, -v32, v38, v10
	v_fmac_f32_e32 v14, v31, v38
	v_fma_f32 v19, -v34, v38, v19
	v_fmac_f32_e32 v15, v33, v38
	;; [unrolled: 2-line block ×4, first 2 shown]
	s_andn2_b64 exec, exec, s[8:9]
	s_cbranch_execnz .LBB83_7
; %bb.8:
	s_or_b64 exec, exec, s[8:9]
.LBB83_9:
	s_or_b64 exec, exec, s[6:7]
	s_cbranch_execz .LBB83_11
	s_branch .LBB83_16
.LBB83_10:
                                        ; implicit-def: $vgpr14
                                        ; implicit-def: $vgpr18
                                        ; implicit-def: $vgpr13
                                        ; implicit-def: $vgpr11
                                        ; implicit-def: $vgpr16
                                        ; implicit-def: $vgpr12
                                        ; implicit-def: $vgpr19
                                        ; implicit-def: $vgpr15
.LBB83_11:
	v_mov_b32_e32 v14, 0
	v_mov_b32_e32 v18, 0
	;; [unrolled: 1-line block ×8, first 2 shown]
	s_and_saveexec_b64 s[6:7], s[0:1]
	s_cbranch_execz .LBB83_15
; %bb.12:
	v_mov_b32_e32 v9, 0
	v_lshlrev_b32_e32 v8, 3, v6
	s_mov_b64 s[0:1], 0
	v_mov_b32_e32 v10, s11
	v_mov_b32_e32 v20, s13
	;; [unrolled: 1-line block ×11, first 2 shown]
.LBB83_13:                              ; =>This Inner Loop Header: Depth=1
	v_lshlrev_b64 v[22:23], 3, v[8:9]
	v_ashrrev_i32_e32 v7, 31, v6
	v_lshlrev_b64 v[24:25], 2, v[6:7]
	v_add_co_u32_e32 v38, vcc, s12, v22
	v_addc_co_u32_e32 v39, vcc, v20, v23, vcc
	v_add_co_u32_e32 v32, vcc, s10, v24
	v_addc_co_u32_e32 v33, vcc, v10, v25, vcc
	global_load_dwordx4 v[22:25], v[38:39], off
	global_load_dwordx4 v[26:29], v[38:39], off offset:16
	global_load_dword v7, v[32:33], off
	v_mov_b32_e32 v31, v9
	v_add_u32_e32 v6, 64, v6
	v_add_u32_e32 v8, 0x200, v8
	s_waitcnt vmcnt(0)
	v_subrev_u32_e32 v7, s2, v7
	v_lshlrev_b32_e32 v30, 1, v7
	v_lshlrev_b64 v[30:31], 3, v[30:31]
	v_add_co_u32_e32 v30, vcc, s14, v30
	v_addc_co_u32_e32 v31, vcc, v21, v31, vcc
	global_load_dwordx4 v[30:33], v[30:31], off
	v_cmp_ge_i32_e32 vcc, v6, v17
	s_or_b64 s[0:1], vcc, s[0:1]
	s_waitcnt vmcnt(0)
	v_fmac_f32_e32 v18, v22, v30
	v_fmac_f32_e32 v14, v23, v30
	v_fma_f32 v7, -v23, v31, v18
	v_fmac_f32_e32 v14, v22, v31
	v_fmac_f32_e32 v7, v24, v32
	;; [unrolled: 1-line block ×3, first 2 shown]
	v_fma_f32 v18, -v25, v33, v7
	v_fmac_f32_e32 v14, v24, v33
	global_load_dwordx4 v[22:25], v[38:39], off offset:32
	global_load_dwordx4 v[34:37], v[38:39], off offset:48
	v_fmac_f32_e32 v19, v26, v30
	v_fmac_f32_e32 v15, v27, v30
	v_fma_f32 v7, -v27, v31, v19
	v_fmac_f32_e32 v15, v26, v31
	v_fmac_f32_e32 v7, v28, v32
	;; [unrolled: 1-line block ×3, first 2 shown]
	v_fma_f32 v19, -v29, v33, v7
	v_fmac_f32_e32 v15, v28, v33
	s_waitcnt vmcnt(1)
	v_fmac_f32_e32 v16, v22, v30
	v_fmac_f32_e32 v12, v23, v30
	s_waitcnt vmcnt(0)
	v_fmac_f32_e32 v13, v34, v30
	v_fmac_f32_e32 v11, v35, v30
	v_fma_f32 v16, -v23, v31, v16
	v_fmac_f32_e32 v12, v22, v31
	v_fma_f32 v13, -v35, v31, v13
	v_fmac_f32_e32 v11, v34, v31
	v_fmac_f32_e32 v16, v24, v32
	;; [unrolled: 1-line block ×5, first 2 shown]
	v_fma_f32 v16, -v25, v33, v16
	v_fmac_f32_e32 v12, v24, v33
	v_fma_f32 v13, -v37, v33, v13
	v_fmac_f32_e32 v11, v36, v33
	s_andn2_b64 exec, exec, s[0:1]
	s_cbranch_execnz .LBB83_13
; %bb.14:
	s_or_b64 exec, exec, s[0:1]
.LBB83_15:
	s_or_b64 exec, exec, s[6:7]
.LBB83_16:
	v_mov_b32_dpp v10, v19 row_shr:1 row_mask:0xf bank_mask:0xf
	v_mov_b32_dpp v8, v14 row_shr:1 row_mask:0xf bank_mask:0xf
	v_add_f32_e32 v10, v19, v10
	v_add_f32_e32 v8, v14, v8
	v_mov_b32_dpp v6, v18 row_shr:1 row_mask:0xf bank_mask:0xf
	v_mov_b32_dpp v14, v10 row_shr:2 row_mask:0xf bank_mask:0xf
	v_add_f32_e32 v10, v10, v14
	v_add_f32_e32 v6, v18, v6
	v_mov_b32_dpp v9, v8 row_shr:2 row_mask:0xf bank_mask:0xf
	v_mov_b32_dpp v14, v10 row_shr:4 row_mask:0xf bank_mask:0xe
	v_add_f32_e32 v10, v10, v14
	v_mov_b32_dpp v7, v6 row_shr:2 row_mask:0xf bank_mask:0xf
	v_add_f32_e32 v6, v6, v7
	;; [unrolled: 2-line block ×3, first 2 shown]
	v_add_f32_e32 v8, v8, v9
	v_mov_b32_dpp v7, v6 row_shr:4 row_mask:0xf bank_mask:0xe
	v_mov_b32_dpp v14, v10 row_bcast:15 row_mask:0xa bank_mask:0xf
	v_add_f32_e32 v14, v10, v14
	v_mov_b32_dpp v10, v15 row_shr:1 row_mask:0xf bank_mask:0xf
	v_add_f32_e32 v10, v15, v10
	v_mov_b32_dpp v9, v8 row_shr:4 row_mask:0xf bank_mask:0xe
	;; [unrolled: 2-line block ×3, first 2 shown]
	v_add_f32_e32 v10, v10, v15
	v_add_f32_e32 v8, v8, v9
	v_mov_b32_dpp v7, v6 row_shr:8 row_mask:0xf bank_mask:0xc
	v_mov_b32_dpp v15, v10 row_shr:4 row_mask:0xf bank_mask:0xe
	v_add_f32_e32 v10, v10, v15
	v_mov_b32_dpp v9, v8 row_shr:8 row_mask:0xf bank_mask:0xc
	v_add_f32_e32 v6, v6, v7
	v_mov_b32_dpp v15, v10 row_shr:8 row_mask:0xf bank_mask:0xc
	v_add_f32_e32 v10, v10, v15
	v_add_f32_e32 v8, v8, v9
	v_mov_b32_dpp v7, v6 row_bcast:15 row_mask:0xa bank_mask:0xf
	v_mov_b32_dpp v15, v10 row_bcast:15 row_mask:0xa bank_mask:0xf
	v_add_f32_e32 v15, v10, v15
	v_mov_b32_dpp v10, v16 row_shr:1 row_mask:0xf bank_mask:0xf
	v_add_f32_e32 v10, v16, v10
	v_mov_b32_dpp v9, v8 row_bcast:15 row_mask:0xa bank_mask:0xf
	v_add_f32_e32 v6, v6, v7
	v_mov_b32_dpp v16, v10 row_shr:2 row_mask:0xf bank_mask:0xf
	v_add_f32_e32 v10, v10, v16
	v_add_f32_e32 v8, v8, v9
	v_mov_b32_dpp v7, v6 row_bcast:31 row_mask:0xc bank_mask:0xf
	v_mov_b32_dpp v16, v10 row_shr:4 row_mask:0xf bank_mask:0xe
	v_add_f32_e32 v10, v10, v16
	v_mov_b32_dpp v9, v8 row_bcast:31 row_mask:0xc bank_mask:0xf
	v_mov_b32_dpp v17, v14 row_bcast:31 row_mask:0xc bank_mask:0xf
	v_mov_b32_dpp v16, v10 row_shr:8 row_mask:0xf bank_mask:0xc
	v_add_f32_e32 v10, v10, v16
	v_mov_b32_dpp v18, v15 row_bcast:31 row_mask:0xc bank_mask:0xf
	v_cmp_eq_u32_e32 vcc, 63, v0
	v_mov_b32_dpp v16, v10 row_bcast:15 row_mask:0xa bank_mask:0xf
	v_add_f32_e32 v16, v10, v16
	v_mov_b32_dpp v10, v12 row_shr:1 row_mask:0xf bank_mask:0xf
	v_add_f32_e32 v10, v12, v10
	v_mov_b32_dpp v19, v16 row_bcast:31 row_mask:0xc bank_mask:0xf
	s_nop 0
	v_mov_b32_dpp v12, v10 row_shr:2 row_mask:0xf bank_mask:0xf
	v_add_f32_e32 v10, v10, v12
	s_nop 1
	v_mov_b32_dpp v12, v10 row_shr:4 row_mask:0xf bank_mask:0xe
	v_add_f32_e32 v10, v10, v12
	s_nop 1
	v_mov_b32_dpp v12, v10 row_shr:8 row_mask:0xf bank_mask:0xc
	v_add_f32_e32 v10, v10, v12
	s_nop 1
	v_mov_b32_dpp v12, v10 row_bcast:15 row_mask:0xa bank_mask:0xf
	v_add_f32_e32 v20, v10, v12
	v_mov_b32_dpp v10, v13 row_shr:1 row_mask:0xf bank_mask:0xf
	v_add_f32_e32 v10, v13, v10
	v_mov_b32_dpp v21, v20 row_bcast:31 row_mask:0xc bank_mask:0xf
	s_nop 0
	v_mov_b32_dpp v12, v10 row_shr:2 row_mask:0xf bank_mask:0xf
	v_add_f32_e32 v10, v10, v12
	s_nop 1
	v_mov_b32_dpp v12, v10 row_shr:4 row_mask:0xf bank_mask:0xe
	v_add_f32_e32 v10, v10, v12
	s_nop 1
	v_mov_b32_dpp v12, v10 row_shr:8 row_mask:0xf bank_mask:0xc
	v_add_f32_e32 v10, v10, v12
	s_nop 1
	;; [unrolled: 15-line block ×3, first 2 shown]
	v_mov_b32_dpp v11, v10 row_bcast:15 row_mask:0xa bank_mask:0xf
	v_add_f32_e32 v23, v10, v11
	s_nop 1
	v_mov_b32_dpp v24, v23 row_bcast:31 row_mask:0xc bank_mask:0xf
	s_and_b64 exec, exec, vcc
	s_cbranch_execz .LBB83_21
; %bb.17:
	s_load_dwordx2 s[2:3], s[4:5], 0x38
	v_cmp_eq_f32_e32 vcc, 0, v3
	v_cmp_eq_f32_e64 s[0:1], 0, v4
	v_add_f32_e32 v10, v6, v7
	v_add_f32_e32 v12, v8, v9
	v_add_f32_e32 v8, v14, v17
	v_add_f32_e32 v11, v15, v18
	v_add_f32_e32 v6, v16, v19
	v_add_f32_e32 v9, v20, v21
	v_add_f32_e32 v0, v13, v22
	v_add_f32_e32 v7, v23, v24
	s_and_b64 s[0:1], vcc, s[0:1]
	s_and_saveexec_b64 s[4:5], s[0:1]
	s_xor_b64 s[0:1], exec, s[4:5]
	s_cbranch_execz .LBB83_19
; %bb.18:
	v_lshlrev_b32_e32 v3, 2, v5
	v_ashrrev_i32_e32 v4, 31, v3
	v_lshlrev_b64 v[3:4], 3, v[3:4]
	s_waitcnt lgkmcnt(0)
	v_mov_b32_e32 v5, s3
	v_add_co_u32_e32 v17, vcc, s2, v3
	v_addc_co_u32_e32 v18, vcc, v5, v4, vcc
	v_mul_f32_e64 v3, v9, -v2
	v_mul_f32_e32 v4, v1, v9
	v_mul_f32_e64 v13, v12, -v2
	v_mul_f32_e32 v14, v1, v12
	;; [unrolled: 2-line block ×3, first 2 shown]
	v_fmac_f32_e32 v3, v1, v6
	v_fmac_f32_e32 v4, v2, v6
	v_mul_f32_e64 v5, v7, -v2
	v_mul_f32_e32 v6, v1, v7
	v_fmac_f32_e32 v13, v1, v10
	v_fmac_f32_e32 v14, v2, v10
	;; [unrolled: 1-line block ×6, first 2 shown]
	global_store_dwordx4 v[17:18], v[13:16], off
	global_store_dwordx4 v[17:18], v[3:6], off offset:16
                                        ; implicit-def: $vgpr5
                                        ; implicit-def: $vgpr10
                                        ; implicit-def: $vgpr12
                                        ; implicit-def: $vgpr8
                                        ; implicit-def: $vgpr11
                                        ; implicit-def: $vgpr6
                                        ; implicit-def: $vgpr9
                                        ; implicit-def: $vgpr0
                                        ; implicit-def: $vgpr7
                                        ; implicit-def: $vgpr1_vgpr2
                                        ; implicit-def: $vgpr3_vgpr4
.LBB83_19:
	s_andn2_saveexec_b64 s[0:1], s[0:1]
	s_cbranch_execz .LBB83_21
; %bb.20:
	v_lshlrev_b32_e32 v13, 2, v5
	v_ashrrev_i32_e32 v14, 31, v13
	v_lshlrev_b64 v[13:14], 3, v[13:14]
	s_waitcnt lgkmcnt(0)
	v_mov_b32_e32 v5, s3
	v_add_co_u32_e32 v25, vcc, s2, v13
	v_addc_co_u32_e32 v26, vcc, v5, v14, vcc
	global_load_dwordx4 v[13:16], v[25:26], off
	global_load_dwordx4 v[17:20], v[25:26], off offset:16
	v_mul_f32_e64 v5, v12, -v2
	v_mul_f32_e32 v22, v1, v12
	v_mul_f32_e64 v12, v11, -v2
	v_mul_f32_e32 v24, v1, v11
	;; [unrolled: 2-line block ×4, first 2 shown]
	v_fmac_f32_e32 v5, v1, v10
	v_fmac_f32_e32 v22, v2, v10
	;; [unrolled: 1-line block ×8, first 2 shown]
	s_waitcnt vmcnt(1)
	v_fmac_f32_e32 v5, v3, v13
	v_fmac_f32_e32 v22, v4, v13
	;; [unrolled: 1-line block ×4, first 2 shown]
	s_waitcnt vmcnt(0)
	v_fmac_f32_e32 v27, v3, v17
	v_fmac_f32_e32 v9, v4, v17
	v_fmac_f32_e32 v28, v3, v19
	v_fmac_f32_e32 v11, v4, v19
	v_fma_f32 v21, -v4, v14, v5
	v_fmac_f32_e32 v22, v3, v14
	v_fma_f32 v23, -v4, v16, v12
	v_fmac_f32_e32 v24, v3, v16
	;; [unrolled: 2-line block ×4, first 2 shown]
	global_store_dwordx4 v[25:26], v[21:24], off
	global_store_dwordx4 v[25:26], v[8:11], off offset:16
.LBB83_21:
	s_endpgm
	.section	.rodata,"a",@progbits
	.p2align	6, 0x0
	.amdhsa_kernel _ZN9rocsparseL19gebsrmvn_4xn_kernelILj128ELj2ELj64E21rocsparse_complex_numIfEEEvi20rocsparse_direction_NS_24const_host_device_scalarIT2_EEPKiS8_PKS5_SA_S6_PS5_21rocsparse_index_base_b
		.amdhsa_group_segment_fixed_size 0
		.amdhsa_private_segment_fixed_size 0
		.amdhsa_kernarg_size 72
		.amdhsa_user_sgpr_count 6
		.amdhsa_user_sgpr_private_segment_buffer 1
		.amdhsa_user_sgpr_dispatch_ptr 0
		.amdhsa_user_sgpr_queue_ptr 0
		.amdhsa_user_sgpr_kernarg_segment_ptr 1
		.amdhsa_user_sgpr_dispatch_id 0
		.amdhsa_user_sgpr_flat_scratch_init 0
		.amdhsa_user_sgpr_private_segment_size 0
		.amdhsa_uses_dynamic_stack 0
		.amdhsa_system_sgpr_private_segment_wavefront_offset 0
		.amdhsa_system_sgpr_workgroup_id_x 1
		.amdhsa_system_sgpr_workgroup_id_y 0
		.amdhsa_system_sgpr_workgroup_id_z 0
		.amdhsa_system_sgpr_workgroup_info 0
		.amdhsa_system_vgpr_workitem_id 0
		.amdhsa_next_free_vgpr 47
		.amdhsa_next_free_sgpr 16
		.amdhsa_reserve_vcc 1
		.amdhsa_reserve_flat_scratch 0
		.amdhsa_float_round_mode_32 0
		.amdhsa_float_round_mode_16_64 0
		.amdhsa_float_denorm_mode_32 3
		.amdhsa_float_denorm_mode_16_64 3
		.amdhsa_dx10_clamp 1
		.amdhsa_ieee_mode 1
		.amdhsa_fp16_overflow 0
		.amdhsa_exception_fp_ieee_invalid_op 0
		.amdhsa_exception_fp_denorm_src 0
		.amdhsa_exception_fp_ieee_div_zero 0
		.amdhsa_exception_fp_ieee_overflow 0
		.amdhsa_exception_fp_ieee_underflow 0
		.amdhsa_exception_fp_ieee_inexact 0
		.amdhsa_exception_int_div_zero 0
	.end_amdhsa_kernel
	.section	.text._ZN9rocsparseL19gebsrmvn_4xn_kernelILj128ELj2ELj64E21rocsparse_complex_numIfEEEvi20rocsparse_direction_NS_24const_host_device_scalarIT2_EEPKiS8_PKS5_SA_S6_PS5_21rocsparse_index_base_b,"axG",@progbits,_ZN9rocsparseL19gebsrmvn_4xn_kernelILj128ELj2ELj64E21rocsparse_complex_numIfEEEvi20rocsparse_direction_NS_24const_host_device_scalarIT2_EEPKiS8_PKS5_SA_S6_PS5_21rocsparse_index_base_b,comdat
.Lfunc_end83:
	.size	_ZN9rocsparseL19gebsrmvn_4xn_kernelILj128ELj2ELj64E21rocsparse_complex_numIfEEEvi20rocsparse_direction_NS_24const_host_device_scalarIT2_EEPKiS8_PKS5_SA_S6_PS5_21rocsparse_index_base_b, .Lfunc_end83-_ZN9rocsparseL19gebsrmvn_4xn_kernelILj128ELj2ELj64E21rocsparse_complex_numIfEEEvi20rocsparse_direction_NS_24const_host_device_scalarIT2_EEPKiS8_PKS5_SA_S6_PS5_21rocsparse_index_base_b
                                        ; -- End function
	.set _ZN9rocsparseL19gebsrmvn_4xn_kernelILj128ELj2ELj64E21rocsparse_complex_numIfEEEvi20rocsparse_direction_NS_24const_host_device_scalarIT2_EEPKiS8_PKS5_SA_S6_PS5_21rocsparse_index_base_b.num_vgpr, 47
	.set _ZN9rocsparseL19gebsrmvn_4xn_kernelILj128ELj2ELj64E21rocsparse_complex_numIfEEEvi20rocsparse_direction_NS_24const_host_device_scalarIT2_EEPKiS8_PKS5_SA_S6_PS5_21rocsparse_index_base_b.num_agpr, 0
	.set _ZN9rocsparseL19gebsrmvn_4xn_kernelILj128ELj2ELj64E21rocsparse_complex_numIfEEEvi20rocsparse_direction_NS_24const_host_device_scalarIT2_EEPKiS8_PKS5_SA_S6_PS5_21rocsparse_index_base_b.numbered_sgpr, 16
	.set _ZN9rocsparseL19gebsrmvn_4xn_kernelILj128ELj2ELj64E21rocsparse_complex_numIfEEEvi20rocsparse_direction_NS_24const_host_device_scalarIT2_EEPKiS8_PKS5_SA_S6_PS5_21rocsparse_index_base_b.num_named_barrier, 0
	.set _ZN9rocsparseL19gebsrmvn_4xn_kernelILj128ELj2ELj64E21rocsparse_complex_numIfEEEvi20rocsparse_direction_NS_24const_host_device_scalarIT2_EEPKiS8_PKS5_SA_S6_PS5_21rocsparse_index_base_b.private_seg_size, 0
	.set _ZN9rocsparseL19gebsrmvn_4xn_kernelILj128ELj2ELj64E21rocsparse_complex_numIfEEEvi20rocsparse_direction_NS_24const_host_device_scalarIT2_EEPKiS8_PKS5_SA_S6_PS5_21rocsparse_index_base_b.uses_vcc, 1
	.set _ZN9rocsparseL19gebsrmvn_4xn_kernelILj128ELj2ELj64E21rocsparse_complex_numIfEEEvi20rocsparse_direction_NS_24const_host_device_scalarIT2_EEPKiS8_PKS5_SA_S6_PS5_21rocsparse_index_base_b.uses_flat_scratch, 0
	.set _ZN9rocsparseL19gebsrmvn_4xn_kernelILj128ELj2ELj64E21rocsparse_complex_numIfEEEvi20rocsparse_direction_NS_24const_host_device_scalarIT2_EEPKiS8_PKS5_SA_S6_PS5_21rocsparse_index_base_b.has_dyn_sized_stack, 0
	.set _ZN9rocsparseL19gebsrmvn_4xn_kernelILj128ELj2ELj64E21rocsparse_complex_numIfEEEvi20rocsparse_direction_NS_24const_host_device_scalarIT2_EEPKiS8_PKS5_SA_S6_PS5_21rocsparse_index_base_b.has_recursion, 0
	.set _ZN9rocsparseL19gebsrmvn_4xn_kernelILj128ELj2ELj64E21rocsparse_complex_numIfEEEvi20rocsparse_direction_NS_24const_host_device_scalarIT2_EEPKiS8_PKS5_SA_S6_PS5_21rocsparse_index_base_b.has_indirect_call, 0
	.section	.AMDGPU.csdata,"",@progbits
; Kernel info:
; codeLenInByte = 2168
; TotalNumSgprs: 20
; NumVgprs: 47
; ScratchSize: 0
; MemoryBound: 0
; FloatMode: 240
; IeeeMode: 1
; LDSByteSize: 0 bytes/workgroup (compile time only)
; SGPRBlocks: 2
; VGPRBlocks: 11
; NumSGPRsForWavesPerEU: 20
; NumVGPRsForWavesPerEU: 47
; Occupancy: 5
; WaveLimiterHint : 1
; COMPUTE_PGM_RSRC2:SCRATCH_EN: 0
; COMPUTE_PGM_RSRC2:USER_SGPR: 6
; COMPUTE_PGM_RSRC2:TRAP_HANDLER: 0
; COMPUTE_PGM_RSRC2:TGID_X_EN: 1
; COMPUTE_PGM_RSRC2:TGID_Y_EN: 0
; COMPUTE_PGM_RSRC2:TGID_Z_EN: 0
; COMPUTE_PGM_RSRC2:TIDIG_COMP_CNT: 0
	.section	.text._ZN9rocsparseL19gebsrmvn_4xn_kernelILj128ELj3ELj4E21rocsparse_complex_numIfEEEvi20rocsparse_direction_NS_24const_host_device_scalarIT2_EEPKiS8_PKS5_SA_S6_PS5_21rocsparse_index_base_b,"axG",@progbits,_ZN9rocsparseL19gebsrmvn_4xn_kernelILj128ELj3ELj4E21rocsparse_complex_numIfEEEvi20rocsparse_direction_NS_24const_host_device_scalarIT2_EEPKiS8_PKS5_SA_S6_PS5_21rocsparse_index_base_b,comdat
	.globl	_ZN9rocsparseL19gebsrmvn_4xn_kernelILj128ELj3ELj4E21rocsparse_complex_numIfEEEvi20rocsparse_direction_NS_24const_host_device_scalarIT2_EEPKiS8_PKS5_SA_S6_PS5_21rocsparse_index_base_b ; -- Begin function _ZN9rocsparseL19gebsrmvn_4xn_kernelILj128ELj3ELj4E21rocsparse_complex_numIfEEEvi20rocsparse_direction_NS_24const_host_device_scalarIT2_EEPKiS8_PKS5_SA_S6_PS5_21rocsparse_index_base_b
	.p2align	8
	.type	_ZN9rocsparseL19gebsrmvn_4xn_kernelILj128ELj3ELj4E21rocsparse_complex_numIfEEEvi20rocsparse_direction_NS_24const_host_device_scalarIT2_EEPKiS8_PKS5_SA_S6_PS5_21rocsparse_index_base_b,@function
_ZN9rocsparseL19gebsrmvn_4xn_kernelILj128ELj3ELj4E21rocsparse_complex_numIfEEEvi20rocsparse_direction_NS_24const_host_device_scalarIT2_EEPKiS8_PKS5_SA_S6_PS5_21rocsparse_index_base_b: ; @_ZN9rocsparseL19gebsrmvn_4xn_kernelILj128ELj3ELj4E21rocsparse_complex_numIfEEEvi20rocsparse_direction_NS_24const_host_device_scalarIT2_EEPKiS8_PKS5_SA_S6_PS5_21rocsparse_index_base_b
; %bb.0:
	s_load_dwordx2 s[0:1], s[4:5], 0x8
	s_load_dwordx2 s[8:9], s[4:5], 0x30
	;; [unrolled: 1-line block ×3, first 2 shown]
	s_add_u32 s7, s4, 8
	s_addc_u32 s10, s5, 0
	s_add_u32 s11, s4, 48
	s_addc_u32 s12, s5, 0
	s_waitcnt lgkmcnt(0)
	s_bitcmp1_b32 s3, 0
	s_cselect_b32 s1, s10, s1
	s_cselect_b32 s0, s7, s0
	v_mov_b32_e32 v1, s0
	v_mov_b32_e32 v2, s1
	flat_load_dwordx2 v[1:2], v[1:2]
	s_cselect_b32 s0, s12, s9
	s_cselect_b32 s1, s11, s8
	v_mov_b32_e32 v3, s1
	v_mov_b32_e32 v4, s0
	flat_load_dwordx2 v[3:4], v[3:4]
	s_waitcnt vmcnt(0) lgkmcnt(0)
	v_cmp_eq_f32_e32 vcc, 0, v1
	v_cmp_eq_f32_e64 s[0:1], 0, v2
	s_and_b64 s[10:11], vcc, s[0:1]
	s_mov_b64 s[0:1], -1
	s_and_saveexec_b64 s[8:9], s[10:11]
; %bb.1:
	v_cmp_neq_f32_e32 vcc, 1.0, v3
	v_cmp_neq_f32_e64 s[0:1], 0, v4
	s_or_b64 s[0:1], vcc, s[0:1]
	s_orn2_b64 s[0:1], s[0:1], exec
; %bb.2:
	s_or_b64 exec, exec, s[8:9]
	s_and_saveexec_b64 s[8:9], s[0:1]
	s_cbranch_execz .LBB84_21
; %bb.3:
	s_load_dwordx2 s[0:1], s[4:5], 0x0
	v_lshrrev_b32_e32 v5, 2, v0
	v_lshl_or_b32 v5, s6, 5, v5
	s_waitcnt lgkmcnt(0)
	v_cmp_gt_i32_e32 vcc, s0, v5
	s_and_b64 exec, exec, vcc
	s_cbranch_execz .LBB84_21
; %bb.4:
	s_load_dwordx8 s[8:15], s[4:5], 0x10
	v_ashrrev_i32_e32 v6, 31, v5
	v_lshlrev_b64 v[6:7], 2, v[5:6]
	v_and_b32_e32 v0, 3, v0
	s_cmp_lg_u32 s1, 0
	s_waitcnt lgkmcnt(0)
	v_mov_b32_e32 v8, s9
	v_add_co_u32_e32 v6, vcc, s8, v6
	v_addc_co_u32_e32 v7, vcc, v8, v7, vcc
	global_load_dwordx2 v[6:7], v[6:7], off
	s_waitcnt vmcnt(0)
	v_subrev_u32_e32 v6, s2, v6
	v_subrev_u32_e32 v14, s2, v7
	v_add_u32_e32 v6, v6, v0
	v_cmp_lt_i32_e64 s[0:1], v6, v14
	s_cbranch_scc0 .LBB84_10
; %bb.5:
	v_mov_b32_e32 v13, 0
	v_mov_b32_e32 v20, 0
	;; [unrolled: 1-line block ×8, first 2 shown]
	s_and_saveexec_b64 s[6:7], s[0:1]
	s_cbranch_execz .LBB84_9
; %bb.6:
	v_mul_lo_u32 v7, v6, 12
	v_mov_b32_e32 v8, 0
	s_mov_b64 s[8:9], 0
	v_mov_b32_e32 v11, s11
	v_mov_b32_e32 v21, s13
	;; [unrolled: 1-line block ×12, first 2 shown]
.LBB84_7:                               ; =>This Inner Loop Header: Depth=1
	v_ashrrev_i32_e32 v10, 31, v9
	v_lshlrev_b64 v[23:24], 2, v[9:10]
	v_add_u32_e32 v25, 4, v7
	v_add_co_u32_e32 v23, vcc, s10, v23
	v_addc_co_u32_e32 v24, vcc, v11, v24, vcc
	global_load_dword v10, v[23:24], off
	v_lshlrev_b64 v[23:24], 3, v[7:8]
	v_mov_b32_e32 v26, v8
	v_lshlrev_b64 v[31:32], 3, v[25:26]
	v_add_co_u32_e32 v35, vcc, s12, v23
	v_add_u32_e32 v27, 8, v7
	v_mov_b32_e32 v28, v8
	v_addc_co_u32_e32 v36, vcc, v21, v24, vcc
	v_lshlrev_b64 v[33:34], 3, v[27:28]
	v_add_co_u32_e32 v52, vcc, s12, v31
	v_addc_co_u32_e32 v53, vcc, v21, v32, vcc
	v_mov_b32_e32 v48, v8
	v_add_co_u32_e32 v54, vcc, s12, v33
	global_load_dwordx4 v[23:26], v[35:36], off
	global_load_dwordx4 v[27:30], v[35:36], off offset:16
	v_addc_co_u32_e32 v55, vcc, v21, v34, vcc
	global_load_dwordx4 v[31:34], v[52:53], off
	global_load_dwordx4 v[35:38], v[52:53], off offset:16
	global_load_dwordx4 v[39:42], v[54:55], off offset:16
	global_load_dwordx4 v[43:46], v[54:55], off
	v_mov_b32_e32 v49, v8
	v_mov_b32_e32 v51, v8
	v_add_u32_e32 v9, 4, v9
	v_add_u32_e32 v7, 48, v7
	s_waitcnt vmcnt(6)
	v_subrev_u32_e32 v10, s2, v10
	v_lshl_add_u32 v47, v10, 1, v10
	v_lshlrev_b64 v[52:53], 3, v[47:48]
	v_add_u32_e32 v48, 1, v47
	v_add_u32_e32 v50, 2, v47
	v_lshlrev_b64 v[47:48], 3, v[48:49]
	v_lshlrev_b64 v[49:50], 3, v[50:51]
	v_add_co_u32_e32 v51, vcc, s14, v52
	v_addc_co_u32_e32 v52, vcc, v22, v53, vcc
	global_load_dwordx2 v[51:52], v[51:52], off
	v_add_co_u32_e32 v47, vcc, s14, v47
	v_addc_co_u32_e32 v48, vcc, v22, v48, vcc
	v_add_co_u32_e32 v49, vcc, s14, v49
	v_addc_co_u32_e32 v50, vcc, v22, v50, vcc
	global_load_dwordx2 v[53:54], v[47:48], off
	global_load_dwordx2 v[55:56], v[49:50], off
	v_cmp_ge_i32_e32 vcc, v9, v14
	s_or_b64 s[8:9], vcc, s[8:9]
	s_waitcnt vmcnt(2)
	v_fmac_f32_e32 v20, v23, v51
	v_fmac_f32_e32 v13, v24, v51
	v_fmac_f32_e32 v19, v25, v51
	v_fmac_f32_e32 v16, v26, v51
	v_fmac_f32_e32 v18, v27, v51
	v_fmac_f32_e32 v15, v28, v51
	v_fmac_f32_e32 v17, v29, v51
	v_fmac_f32_e32 v12, v30, v51
	v_fma_f32 v10, -v24, v52, v20
	v_fmac_f32_e32 v13, v23, v52
	v_fma_f32 v19, -v26, v52, v19
	v_fmac_f32_e32 v16, v25, v52
	v_fma_f32 v18, -v28, v52, v18
	v_fmac_f32_e32 v15, v27, v52
	v_fma_f32 v17, -v30, v52, v17
	v_fmac_f32_e32 v12, v29, v52
	s_waitcnt vmcnt(1)
	v_fmac_f32_e32 v10, v31, v53
	v_fmac_f32_e32 v13, v32, v53
	v_fmac_f32_e32 v19, v33, v53
	v_fmac_f32_e32 v16, v34, v53
	v_fmac_f32_e32 v18, v35, v53
	v_fmac_f32_e32 v15, v36, v53
	v_fmac_f32_e32 v17, v37, v53
	v_fmac_f32_e32 v12, v38, v53
	v_fma_f32 v10, -v32, v54, v10
	v_fmac_f32_e32 v13, v31, v54
	v_fma_f32 v19, -v34, v54, v19
	v_fmac_f32_e32 v16, v33, v54
	v_fma_f32 v18, -v36, v54, v18
	v_fmac_f32_e32 v15, v35, v54
	v_fma_f32 v17, -v38, v54, v17
	v_fmac_f32_e32 v12, v37, v54
	;; [unrolled: 17-line block ×3, first 2 shown]
	s_andn2_b64 exec, exec, s[8:9]
	s_cbranch_execnz .LBB84_7
; %bb.8:
	s_or_b64 exec, exec, s[8:9]
.LBB84_9:
	s_or_b64 exec, exec, s[6:7]
	s_cbranch_execz .LBB84_11
	s_branch .LBB84_16
.LBB84_10:
                                        ; implicit-def: $vgpr13
                                        ; implicit-def: $vgpr20
                                        ; implicit-def: $vgpr17
                                        ; implicit-def: $vgpr12
                                        ; implicit-def: $vgpr18
                                        ; implicit-def: $vgpr15
                                        ; implicit-def: $vgpr19
                                        ; implicit-def: $vgpr16
.LBB84_11:
	v_mov_b32_e32 v13, 0
	v_mov_b32_e32 v20, 0
	;; [unrolled: 1-line block ×8, first 2 shown]
	s_and_saveexec_b64 s[6:7], s[0:1]
	s_cbranch_execz .LBB84_15
; %bb.12:
	v_mad_u64_u32 v[8:9], s[0:1], v6, 12, 11
	v_mov_b32_e32 v11, 0
	s_mov_b64 s[0:1], 0
	v_mov_b32_e32 v21, s11
	v_mov_b32_e32 v22, s13
	;; [unrolled: 1-line block ×11, first 2 shown]
.LBB84_13:                              ; =>This Inner Loop Header: Depth=1
	v_ashrrev_i32_e32 v7, 31, v6
	v_lshlrev_b64 v[28:29], 2, v[6:7]
	v_add_u32_e32 v10, -11, v8
	v_lshlrev_b64 v[30:31], 3, v[10:11]
	v_add_co_u32_e32 v28, vcc, s10, v28
	v_addc_co_u32_e32 v29, vcc, v21, v29, vcc
	v_add_u32_e32 v24, -5, v8
	v_mov_b32_e32 v25, v11
	v_add_u32_e32 v26, -2, v8
	v_mov_b32_e32 v27, v11
	v_add_co_u32_e32 v38, vcc, s12, v30
	v_lshlrev_b64 v[34:35], 3, v[24:25]
	v_lshlrev_b64 v[36:37], 3, v[26:27]
	v_addc_co_u32_e32 v39, vcc, v22, v31, vcc
	global_load_dword v7, v[28:29], off
	global_load_dwordx4 v[24:27], v[38:39], off
	v_mov_b32_e32 v33, v11
	v_mov_b32_e32 v9, v11
	v_add_u32_e32 v6, 4, v6
	s_waitcnt vmcnt(1)
	v_subrev_u32_e32 v7, s2, v7
	v_lshl_add_u32 v32, v7, 1, v7
	v_lshlrev_b64 v[28:29], 3, v[32:33]
	v_add_u32_e32 v10, 1, v32
	v_lshlrev_b64 v[30:31], 3, v[10:11]
	v_add_co_u32_e32 v40, vcc, s14, v28
	v_addc_co_u32_e32 v41, vcc, v23, v29, vcc
	v_add_co_u32_e32 v42, vcc, s14, v30
	v_addc_co_u32_e32 v43, vcc, v23, v31, vcc
	global_load_dwordx4 v[28:31], v[38:39], off offset:16
	global_load_dwordx2 v[44:45], v[40:41], off
	global_load_dwordx2 v[46:47], v[42:43], off
	v_lshlrev_b64 v[9:10], 3, v[8:9]
	s_waitcnt vmcnt(1)
	v_fmac_f32_e32 v13, v25, v44
	v_fmac_f32_e32 v20, v24, v44
	;; [unrolled: 1-line block ×3, first 2 shown]
	v_add_co_u32_e32 v24, vcc, s12, v34
	v_fma_f32 v7, -v25, v45, v20
	s_waitcnt vmcnt(0)
	v_fmac_f32_e32 v13, v27, v46
	v_addc_co_u32_e32 v25, vcc, v22, v35, vcc
	v_fmac_f32_e32 v7, v26, v46
	v_fmac_f32_e32 v13, v26, v47
	v_add_co_u32_e32 v26, vcc, s12, v36
	v_fma_f32 v7, -v27, v47, v7
	v_addc_co_u32_e32 v27, vcc, v22, v37, vcc
	global_load_dwordx2 v[50:51], v[24:25], off
	global_load_dwordx2 v[52:53], v[26:27], off
	v_add_co_u32_e32 v33, vcc, s12, v9
	v_addc_co_u32_e32 v34, vcc, v22, v10, vcc
	v_add_u32_e32 v10, -7, v8
	v_lshlrev_b64 v[9:10], 3, v[10:11]
	v_fmac_f32_e32 v19, v30, v44
	v_add_co_u32_e32 v35, vcc, s12, v9
	v_addc_co_u32_e32 v36, vcc, v22, v10, vcc
	v_add_u32_e32 v10, -4, v8
	v_lshlrev_b64 v[37:38], 3, v[10:11]
	v_add_u32_e32 v10, -1, v8
	v_lshlrev_b64 v[39:40], 3, v[10:11]
	v_add_co_u32_e32 v37, vcc, s12, v37
	v_addc_co_u32_e32 v38, vcc, v22, v38, vcc
	v_add_co_u32_e32 v39, vcc, s12, v39
	v_add_u32_e32 v10, 2, v32
	v_addc_co_u32_e32 v40, vcc, v22, v40, vcc
	v_fma_f32 v26, -v31, v45, v19
	v_lshlrev_b64 v[9:10], 3, v[10:11]
	v_fmac_f32_e32 v16, v31, v44
	v_add_co_u32_e32 v41, vcc, s14, v9
	v_addc_co_u32_e32 v42, vcc, v23, v10, vcc
	v_add_u32_e32 v10, -6, v8
	v_lshlrev_b64 v[9:10], 3, v[10:11]
	v_fmac_f32_e32 v16, v30, v45
	v_add_co_u32_e32 v48, vcc, s12, v9
	v_addc_co_u32_e32 v49, vcc, v22, v10, vcc
	v_add_u32_e32 v10, -3, v8
	v_lshlrev_b64 v[9:10], 3, v[10:11]
	v_add_u32_e32 v8, 48, v8
	v_add_co_u32_e32 v9, vcc, s12, v9
	v_addc_co_u32_e32 v10, vcc, v22, v10, vcc
	v_cmp_ge_i32_e32 vcc, v6, v14
	s_or_b64 s[0:1], vcc, s[0:1]
	s_waitcnt vmcnt(1)
	v_fmac_f32_e32 v18, v50, v44
	s_waitcnt vmcnt(0)
	v_fmac_f32_e32 v17, v52, v44
	v_fma_f32 v32, -v51, v45, v18
	v_fma_f32 v43, -v53, v45, v17
	global_load_dwordx2 v[17:18], v[35:36], off
	global_load_dwordx2 v[19:20], v[37:38], off
	;; [unrolled: 1-line block ×3, first 2 shown]
	v_fmac_f32_e32 v15, v51, v44
	v_fmac_f32_e32 v12, v53, v44
	;; [unrolled: 1-line block ×4, first 2 shown]
	s_waitcnt vmcnt(2)
	v_fmac_f32_e32 v26, v17, v46
	v_fmac_f32_e32 v16, v18, v46
	v_fma_f32 v37, -v18, v47, v26
	v_fmac_f32_e32 v16, v17, v47
	global_load_dwordx2 v[26:27], v[41:42], off
	global_load_dwordx2 v[17:18], v[48:49], off
	;; [unrolled: 1-line block ×4, first 2 shown]
	s_waitcnt vmcnt(5)
	v_fmac_f32_e32 v32, v19, v46
	v_fmac_f32_e32 v15, v20, v46
	s_waitcnt vmcnt(4)
	v_fmac_f32_e32 v43, v24, v46
	v_fmac_f32_e32 v12, v25, v46
	v_fma_f32 v9, -v20, v47, v32
	v_fmac_f32_e32 v15, v19, v47
	v_fma_f32 v10, -v25, v47, v43
	v_fmac_f32_e32 v12, v24, v47
	s_waitcnt vmcnt(3)
	v_fmac_f32_e32 v7, v28, v26
	v_fmac_f32_e32 v13, v29, v26
	s_waitcnt vmcnt(2)
	v_fmac_f32_e32 v37, v17, v26
	;; [unrolled: 3-line block ×4, first 2 shown]
	v_fmac_f32_e32 v12, v36, v26
	v_fma_f32 v20, -v29, v27, v7
	v_fmac_f32_e32 v13, v28, v27
	v_fma_f32 v19, -v18, v27, v37
	;; [unrolled: 2-line block ×4, first 2 shown]
	v_fmac_f32_e32 v12, v35, v27
	s_andn2_b64 exec, exec, s[0:1]
	s_cbranch_execnz .LBB84_13
; %bb.14:
	s_or_b64 exec, exec, s[0:1]
.LBB84_15:
	s_or_b64 exec, exec, s[6:7]
.LBB84_16:
	v_mov_b32_dpp v10, v19 row_shr:1 row_mask:0xf bank_mask:0xf
	v_add_f32_e32 v11, v19, v10
	v_mov_b32_dpp v6, v20 row_shr:1 row_mask:0xf bank_mask:0xf
	v_mov_b32_dpp v10, v16 row_shr:1 row_mask:0xf bank_mask:0xf
	v_add_f32_e32 v14, v16, v10
	v_mov_b32_dpp v8, v13 row_shr:1 row_mask:0xf bank_mask:0xf
	v_mov_b32_dpp v10, v18 row_shr:1 row_mask:0xf bank_mask:0xf
	v_add_f32_e32 v18, v18, v10
	v_add_f32_e32 v6, v20, v6
	v_mov_b32_dpp v10, v15 row_shr:1 row_mask:0xf bank_mask:0xf
	v_add_f32_e32 v15, v15, v10
	v_add_f32_e32 v8, v13, v8
	v_mov_b32_dpp v10, v17 row_shr:1 row_mask:0xf bank_mask:0xf
	v_add_f32_e32 v17, v17, v10
	v_mov_b32_dpp v7, v6 row_shr:2 row_mask:0xf bank_mask:0xf
	v_mov_b32_dpp v10, v12 row_shr:1 row_mask:0xf bank_mask:0xf
	v_add_f32_e32 v22, v12, v10
	v_mov_b32_dpp v9, v8 row_shr:2 row_mask:0xf bank_mask:0xf
	v_mov_b32_dpp v13, v11 row_shr:2 row_mask:0xf bank_mask:0xf
	;; [unrolled: 1-line block ×7, first 2 shown]
	v_cmp_eq_u32_e32 vcc, 3, v0
	s_and_b64 exec, exec, vcc
	s_cbranch_execz .LBB84_21
; %bb.17:
	s_load_dwordx2 s[2:3], s[4:5], 0x38
	v_cmp_eq_f32_e32 vcc, 0, v3
	v_cmp_eq_f32_e64 s[0:1], 0, v4
	v_add_f32_e32 v10, v6, v7
	v_add_f32_e32 v12, v8, v9
	;; [unrolled: 1-line block ×8, first 2 shown]
	s_and_b64 s[0:1], vcc, s[0:1]
	s_and_saveexec_b64 s[4:5], s[0:1]
	s_xor_b64 s[0:1], exec, s[4:5]
	s_cbranch_execz .LBB84_19
; %bb.18:
	v_lshlrev_b32_e32 v3, 2, v5
	v_ashrrev_i32_e32 v4, 31, v3
	v_lshlrev_b64 v[3:4], 3, v[3:4]
	s_waitcnt lgkmcnt(0)
	v_mov_b32_e32 v5, s3
	v_add_co_u32_e32 v17, vcc, s2, v3
	v_addc_co_u32_e32 v18, vcc, v5, v4, vcc
	v_mul_f32_e64 v3, v9, -v2
	v_mul_f32_e32 v4, v1, v9
	v_mul_f32_e64 v13, v12, -v2
	v_mul_f32_e32 v14, v1, v12
	;; [unrolled: 2-line block ×3, first 2 shown]
	v_fmac_f32_e32 v3, v1, v6
	v_fmac_f32_e32 v4, v2, v6
	v_mul_f32_e64 v5, v7, -v2
	v_mul_f32_e32 v6, v1, v7
	v_fmac_f32_e32 v13, v1, v10
	v_fmac_f32_e32 v14, v2, v10
	;; [unrolled: 1-line block ×6, first 2 shown]
	global_store_dwordx4 v[17:18], v[13:16], off
	global_store_dwordx4 v[17:18], v[3:6], off offset:16
                                        ; implicit-def: $vgpr5
                                        ; implicit-def: $vgpr10
                                        ; implicit-def: $vgpr12
                                        ; implicit-def: $vgpr8
                                        ; implicit-def: $vgpr11
                                        ; implicit-def: $vgpr6
                                        ; implicit-def: $vgpr9
                                        ; implicit-def: $vgpr0
                                        ; implicit-def: $vgpr7
                                        ; implicit-def: $vgpr1_vgpr2
                                        ; implicit-def: $vgpr3_vgpr4
.LBB84_19:
	s_andn2_saveexec_b64 s[0:1], s[0:1]
	s_cbranch_execz .LBB84_21
; %bb.20:
	v_lshlrev_b32_e32 v13, 2, v5
	v_ashrrev_i32_e32 v14, 31, v13
	v_lshlrev_b64 v[13:14], 3, v[13:14]
	s_waitcnt lgkmcnt(0)
	v_mov_b32_e32 v5, s3
	v_add_co_u32_e32 v25, vcc, s2, v13
	v_addc_co_u32_e32 v26, vcc, v5, v14, vcc
	global_load_dwordx4 v[13:16], v[25:26], off
	global_load_dwordx4 v[17:20], v[25:26], off offset:16
	v_mul_f32_e64 v5, v12, -v2
	v_mul_f32_e32 v22, v1, v12
	v_mul_f32_e64 v12, v11, -v2
	v_mul_f32_e32 v24, v1, v11
	;; [unrolled: 2-line block ×4, first 2 shown]
	v_fmac_f32_e32 v5, v1, v10
	v_fmac_f32_e32 v22, v2, v10
	;; [unrolled: 1-line block ×8, first 2 shown]
	s_waitcnt vmcnt(1)
	v_fmac_f32_e32 v5, v3, v13
	v_fmac_f32_e32 v22, v4, v13
	;; [unrolled: 1-line block ×4, first 2 shown]
	s_waitcnt vmcnt(0)
	v_fmac_f32_e32 v27, v3, v17
	v_fmac_f32_e32 v9, v4, v17
	;; [unrolled: 1-line block ×4, first 2 shown]
	v_fma_f32 v21, -v4, v14, v5
	v_fmac_f32_e32 v22, v3, v14
	v_fma_f32 v23, -v4, v16, v12
	v_fmac_f32_e32 v24, v3, v16
	;; [unrolled: 2-line block ×4, first 2 shown]
	global_store_dwordx4 v[25:26], v[21:24], off
	global_store_dwordx4 v[25:26], v[8:11], off offset:16
.LBB84_21:
	s_endpgm
	.section	.rodata,"a",@progbits
	.p2align	6, 0x0
	.amdhsa_kernel _ZN9rocsparseL19gebsrmvn_4xn_kernelILj128ELj3ELj4E21rocsparse_complex_numIfEEEvi20rocsparse_direction_NS_24const_host_device_scalarIT2_EEPKiS8_PKS5_SA_S6_PS5_21rocsparse_index_base_b
		.amdhsa_group_segment_fixed_size 0
		.amdhsa_private_segment_fixed_size 0
		.amdhsa_kernarg_size 72
		.amdhsa_user_sgpr_count 6
		.amdhsa_user_sgpr_private_segment_buffer 1
		.amdhsa_user_sgpr_dispatch_ptr 0
		.amdhsa_user_sgpr_queue_ptr 0
		.amdhsa_user_sgpr_kernarg_segment_ptr 1
		.amdhsa_user_sgpr_dispatch_id 0
		.amdhsa_user_sgpr_flat_scratch_init 0
		.amdhsa_user_sgpr_private_segment_size 0
		.amdhsa_uses_dynamic_stack 0
		.amdhsa_system_sgpr_private_segment_wavefront_offset 0
		.amdhsa_system_sgpr_workgroup_id_x 1
		.amdhsa_system_sgpr_workgroup_id_y 0
		.amdhsa_system_sgpr_workgroup_id_z 0
		.amdhsa_system_sgpr_workgroup_info 0
		.amdhsa_system_vgpr_workitem_id 0
		.amdhsa_next_free_vgpr 57
		.amdhsa_next_free_sgpr 16
		.amdhsa_reserve_vcc 1
		.amdhsa_reserve_flat_scratch 0
		.amdhsa_float_round_mode_32 0
		.amdhsa_float_round_mode_16_64 0
		.amdhsa_float_denorm_mode_32 3
		.amdhsa_float_denorm_mode_16_64 3
		.amdhsa_dx10_clamp 1
		.amdhsa_ieee_mode 1
		.amdhsa_fp16_overflow 0
		.amdhsa_exception_fp_ieee_invalid_op 0
		.amdhsa_exception_fp_denorm_src 0
		.amdhsa_exception_fp_ieee_div_zero 0
		.amdhsa_exception_fp_ieee_overflow 0
		.amdhsa_exception_fp_ieee_underflow 0
		.amdhsa_exception_fp_ieee_inexact 0
		.amdhsa_exception_int_div_zero 0
	.end_amdhsa_kernel
	.section	.text._ZN9rocsparseL19gebsrmvn_4xn_kernelILj128ELj3ELj4E21rocsparse_complex_numIfEEEvi20rocsparse_direction_NS_24const_host_device_scalarIT2_EEPKiS8_PKS5_SA_S6_PS5_21rocsparse_index_base_b,"axG",@progbits,_ZN9rocsparseL19gebsrmvn_4xn_kernelILj128ELj3ELj4E21rocsparse_complex_numIfEEEvi20rocsparse_direction_NS_24const_host_device_scalarIT2_EEPKiS8_PKS5_SA_S6_PS5_21rocsparse_index_base_b,comdat
.Lfunc_end84:
	.size	_ZN9rocsparseL19gebsrmvn_4xn_kernelILj128ELj3ELj4E21rocsparse_complex_numIfEEEvi20rocsparse_direction_NS_24const_host_device_scalarIT2_EEPKiS8_PKS5_SA_S6_PS5_21rocsparse_index_base_b, .Lfunc_end84-_ZN9rocsparseL19gebsrmvn_4xn_kernelILj128ELj3ELj4E21rocsparse_complex_numIfEEEvi20rocsparse_direction_NS_24const_host_device_scalarIT2_EEPKiS8_PKS5_SA_S6_PS5_21rocsparse_index_base_b
                                        ; -- End function
	.set _ZN9rocsparseL19gebsrmvn_4xn_kernelILj128ELj3ELj4E21rocsparse_complex_numIfEEEvi20rocsparse_direction_NS_24const_host_device_scalarIT2_EEPKiS8_PKS5_SA_S6_PS5_21rocsparse_index_base_b.num_vgpr, 57
	.set _ZN9rocsparseL19gebsrmvn_4xn_kernelILj128ELj3ELj4E21rocsparse_complex_numIfEEEvi20rocsparse_direction_NS_24const_host_device_scalarIT2_EEPKiS8_PKS5_SA_S6_PS5_21rocsparse_index_base_b.num_agpr, 0
	.set _ZN9rocsparseL19gebsrmvn_4xn_kernelILj128ELj3ELj4E21rocsparse_complex_numIfEEEvi20rocsparse_direction_NS_24const_host_device_scalarIT2_EEPKiS8_PKS5_SA_S6_PS5_21rocsparse_index_base_b.numbered_sgpr, 16
	.set _ZN9rocsparseL19gebsrmvn_4xn_kernelILj128ELj3ELj4E21rocsparse_complex_numIfEEEvi20rocsparse_direction_NS_24const_host_device_scalarIT2_EEPKiS8_PKS5_SA_S6_PS5_21rocsparse_index_base_b.num_named_barrier, 0
	.set _ZN9rocsparseL19gebsrmvn_4xn_kernelILj128ELj3ELj4E21rocsparse_complex_numIfEEEvi20rocsparse_direction_NS_24const_host_device_scalarIT2_EEPKiS8_PKS5_SA_S6_PS5_21rocsparse_index_base_b.private_seg_size, 0
	.set _ZN9rocsparseL19gebsrmvn_4xn_kernelILj128ELj3ELj4E21rocsparse_complex_numIfEEEvi20rocsparse_direction_NS_24const_host_device_scalarIT2_EEPKiS8_PKS5_SA_S6_PS5_21rocsparse_index_base_b.uses_vcc, 1
	.set _ZN9rocsparseL19gebsrmvn_4xn_kernelILj128ELj3ELj4E21rocsparse_complex_numIfEEEvi20rocsparse_direction_NS_24const_host_device_scalarIT2_EEPKiS8_PKS5_SA_S6_PS5_21rocsparse_index_base_b.uses_flat_scratch, 0
	.set _ZN9rocsparseL19gebsrmvn_4xn_kernelILj128ELj3ELj4E21rocsparse_complex_numIfEEEvi20rocsparse_direction_NS_24const_host_device_scalarIT2_EEPKiS8_PKS5_SA_S6_PS5_21rocsparse_index_base_b.has_dyn_sized_stack, 0
	.set _ZN9rocsparseL19gebsrmvn_4xn_kernelILj128ELj3ELj4E21rocsparse_complex_numIfEEEvi20rocsparse_direction_NS_24const_host_device_scalarIT2_EEPKiS8_PKS5_SA_S6_PS5_21rocsparse_index_base_b.has_recursion, 0
	.set _ZN9rocsparseL19gebsrmvn_4xn_kernelILj128ELj3ELj4E21rocsparse_complex_numIfEEEvi20rocsparse_direction_NS_24const_host_device_scalarIT2_EEPKiS8_PKS5_SA_S6_PS5_21rocsparse_index_base_b.has_indirect_call, 0
	.section	.AMDGPU.csdata,"",@progbits
; Kernel info:
; codeLenInByte = 2340
; TotalNumSgprs: 20
; NumVgprs: 57
; ScratchSize: 0
; MemoryBound: 0
; FloatMode: 240
; IeeeMode: 1
; LDSByteSize: 0 bytes/workgroup (compile time only)
; SGPRBlocks: 2
; VGPRBlocks: 14
; NumSGPRsForWavesPerEU: 20
; NumVGPRsForWavesPerEU: 57
; Occupancy: 4
; WaveLimiterHint : 1
; COMPUTE_PGM_RSRC2:SCRATCH_EN: 0
; COMPUTE_PGM_RSRC2:USER_SGPR: 6
; COMPUTE_PGM_RSRC2:TRAP_HANDLER: 0
; COMPUTE_PGM_RSRC2:TGID_X_EN: 1
; COMPUTE_PGM_RSRC2:TGID_Y_EN: 0
; COMPUTE_PGM_RSRC2:TGID_Z_EN: 0
; COMPUTE_PGM_RSRC2:TIDIG_COMP_CNT: 0
	.section	.text._ZN9rocsparseL19gebsrmvn_4xn_kernelILj128ELj3ELj8E21rocsparse_complex_numIfEEEvi20rocsparse_direction_NS_24const_host_device_scalarIT2_EEPKiS8_PKS5_SA_S6_PS5_21rocsparse_index_base_b,"axG",@progbits,_ZN9rocsparseL19gebsrmvn_4xn_kernelILj128ELj3ELj8E21rocsparse_complex_numIfEEEvi20rocsparse_direction_NS_24const_host_device_scalarIT2_EEPKiS8_PKS5_SA_S6_PS5_21rocsparse_index_base_b,comdat
	.globl	_ZN9rocsparseL19gebsrmvn_4xn_kernelILj128ELj3ELj8E21rocsparse_complex_numIfEEEvi20rocsparse_direction_NS_24const_host_device_scalarIT2_EEPKiS8_PKS5_SA_S6_PS5_21rocsparse_index_base_b ; -- Begin function _ZN9rocsparseL19gebsrmvn_4xn_kernelILj128ELj3ELj8E21rocsparse_complex_numIfEEEvi20rocsparse_direction_NS_24const_host_device_scalarIT2_EEPKiS8_PKS5_SA_S6_PS5_21rocsparse_index_base_b
	.p2align	8
	.type	_ZN9rocsparseL19gebsrmvn_4xn_kernelILj128ELj3ELj8E21rocsparse_complex_numIfEEEvi20rocsparse_direction_NS_24const_host_device_scalarIT2_EEPKiS8_PKS5_SA_S6_PS5_21rocsparse_index_base_b,@function
_ZN9rocsparseL19gebsrmvn_4xn_kernelILj128ELj3ELj8E21rocsparse_complex_numIfEEEvi20rocsparse_direction_NS_24const_host_device_scalarIT2_EEPKiS8_PKS5_SA_S6_PS5_21rocsparse_index_base_b: ; @_ZN9rocsparseL19gebsrmvn_4xn_kernelILj128ELj3ELj8E21rocsparse_complex_numIfEEEvi20rocsparse_direction_NS_24const_host_device_scalarIT2_EEPKiS8_PKS5_SA_S6_PS5_21rocsparse_index_base_b
; %bb.0:
	s_load_dwordx2 s[0:1], s[4:5], 0x8
	s_load_dwordx2 s[8:9], s[4:5], 0x30
	;; [unrolled: 1-line block ×3, first 2 shown]
	s_add_u32 s7, s4, 8
	s_addc_u32 s10, s5, 0
	s_add_u32 s11, s4, 48
	s_addc_u32 s12, s5, 0
	s_waitcnt lgkmcnt(0)
	s_bitcmp1_b32 s3, 0
	s_cselect_b32 s1, s10, s1
	s_cselect_b32 s0, s7, s0
	v_mov_b32_e32 v1, s0
	v_mov_b32_e32 v2, s1
	flat_load_dwordx2 v[1:2], v[1:2]
	s_cselect_b32 s0, s12, s9
	s_cselect_b32 s1, s11, s8
	v_mov_b32_e32 v3, s1
	v_mov_b32_e32 v4, s0
	flat_load_dwordx2 v[3:4], v[3:4]
	s_waitcnt vmcnt(0) lgkmcnt(0)
	v_cmp_eq_f32_e32 vcc, 0, v1
	v_cmp_eq_f32_e64 s[0:1], 0, v2
	s_and_b64 s[10:11], vcc, s[0:1]
	s_mov_b64 s[0:1], -1
	s_and_saveexec_b64 s[8:9], s[10:11]
; %bb.1:
	v_cmp_neq_f32_e32 vcc, 1.0, v3
	v_cmp_neq_f32_e64 s[0:1], 0, v4
	s_or_b64 s[0:1], vcc, s[0:1]
	s_orn2_b64 s[0:1], s[0:1], exec
; %bb.2:
	s_or_b64 exec, exec, s[8:9]
	s_and_saveexec_b64 s[8:9], s[0:1]
	s_cbranch_execz .LBB85_21
; %bb.3:
	s_load_dwordx2 s[0:1], s[4:5], 0x0
	v_lshrrev_b32_e32 v5, 3, v0
	v_lshl_or_b32 v5, s6, 4, v5
	s_waitcnt lgkmcnt(0)
	v_cmp_gt_i32_e32 vcc, s0, v5
	s_and_b64 exec, exec, vcc
	s_cbranch_execz .LBB85_21
; %bb.4:
	s_load_dwordx8 s[8:15], s[4:5], 0x10
	v_ashrrev_i32_e32 v6, 31, v5
	v_lshlrev_b64 v[6:7], 2, v[5:6]
	v_and_b32_e32 v0, 7, v0
	s_cmp_lg_u32 s1, 0
	s_waitcnt lgkmcnt(0)
	v_mov_b32_e32 v8, s9
	v_add_co_u32_e32 v6, vcc, s8, v6
	v_addc_co_u32_e32 v7, vcc, v8, v7, vcc
	global_load_dwordx2 v[6:7], v[6:7], off
	s_waitcnt vmcnt(0)
	v_subrev_u32_e32 v6, s2, v6
	v_subrev_u32_e32 v15, s2, v7
	v_add_u32_e32 v6, v6, v0
	v_cmp_lt_i32_e64 s[0:1], v6, v15
	s_cbranch_scc0 .LBB85_10
; %bb.5:
	v_mov_b32_e32 v13, 0
	v_mov_b32_e32 v20, 0
	;; [unrolled: 1-line block ×8, first 2 shown]
	s_and_saveexec_b64 s[6:7], s[0:1]
	s_cbranch_execz .LBB85_9
; %bb.6:
	v_mul_lo_u32 v7, v6, 12
	v_mov_b32_e32 v8, 0
	s_mov_b64 s[8:9], 0
	v_mov_b32_e32 v11, s11
	v_mov_b32_e32 v21, s13
	;; [unrolled: 1-line block ×12, first 2 shown]
.LBB85_7:                               ; =>This Inner Loop Header: Depth=1
	v_ashrrev_i32_e32 v10, 31, v9
	v_lshlrev_b64 v[23:24], 2, v[9:10]
	v_add_u32_e32 v25, 4, v7
	v_add_co_u32_e32 v23, vcc, s10, v23
	v_addc_co_u32_e32 v24, vcc, v11, v24, vcc
	global_load_dword v10, v[23:24], off
	v_lshlrev_b64 v[23:24], 3, v[7:8]
	v_mov_b32_e32 v26, v8
	v_lshlrev_b64 v[31:32], 3, v[25:26]
	v_add_co_u32_e32 v35, vcc, s12, v23
	v_add_u32_e32 v27, 8, v7
	v_mov_b32_e32 v28, v8
	v_addc_co_u32_e32 v36, vcc, v21, v24, vcc
	v_lshlrev_b64 v[33:34], 3, v[27:28]
	v_add_co_u32_e32 v52, vcc, s12, v31
	v_addc_co_u32_e32 v53, vcc, v21, v32, vcc
	v_mov_b32_e32 v48, v8
	v_add_co_u32_e32 v54, vcc, s12, v33
	global_load_dwordx4 v[23:26], v[35:36], off
	global_load_dwordx4 v[27:30], v[35:36], off offset:16
	v_addc_co_u32_e32 v55, vcc, v21, v34, vcc
	global_load_dwordx4 v[31:34], v[52:53], off
	global_load_dwordx4 v[35:38], v[52:53], off offset:16
	global_load_dwordx4 v[39:42], v[54:55], off offset:16
	global_load_dwordx4 v[43:46], v[54:55], off
	v_mov_b32_e32 v49, v8
	v_mov_b32_e32 v51, v8
	v_add_u32_e32 v9, 8, v9
	v_add_u32_e32 v7, 0x60, v7
	s_waitcnt vmcnt(6)
	v_subrev_u32_e32 v10, s2, v10
	v_lshl_add_u32 v47, v10, 1, v10
	v_lshlrev_b64 v[52:53], 3, v[47:48]
	v_add_u32_e32 v48, 1, v47
	v_add_u32_e32 v50, 2, v47
	v_lshlrev_b64 v[47:48], 3, v[48:49]
	v_lshlrev_b64 v[49:50], 3, v[50:51]
	v_add_co_u32_e32 v51, vcc, s14, v52
	v_addc_co_u32_e32 v52, vcc, v22, v53, vcc
	global_load_dwordx2 v[51:52], v[51:52], off
	v_add_co_u32_e32 v47, vcc, s14, v47
	v_addc_co_u32_e32 v48, vcc, v22, v48, vcc
	v_add_co_u32_e32 v49, vcc, s14, v49
	v_addc_co_u32_e32 v50, vcc, v22, v50, vcc
	global_load_dwordx2 v[53:54], v[47:48], off
	global_load_dwordx2 v[55:56], v[49:50], off
	v_cmp_ge_i32_e32 vcc, v9, v15
	s_or_b64 s[8:9], vcc, s[8:9]
	s_waitcnt vmcnt(2)
	v_fmac_f32_e32 v20, v23, v51
	v_fmac_f32_e32 v13, v24, v51
	v_fmac_f32_e32 v19, v25, v51
	v_fmac_f32_e32 v16, v26, v51
	v_fmac_f32_e32 v18, v27, v51
	v_fmac_f32_e32 v14, v28, v51
	v_fmac_f32_e32 v17, v29, v51
	v_fmac_f32_e32 v12, v30, v51
	v_fma_f32 v10, -v24, v52, v20
	v_fmac_f32_e32 v13, v23, v52
	v_fma_f32 v19, -v26, v52, v19
	v_fmac_f32_e32 v16, v25, v52
	v_fma_f32 v18, -v28, v52, v18
	v_fmac_f32_e32 v14, v27, v52
	v_fma_f32 v17, -v30, v52, v17
	v_fmac_f32_e32 v12, v29, v52
	s_waitcnt vmcnt(1)
	v_fmac_f32_e32 v10, v31, v53
	v_fmac_f32_e32 v13, v32, v53
	v_fmac_f32_e32 v19, v33, v53
	v_fmac_f32_e32 v16, v34, v53
	v_fmac_f32_e32 v18, v35, v53
	v_fmac_f32_e32 v14, v36, v53
	v_fmac_f32_e32 v17, v37, v53
	v_fmac_f32_e32 v12, v38, v53
	v_fma_f32 v10, -v32, v54, v10
	v_fmac_f32_e32 v13, v31, v54
	v_fma_f32 v19, -v34, v54, v19
	v_fmac_f32_e32 v16, v33, v54
	v_fma_f32 v18, -v36, v54, v18
	v_fmac_f32_e32 v14, v35, v54
	v_fma_f32 v17, -v38, v54, v17
	v_fmac_f32_e32 v12, v37, v54
	;; [unrolled: 17-line block ×3, first 2 shown]
	s_andn2_b64 exec, exec, s[8:9]
	s_cbranch_execnz .LBB85_7
; %bb.8:
	s_or_b64 exec, exec, s[8:9]
.LBB85_9:
	s_or_b64 exec, exec, s[6:7]
	s_cbranch_execz .LBB85_11
	s_branch .LBB85_16
.LBB85_10:
                                        ; implicit-def: $vgpr13
                                        ; implicit-def: $vgpr20
                                        ; implicit-def: $vgpr17
                                        ; implicit-def: $vgpr12
                                        ; implicit-def: $vgpr18
                                        ; implicit-def: $vgpr14
                                        ; implicit-def: $vgpr19
                                        ; implicit-def: $vgpr16
.LBB85_11:
	v_mov_b32_e32 v13, 0
	v_mov_b32_e32 v20, 0
	;; [unrolled: 1-line block ×8, first 2 shown]
	s_and_saveexec_b64 s[6:7], s[0:1]
	s_cbranch_execz .LBB85_15
; %bb.12:
	v_mad_u64_u32 v[8:9], s[0:1], v6, 12, 11
	v_mov_b32_e32 v11, 0
	s_mov_b64 s[0:1], 0
	v_mov_b32_e32 v21, s11
	v_mov_b32_e32 v22, s13
	;; [unrolled: 1-line block ×11, first 2 shown]
.LBB85_13:                              ; =>This Inner Loop Header: Depth=1
	v_ashrrev_i32_e32 v7, 31, v6
	v_lshlrev_b64 v[28:29], 2, v[6:7]
	v_add_u32_e32 v10, -11, v8
	v_lshlrev_b64 v[30:31], 3, v[10:11]
	v_add_co_u32_e32 v28, vcc, s10, v28
	v_addc_co_u32_e32 v29, vcc, v21, v29, vcc
	v_add_u32_e32 v24, -5, v8
	v_mov_b32_e32 v25, v11
	v_add_u32_e32 v26, -2, v8
	v_mov_b32_e32 v27, v11
	v_add_co_u32_e32 v38, vcc, s12, v30
	v_lshlrev_b64 v[34:35], 3, v[24:25]
	v_lshlrev_b64 v[36:37], 3, v[26:27]
	v_addc_co_u32_e32 v39, vcc, v22, v31, vcc
	global_load_dword v7, v[28:29], off
	global_load_dwordx4 v[24:27], v[38:39], off
	v_mov_b32_e32 v33, v11
	v_mov_b32_e32 v9, v11
	v_add_u32_e32 v6, 8, v6
	s_waitcnt vmcnt(1)
	v_subrev_u32_e32 v7, s2, v7
	v_lshl_add_u32 v32, v7, 1, v7
	v_lshlrev_b64 v[28:29], 3, v[32:33]
	v_add_u32_e32 v10, 1, v32
	v_lshlrev_b64 v[30:31], 3, v[10:11]
	v_add_co_u32_e32 v40, vcc, s14, v28
	v_addc_co_u32_e32 v41, vcc, v23, v29, vcc
	v_add_co_u32_e32 v42, vcc, s14, v30
	v_addc_co_u32_e32 v43, vcc, v23, v31, vcc
	global_load_dwordx4 v[28:31], v[38:39], off offset:16
	global_load_dwordx2 v[44:45], v[40:41], off
	global_load_dwordx2 v[46:47], v[42:43], off
	v_lshlrev_b64 v[9:10], 3, v[8:9]
	s_waitcnt vmcnt(1)
	v_fmac_f32_e32 v13, v25, v44
	v_fmac_f32_e32 v20, v24, v44
	;; [unrolled: 1-line block ×3, first 2 shown]
	v_add_co_u32_e32 v24, vcc, s12, v34
	v_fma_f32 v7, -v25, v45, v20
	s_waitcnt vmcnt(0)
	v_fmac_f32_e32 v13, v27, v46
	v_addc_co_u32_e32 v25, vcc, v22, v35, vcc
	v_fmac_f32_e32 v7, v26, v46
	v_fmac_f32_e32 v13, v26, v47
	v_add_co_u32_e32 v26, vcc, s12, v36
	v_fma_f32 v7, -v27, v47, v7
	v_addc_co_u32_e32 v27, vcc, v22, v37, vcc
	global_load_dwordx2 v[50:51], v[24:25], off
	global_load_dwordx2 v[52:53], v[26:27], off
	v_add_co_u32_e32 v33, vcc, s12, v9
	v_addc_co_u32_e32 v34, vcc, v22, v10, vcc
	v_add_u32_e32 v10, -7, v8
	v_lshlrev_b64 v[9:10], 3, v[10:11]
	v_fmac_f32_e32 v19, v30, v44
	v_add_co_u32_e32 v35, vcc, s12, v9
	v_addc_co_u32_e32 v36, vcc, v22, v10, vcc
	v_add_u32_e32 v10, -4, v8
	v_lshlrev_b64 v[37:38], 3, v[10:11]
	v_add_u32_e32 v10, -1, v8
	v_lshlrev_b64 v[39:40], 3, v[10:11]
	v_add_co_u32_e32 v37, vcc, s12, v37
	v_addc_co_u32_e32 v38, vcc, v22, v38, vcc
	v_add_co_u32_e32 v39, vcc, s12, v39
	v_add_u32_e32 v10, 2, v32
	v_addc_co_u32_e32 v40, vcc, v22, v40, vcc
	v_fma_f32 v26, -v31, v45, v19
	v_lshlrev_b64 v[9:10], 3, v[10:11]
	v_fmac_f32_e32 v16, v31, v44
	v_add_co_u32_e32 v41, vcc, s14, v9
	v_addc_co_u32_e32 v42, vcc, v23, v10, vcc
	v_add_u32_e32 v10, -6, v8
	v_lshlrev_b64 v[9:10], 3, v[10:11]
	v_fmac_f32_e32 v16, v30, v45
	v_add_co_u32_e32 v48, vcc, s12, v9
	v_addc_co_u32_e32 v49, vcc, v22, v10, vcc
	v_add_u32_e32 v10, -3, v8
	v_lshlrev_b64 v[9:10], 3, v[10:11]
	v_add_u32_e32 v8, 0x60, v8
	v_add_co_u32_e32 v9, vcc, s12, v9
	v_addc_co_u32_e32 v10, vcc, v22, v10, vcc
	v_cmp_ge_i32_e32 vcc, v6, v15
	s_or_b64 s[0:1], vcc, s[0:1]
	s_waitcnt vmcnt(1)
	v_fmac_f32_e32 v18, v50, v44
	s_waitcnt vmcnt(0)
	v_fmac_f32_e32 v17, v52, v44
	v_fma_f32 v32, -v51, v45, v18
	v_fma_f32 v43, -v53, v45, v17
	global_load_dwordx2 v[17:18], v[35:36], off
	global_load_dwordx2 v[19:20], v[37:38], off
	;; [unrolled: 1-line block ×3, first 2 shown]
	v_fmac_f32_e32 v14, v51, v44
	v_fmac_f32_e32 v12, v53, v44
	;; [unrolled: 1-line block ×4, first 2 shown]
	s_waitcnt vmcnt(2)
	v_fmac_f32_e32 v26, v17, v46
	v_fmac_f32_e32 v16, v18, v46
	v_fma_f32 v37, -v18, v47, v26
	v_fmac_f32_e32 v16, v17, v47
	global_load_dwordx2 v[26:27], v[41:42], off
	global_load_dwordx2 v[17:18], v[48:49], off
	;; [unrolled: 1-line block ×4, first 2 shown]
	s_waitcnt vmcnt(5)
	v_fmac_f32_e32 v32, v19, v46
	v_fmac_f32_e32 v14, v20, v46
	s_waitcnt vmcnt(4)
	v_fmac_f32_e32 v43, v24, v46
	v_fmac_f32_e32 v12, v25, v46
	v_fma_f32 v9, -v20, v47, v32
	v_fmac_f32_e32 v14, v19, v47
	v_fma_f32 v10, -v25, v47, v43
	v_fmac_f32_e32 v12, v24, v47
	s_waitcnt vmcnt(3)
	v_fmac_f32_e32 v7, v28, v26
	v_fmac_f32_e32 v13, v29, v26
	s_waitcnt vmcnt(2)
	v_fmac_f32_e32 v37, v17, v26
	;; [unrolled: 3-line block ×4, first 2 shown]
	v_fmac_f32_e32 v12, v36, v26
	v_fma_f32 v20, -v29, v27, v7
	v_fmac_f32_e32 v13, v28, v27
	v_fma_f32 v19, -v18, v27, v37
	v_fmac_f32_e32 v16, v17, v27
	v_fma_f32 v18, -v31, v27, v9
	v_fmac_f32_e32 v14, v30, v27
	v_fma_f32 v17, -v36, v27, v10
	v_fmac_f32_e32 v12, v35, v27
	s_andn2_b64 exec, exec, s[0:1]
	s_cbranch_execnz .LBB85_13
; %bb.14:
	s_or_b64 exec, exec, s[0:1]
.LBB85_15:
	s_or_b64 exec, exec, s[6:7]
.LBB85_16:
	v_mov_b32_dpp v10, v19 row_shr:1 row_mask:0xf bank_mask:0xf
	v_add_f32_e32 v10, v19, v10
	v_mov_b32_dpp v6, v20 row_shr:1 row_mask:0xf bank_mask:0xf
	v_mov_b32_dpp v8, v13 row_shr:1 row_mask:0xf bank_mask:0xf
	;; [unrolled: 1-line block ×3, first 2 shown]
	v_add_f32_e32 v11, v10, v11
	v_mov_b32_dpp v10, v16 row_shr:1 row_mask:0xf bank_mask:0xf
	v_add_f32_e32 v10, v16, v10
	v_add_f32_e32 v6, v20, v6
	;; [unrolled: 1-line block ×3, first 2 shown]
	v_mov_b32_dpp v15, v10 row_shr:2 row_mask:0xf bank_mask:0xf
	v_add_f32_e32 v15, v10, v15
	v_mov_b32_dpp v10, v18 row_shr:1 row_mask:0xf bank_mask:0xf
	v_add_f32_e32 v10, v18, v10
	v_mov_b32_dpp v7, v6 row_shr:2 row_mask:0xf bank_mask:0xf
	v_mov_b32_dpp v9, v8 row_shr:2 row_mask:0xf bank_mask:0xf
	;; [unrolled: 1-line block ×3, first 2 shown]
	v_add_f32_e32 v18, v10, v18
	v_mov_b32_dpp v10, v14 row_shr:1 row_mask:0xf bank_mask:0xf
	v_add_f32_e32 v10, v14, v10
	v_add_f32_e32 v6, v6, v7
	v_add_f32_e32 v8, v8, v9
	v_mov_b32_dpp v14, v10 row_shr:2 row_mask:0xf bank_mask:0xf
	v_add_f32_e32 v14, v10, v14
	v_mov_b32_dpp v10, v17 row_shr:1 row_mask:0xf bank_mask:0xf
	v_add_f32_e32 v10, v17, v10
	v_mov_b32_dpp v7, v6 row_shr:4 row_mask:0xf bank_mask:0xe
	v_mov_b32_dpp v9, v8 row_shr:4 row_mask:0xf bank_mask:0xe
	;; [unrolled: 1-line block ×3, first 2 shown]
	v_add_f32_e32 v17, v10, v17
	v_mov_b32_dpp v10, v12 row_shr:1 row_mask:0xf bank_mask:0xf
	v_add_f32_e32 v10, v12, v10
	v_mov_b32_dpp v13, v11 row_shr:4 row_mask:0xf bank_mask:0xe
	v_mov_b32_dpp v16, v15 row_shr:4 row_mask:0xf bank_mask:0xe
	;; [unrolled: 1-line block ×3, first 2 shown]
	v_add_f32_e32 v22, v10, v12
	v_mov_b32_dpp v19, v18 row_shr:4 row_mask:0xf bank_mask:0xe
	v_mov_b32_dpp v20, v14 row_shr:4 row_mask:0xf bank_mask:0xe
	;; [unrolled: 1-line block ×4, first 2 shown]
	v_cmp_eq_u32_e32 vcc, 7, v0
	s_and_b64 exec, exec, vcc
	s_cbranch_execz .LBB85_21
; %bb.17:
	s_load_dwordx2 s[2:3], s[4:5], 0x38
	v_cmp_eq_f32_e32 vcc, 0, v3
	v_cmp_eq_f32_e64 s[0:1], 0, v4
	v_add_f32_e32 v10, v6, v7
	v_add_f32_e32 v12, v8, v9
	;; [unrolled: 1-line block ×8, first 2 shown]
	s_and_b64 s[0:1], vcc, s[0:1]
	s_and_saveexec_b64 s[4:5], s[0:1]
	s_xor_b64 s[0:1], exec, s[4:5]
	s_cbranch_execz .LBB85_19
; %bb.18:
	v_lshlrev_b32_e32 v3, 2, v5
	v_ashrrev_i32_e32 v4, 31, v3
	v_lshlrev_b64 v[3:4], 3, v[3:4]
	s_waitcnt lgkmcnt(0)
	v_mov_b32_e32 v5, s3
	v_add_co_u32_e32 v17, vcc, s2, v3
	v_addc_co_u32_e32 v18, vcc, v5, v4, vcc
	v_mul_f32_e64 v3, v9, -v2
	v_mul_f32_e32 v4, v1, v9
	v_mul_f32_e64 v13, v12, -v2
	v_mul_f32_e32 v14, v1, v12
	;; [unrolled: 2-line block ×3, first 2 shown]
	v_fmac_f32_e32 v3, v1, v6
	v_fmac_f32_e32 v4, v2, v6
	v_mul_f32_e64 v5, v7, -v2
	v_mul_f32_e32 v6, v1, v7
	v_fmac_f32_e32 v13, v1, v10
	v_fmac_f32_e32 v14, v2, v10
	;; [unrolled: 1-line block ×6, first 2 shown]
	global_store_dwordx4 v[17:18], v[13:16], off
	global_store_dwordx4 v[17:18], v[3:6], off offset:16
                                        ; implicit-def: $vgpr5
                                        ; implicit-def: $vgpr10
                                        ; implicit-def: $vgpr12
                                        ; implicit-def: $vgpr8
                                        ; implicit-def: $vgpr11
                                        ; implicit-def: $vgpr6
                                        ; implicit-def: $vgpr9
                                        ; implicit-def: $vgpr0
                                        ; implicit-def: $vgpr7
                                        ; implicit-def: $vgpr1_vgpr2
                                        ; implicit-def: $vgpr3_vgpr4
.LBB85_19:
	s_andn2_saveexec_b64 s[0:1], s[0:1]
	s_cbranch_execz .LBB85_21
; %bb.20:
	v_lshlrev_b32_e32 v13, 2, v5
	v_ashrrev_i32_e32 v14, 31, v13
	v_lshlrev_b64 v[13:14], 3, v[13:14]
	s_waitcnt lgkmcnt(0)
	v_mov_b32_e32 v5, s3
	v_add_co_u32_e32 v25, vcc, s2, v13
	v_addc_co_u32_e32 v26, vcc, v5, v14, vcc
	global_load_dwordx4 v[13:16], v[25:26], off
	global_load_dwordx4 v[17:20], v[25:26], off offset:16
	v_mul_f32_e64 v5, v12, -v2
	v_mul_f32_e32 v22, v1, v12
	v_mul_f32_e64 v12, v11, -v2
	v_mul_f32_e32 v24, v1, v11
	v_mul_f32_e64 v27, v9, -v2
	v_mul_f32_e32 v9, v1, v9
	v_mul_f32_e64 v28, v7, -v2
	v_mul_f32_e32 v11, v1, v7
	v_fmac_f32_e32 v5, v1, v10
	v_fmac_f32_e32 v22, v2, v10
	v_fmac_f32_e32 v12, v1, v8
	v_fmac_f32_e32 v24, v2, v8
	v_fmac_f32_e32 v27, v1, v6
	v_fmac_f32_e32 v9, v2, v6
	v_fmac_f32_e32 v28, v1, v0
	v_fmac_f32_e32 v11, v2, v0
	s_waitcnt vmcnt(1)
	v_fmac_f32_e32 v5, v3, v13
	v_fmac_f32_e32 v22, v4, v13
	;; [unrolled: 1-line block ×4, first 2 shown]
	s_waitcnt vmcnt(0)
	v_fmac_f32_e32 v27, v3, v17
	v_fmac_f32_e32 v9, v4, v17
	;; [unrolled: 1-line block ×4, first 2 shown]
	v_fma_f32 v21, -v4, v14, v5
	v_fmac_f32_e32 v22, v3, v14
	v_fma_f32 v23, -v4, v16, v12
	v_fmac_f32_e32 v24, v3, v16
	;; [unrolled: 2-line block ×4, first 2 shown]
	global_store_dwordx4 v[25:26], v[21:24], off
	global_store_dwordx4 v[25:26], v[8:11], off offset:16
.LBB85_21:
	s_endpgm
	.section	.rodata,"a",@progbits
	.p2align	6, 0x0
	.amdhsa_kernel _ZN9rocsparseL19gebsrmvn_4xn_kernelILj128ELj3ELj8E21rocsparse_complex_numIfEEEvi20rocsparse_direction_NS_24const_host_device_scalarIT2_EEPKiS8_PKS5_SA_S6_PS5_21rocsparse_index_base_b
		.amdhsa_group_segment_fixed_size 0
		.amdhsa_private_segment_fixed_size 0
		.amdhsa_kernarg_size 72
		.amdhsa_user_sgpr_count 6
		.amdhsa_user_sgpr_private_segment_buffer 1
		.amdhsa_user_sgpr_dispatch_ptr 0
		.amdhsa_user_sgpr_queue_ptr 0
		.amdhsa_user_sgpr_kernarg_segment_ptr 1
		.amdhsa_user_sgpr_dispatch_id 0
		.amdhsa_user_sgpr_flat_scratch_init 0
		.amdhsa_user_sgpr_private_segment_size 0
		.amdhsa_uses_dynamic_stack 0
		.amdhsa_system_sgpr_private_segment_wavefront_offset 0
		.amdhsa_system_sgpr_workgroup_id_x 1
		.amdhsa_system_sgpr_workgroup_id_y 0
		.amdhsa_system_sgpr_workgroup_id_z 0
		.amdhsa_system_sgpr_workgroup_info 0
		.amdhsa_system_vgpr_workitem_id 0
		.amdhsa_next_free_vgpr 57
		.amdhsa_next_free_sgpr 16
		.amdhsa_reserve_vcc 1
		.amdhsa_reserve_flat_scratch 0
		.amdhsa_float_round_mode_32 0
		.amdhsa_float_round_mode_16_64 0
		.amdhsa_float_denorm_mode_32 3
		.amdhsa_float_denorm_mode_16_64 3
		.amdhsa_dx10_clamp 1
		.amdhsa_ieee_mode 1
		.amdhsa_fp16_overflow 0
		.amdhsa_exception_fp_ieee_invalid_op 0
		.amdhsa_exception_fp_denorm_src 0
		.amdhsa_exception_fp_ieee_div_zero 0
		.amdhsa_exception_fp_ieee_overflow 0
		.amdhsa_exception_fp_ieee_underflow 0
		.amdhsa_exception_fp_ieee_inexact 0
		.amdhsa_exception_int_div_zero 0
	.end_amdhsa_kernel
	.section	.text._ZN9rocsparseL19gebsrmvn_4xn_kernelILj128ELj3ELj8E21rocsparse_complex_numIfEEEvi20rocsparse_direction_NS_24const_host_device_scalarIT2_EEPKiS8_PKS5_SA_S6_PS5_21rocsparse_index_base_b,"axG",@progbits,_ZN9rocsparseL19gebsrmvn_4xn_kernelILj128ELj3ELj8E21rocsparse_complex_numIfEEEvi20rocsparse_direction_NS_24const_host_device_scalarIT2_EEPKiS8_PKS5_SA_S6_PS5_21rocsparse_index_base_b,comdat
.Lfunc_end85:
	.size	_ZN9rocsparseL19gebsrmvn_4xn_kernelILj128ELj3ELj8E21rocsparse_complex_numIfEEEvi20rocsparse_direction_NS_24const_host_device_scalarIT2_EEPKiS8_PKS5_SA_S6_PS5_21rocsparse_index_base_b, .Lfunc_end85-_ZN9rocsparseL19gebsrmvn_4xn_kernelILj128ELj3ELj8E21rocsparse_complex_numIfEEEvi20rocsparse_direction_NS_24const_host_device_scalarIT2_EEPKiS8_PKS5_SA_S6_PS5_21rocsparse_index_base_b
                                        ; -- End function
	.set _ZN9rocsparseL19gebsrmvn_4xn_kernelILj128ELj3ELj8E21rocsparse_complex_numIfEEEvi20rocsparse_direction_NS_24const_host_device_scalarIT2_EEPKiS8_PKS5_SA_S6_PS5_21rocsparse_index_base_b.num_vgpr, 57
	.set _ZN9rocsparseL19gebsrmvn_4xn_kernelILj128ELj3ELj8E21rocsparse_complex_numIfEEEvi20rocsparse_direction_NS_24const_host_device_scalarIT2_EEPKiS8_PKS5_SA_S6_PS5_21rocsparse_index_base_b.num_agpr, 0
	.set _ZN9rocsparseL19gebsrmvn_4xn_kernelILj128ELj3ELj8E21rocsparse_complex_numIfEEEvi20rocsparse_direction_NS_24const_host_device_scalarIT2_EEPKiS8_PKS5_SA_S6_PS5_21rocsparse_index_base_b.numbered_sgpr, 16
	.set _ZN9rocsparseL19gebsrmvn_4xn_kernelILj128ELj3ELj8E21rocsparse_complex_numIfEEEvi20rocsparse_direction_NS_24const_host_device_scalarIT2_EEPKiS8_PKS5_SA_S6_PS5_21rocsparse_index_base_b.num_named_barrier, 0
	.set _ZN9rocsparseL19gebsrmvn_4xn_kernelILj128ELj3ELj8E21rocsparse_complex_numIfEEEvi20rocsparse_direction_NS_24const_host_device_scalarIT2_EEPKiS8_PKS5_SA_S6_PS5_21rocsparse_index_base_b.private_seg_size, 0
	.set _ZN9rocsparseL19gebsrmvn_4xn_kernelILj128ELj3ELj8E21rocsparse_complex_numIfEEEvi20rocsparse_direction_NS_24const_host_device_scalarIT2_EEPKiS8_PKS5_SA_S6_PS5_21rocsparse_index_base_b.uses_vcc, 1
	.set _ZN9rocsparseL19gebsrmvn_4xn_kernelILj128ELj3ELj8E21rocsparse_complex_numIfEEEvi20rocsparse_direction_NS_24const_host_device_scalarIT2_EEPKiS8_PKS5_SA_S6_PS5_21rocsparse_index_base_b.uses_flat_scratch, 0
	.set _ZN9rocsparseL19gebsrmvn_4xn_kernelILj128ELj3ELj8E21rocsparse_complex_numIfEEEvi20rocsparse_direction_NS_24const_host_device_scalarIT2_EEPKiS8_PKS5_SA_S6_PS5_21rocsparse_index_base_b.has_dyn_sized_stack, 0
	.set _ZN9rocsparseL19gebsrmvn_4xn_kernelILj128ELj3ELj8E21rocsparse_complex_numIfEEEvi20rocsparse_direction_NS_24const_host_device_scalarIT2_EEPKiS8_PKS5_SA_S6_PS5_21rocsparse_index_base_b.has_recursion, 0
	.set _ZN9rocsparseL19gebsrmvn_4xn_kernelILj128ELj3ELj8E21rocsparse_complex_numIfEEEvi20rocsparse_direction_NS_24const_host_device_scalarIT2_EEPKiS8_PKS5_SA_S6_PS5_21rocsparse_index_base_b.has_indirect_call, 0
	.section	.AMDGPU.csdata,"",@progbits
; Kernel info:
; codeLenInByte = 2444
; TotalNumSgprs: 20
; NumVgprs: 57
; ScratchSize: 0
; MemoryBound: 0
; FloatMode: 240
; IeeeMode: 1
; LDSByteSize: 0 bytes/workgroup (compile time only)
; SGPRBlocks: 2
; VGPRBlocks: 14
; NumSGPRsForWavesPerEU: 20
; NumVGPRsForWavesPerEU: 57
; Occupancy: 4
; WaveLimiterHint : 1
; COMPUTE_PGM_RSRC2:SCRATCH_EN: 0
; COMPUTE_PGM_RSRC2:USER_SGPR: 6
; COMPUTE_PGM_RSRC2:TRAP_HANDLER: 0
; COMPUTE_PGM_RSRC2:TGID_X_EN: 1
; COMPUTE_PGM_RSRC2:TGID_Y_EN: 0
; COMPUTE_PGM_RSRC2:TGID_Z_EN: 0
; COMPUTE_PGM_RSRC2:TIDIG_COMP_CNT: 0
	.section	.text._ZN9rocsparseL19gebsrmvn_4xn_kernelILj128ELj3ELj16E21rocsparse_complex_numIfEEEvi20rocsparse_direction_NS_24const_host_device_scalarIT2_EEPKiS8_PKS5_SA_S6_PS5_21rocsparse_index_base_b,"axG",@progbits,_ZN9rocsparseL19gebsrmvn_4xn_kernelILj128ELj3ELj16E21rocsparse_complex_numIfEEEvi20rocsparse_direction_NS_24const_host_device_scalarIT2_EEPKiS8_PKS5_SA_S6_PS5_21rocsparse_index_base_b,comdat
	.globl	_ZN9rocsparseL19gebsrmvn_4xn_kernelILj128ELj3ELj16E21rocsparse_complex_numIfEEEvi20rocsparse_direction_NS_24const_host_device_scalarIT2_EEPKiS8_PKS5_SA_S6_PS5_21rocsparse_index_base_b ; -- Begin function _ZN9rocsparseL19gebsrmvn_4xn_kernelILj128ELj3ELj16E21rocsparse_complex_numIfEEEvi20rocsparse_direction_NS_24const_host_device_scalarIT2_EEPKiS8_PKS5_SA_S6_PS5_21rocsparse_index_base_b
	.p2align	8
	.type	_ZN9rocsparseL19gebsrmvn_4xn_kernelILj128ELj3ELj16E21rocsparse_complex_numIfEEEvi20rocsparse_direction_NS_24const_host_device_scalarIT2_EEPKiS8_PKS5_SA_S6_PS5_21rocsparse_index_base_b,@function
_ZN9rocsparseL19gebsrmvn_4xn_kernelILj128ELj3ELj16E21rocsparse_complex_numIfEEEvi20rocsparse_direction_NS_24const_host_device_scalarIT2_EEPKiS8_PKS5_SA_S6_PS5_21rocsparse_index_base_b: ; @_ZN9rocsparseL19gebsrmvn_4xn_kernelILj128ELj3ELj16E21rocsparse_complex_numIfEEEvi20rocsparse_direction_NS_24const_host_device_scalarIT2_EEPKiS8_PKS5_SA_S6_PS5_21rocsparse_index_base_b
; %bb.0:
	s_load_dwordx2 s[0:1], s[4:5], 0x8
	s_load_dwordx2 s[8:9], s[4:5], 0x30
	;; [unrolled: 1-line block ×3, first 2 shown]
	s_add_u32 s7, s4, 8
	s_addc_u32 s10, s5, 0
	s_add_u32 s11, s4, 48
	s_addc_u32 s12, s5, 0
	s_waitcnt lgkmcnt(0)
	s_bitcmp1_b32 s3, 0
	s_cselect_b32 s1, s10, s1
	s_cselect_b32 s0, s7, s0
	v_mov_b32_e32 v1, s0
	v_mov_b32_e32 v2, s1
	flat_load_dwordx2 v[1:2], v[1:2]
	s_cselect_b32 s0, s12, s9
	s_cselect_b32 s1, s11, s8
	v_mov_b32_e32 v3, s1
	v_mov_b32_e32 v4, s0
	flat_load_dwordx2 v[3:4], v[3:4]
	s_waitcnt vmcnt(0) lgkmcnt(0)
	v_cmp_eq_f32_e32 vcc, 0, v1
	v_cmp_eq_f32_e64 s[0:1], 0, v2
	s_and_b64 s[10:11], vcc, s[0:1]
	s_mov_b64 s[0:1], -1
	s_and_saveexec_b64 s[8:9], s[10:11]
; %bb.1:
	v_cmp_neq_f32_e32 vcc, 1.0, v3
	v_cmp_neq_f32_e64 s[0:1], 0, v4
	s_or_b64 s[0:1], vcc, s[0:1]
	s_orn2_b64 s[0:1], s[0:1], exec
; %bb.2:
	s_or_b64 exec, exec, s[8:9]
	s_and_saveexec_b64 s[8:9], s[0:1]
	s_cbranch_execz .LBB86_21
; %bb.3:
	s_load_dwordx2 s[0:1], s[4:5], 0x0
	v_lshrrev_b32_e32 v5, 4, v0
	v_lshl_or_b32 v5, s6, 3, v5
	s_waitcnt lgkmcnt(0)
	v_cmp_gt_i32_e32 vcc, s0, v5
	s_and_b64 exec, exec, vcc
	s_cbranch_execz .LBB86_21
; %bb.4:
	s_load_dwordx8 s[8:15], s[4:5], 0x10
	v_ashrrev_i32_e32 v6, 31, v5
	v_lshlrev_b64 v[6:7], 2, v[5:6]
	v_and_b32_e32 v0, 15, v0
	s_cmp_lg_u32 s1, 0
	s_waitcnt lgkmcnt(0)
	v_mov_b32_e32 v8, s9
	v_add_co_u32_e32 v6, vcc, s8, v6
	v_addc_co_u32_e32 v7, vcc, v8, v7, vcc
	global_load_dwordx2 v[6:7], v[6:7], off
	s_waitcnt vmcnt(0)
	v_subrev_u32_e32 v6, s2, v6
	v_subrev_u32_e32 v15, s2, v7
	v_add_u32_e32 v6, v6, v0
	v_cmp_lt_i32_e64 s[0:1], v6, v15
	s_cbranch_scc0 .LBB86_10
; %bb.5:
	v_mov_b32_e32 v14, 0
	v_mov_b32_e32 v20, 0
	;; [unrolled: 1-line block ×8, first 2 shown]
	s_and_saveexec_b64 s[6:7], s[0:1]
	s_cbranch_execz .LBB86_9
; %bb.6:
	v_mul_lo_u32 v7, v6, 12
	v_mov_b32_e32 v8, 0
	s_mov_b64 s[8:9], 0
	v_mov_b32_e32 v11, s11
	v_mov_b32_e32 v21, s13
	;; [unrolled: 1-line block ×12, first 2 shown]
.LBB86_7:                               ; =>This Inner Loop Header: Depth=1
	v_ashrrev_i32_e32 v10, 31, v9
	v_lshlrev_b64 v[23:24], 2, v[9:10]
	v_add_u32_e32 v25, 4, v7
	v_add_co_u32_e32 v23, vcc, s10, v23
	v_addc_co_u32_e32 v24, vcc, v11, v24, vcc
	global_load_dword v10, v[23:24], off
	v_lshlrev_b64 v[23:24], 3, v[7:8]
	v_mov_b32_e32 v26, v8
	v_lshlrev_b64 v[31:32], 3, v[25:26]
	v_add_co_u32_e32 v35, vcc, s12, v23
	v_add_u32_e32 v27, 8, v7
	v_mov_b32_e32 v28, v8
	v_addc_co_u32_e32 v36, vcc, v21, v24, vcc
	v_lshlrev_b64 v[33:34], 3, v[27:28]
	v_add_co_u32_e32 v52, vcc, s12, v31
	v_addc_co_u32_e32 v53, vcc, v21, v32, vcc
	v_mov_b32_e32 v48, v8
	v_add_co_u32_e32 v54, vcc, s12, v33
	global_load_dwordx4 v[23:26], v[35:36], off
	global_load_dwordx4 v[27:30], v[35:36], off offset:16
	v_addc_co_u32_e32 v55, vcc, v21, v34, vcc
	global_load_dwordx4 v[31:34], v[52:53], off
	global_load_dwordx4 v[35:38], v[52:53], off offset:16
	global_load_dwordx4 v[39:42], v[54:55], off offset:16
	global_load_dwordx4 v[43:46], v[54:55], off
	v_mov_b32_e32 v49, v8
	v_mov_b32_e32 v51, v8
	v_add_u32_e32 v9, 16, v9
	v_add_u32_e32 v7, 0xc0, v7
	s_waitcnt vmcnt(6)
	v_subrev_u32_e32 v10, s2, v10
	v_lshl_add_u32 v47, v10, 1, v10
	v_lshlrev_b64 v[52:53], 3, v[47:48]
	v_add_u32_e32 v48, 1, v47
	v_add_u32_e32 v50, 2, v47
	v_lshlrev_b64 v[47:48], 3, v[48:49]
	v_lshlrev_b64 v[49:50], 3, v[50:51]
	v_add_co_u32_e32 v51, vcc, s14, v52
	v_addc_co_u32_e32 v52, vcc, v22, v53, vcc
	global_load_dwordx2 v[51:52], v[51:52], off
	v_add_co_u32_e32 v47, vcc, s14, v47
	v_addc_co_u32_e32 v48, vcc, v22, v48, vcc
	v_add_co_u32_e32 v49, vcc, s14, v49
	v_addc_co_u32_e32 v50, vcc, v22, v50, vcc
	global_load_dwordx2 v[53:54], v[47:48], off
	global_load_dwordx2 v[55:56], v[49:50], off
	v_cmp_ge_i32_e32 vcc, v9, v15
	s_or_b64 s[8:9], vcc, s[8:9]
	s_waitcnt vmcnt(2)
	v_fmac_f32_e32 v20, v23, v51
	v_fmac_f32_e32 v14, v24, v51
	v_fmac_f32_e32 v19, v25, v51
	v_fmac_f32_e32 v16, v26, v51
	v_fmac_f32_e32 v18, v27, v51
	v_fmac_f32_e32 v13, v28, v51
	v_fmac_f32_e32 v17, v29, v51
	v_fmac_f32_e32 v12, v30, v51
	v_fma_f32 v10, -v24, v52, v20
	v_fmac_f32_e32 v14, v23, v52
	v_fma_f32 v19, -v26, v52, v19
	v_fmac_f32_e32 v16, v25, v52
	v_fma_f32 v18, -v28, v52, v18
	v_fmac_f32_e32 v13, v27, v52
	v_fma_f32 v17, -v30, v52, v17
	v_fmac_f32_e32 v12, v29, v52
	s_waitcnt vmcnt(1)
	v_fmac_f32_e32 v10, v31, v53
	v_fmac_f32_e32 v14, v32, v53
	v_fmac_f32_e32 v19, v33, v53
	v_fmac_f32_e32 v16, v34, v53
	v_fmac_f32_e32 v18, v35, v53
	v_fmac_f32_e32 v13, v36, v53
	v_fmac_f32_e32 v17, v37, v53
	v_fmac_f32_e32 v12, v38, v53
	v_fma_f32 v10, -v32, v54, v10
	v_fmac_f32_e32 v14, v31, v54
	v_fma_f32 v19, -v34, v54, v19
	v_fmac_f32_e32 v16, v33, v54
	v_fma_f32 v18, -v36, v54, v18
	v_fmac_f32_e32 v13, v35, v54
	v_fma_f32 v17, -v38, v54, v17
	v_fmac_f32_e32 v12, v37, v54
	;; [unrolled: 17-line block ×3, first 2 shown]
	s_andn2_b64 exec, exec, s[8:9]
	s_cbranch_execnz .LBB86_7
; %bb.8:
	s_or_b64 exec, exec, s[8:9]
.LBB86_9:
	s_or_b64 exec, exec, s[6:7]
	s_cbranch_execz .LBB86_11
	s_branch .LBB86_16
.LBB86_10:
                                        ; implicit-def: $vgpr14
                                        ; implicit-def: $vgpr20
                                        ; implicit-def: $vgpr17
                                        ; implicit-def: $vgpr12
                                        ; implicit-def: $vgpr18
                                        ; implicit-def: $vgpr13
                                        ; implicit-def: $vgpr19
                                        ; implicit-def: $vgpr16
.LBB86_11:
	v_mov_b32_e32 v14, 0
	v_mov_b32_e32 v20, 0
	;; [unrolled: 1-line block ×8, first 2 shown]
	s_and_saveexec_b64 s[6:7], s[0:1]
	s_cbranch_execz .LBB86_15
; %bb.12:
	v_mad_u64_u32 v[8:9], s[0:1], v6, 12, 11
	v_mov_b32_e32 v11, 0
	s_mov_b64 s[0:1], 0
	v_mov_b32_e32 v21, s11
	v_mov_b32_e32 v22, s13
	;; [unrolled: 1-line block ×11, first 2 shown]
.LBB86_13:                              ; =>This Inner Loop Header: Depth=1
	v_ashrrev_i32_e32 v7, 31, v6
	v_lshlrev_b64 v[28:29], 2, v[6:7]
	v_add_u32_e32 v10, -11, v8
	v_lshlrev_b64 v[30:31], 3, v[10:11]
	v_add_co_u32_e32 v28, vcc, s10, v28
	v_addc_co_u32_e32 v29, vcc, v21, v29, vcc
	v_add_u32_e32 v24, -5, v8
	v_mov_b32_e32 v25, v11
	v_add_u32_e32 v26, -2, v8
	v_mov_b32_e32 v27, v11
	v_add_co_u32_e32 v38, vcc, s12, v30
	v_lshlrev_b64 v[34:35], 3, v[24:25]
	v_lshlrev_b64 v[36:37], 3, v[26:27]
	v_addc_co_u32_e32 v39, vcc, v22, v31, vcc
	global_load_dword v7, v[28:29], off
	global_load_dwordx4 v[24:27], v[38:39], off
	v_mov_b32_e32 v33, v11
	v_mov_b32_e32 v9, v11
	v_add_u32_e32 v6, 16, v6
	s_waitcnt vmcnt(1)
	v_subrev_u32_e32 v7, s2, v7
	v_lshl_add_u32 v32, v7, 1, v7
	v_lshlrev_b64 v[28:29], 3, v[32:33]
	v_add_u32_e32 v10, 1, v32
	v_lshlrev_b64 v[30:31], 3, v[10:11]
	v_add_co_u32_e32 v40, vcc, s14, v28
	v_addc_co_u32_e32 v41, vcc, v23, v29, vcc
	v_add_co_u32_e32 v42, vcc, s14, v30
	v_addc_co_u32_e32 v43, vcc, v23, v31, vcc
	global_load_dwordx4 v[28:31], v[38:39], off offset:16
	global_load_dwordx2 v[44:45], v[40:41], off
	global_load_dwordx2 v[46:47], v[42:43], off
	v_lshlrev_b64 v[9:10], 3, v[8:9]
	s_waitcnt vmcnt(1)
	v_fmac_f32_e32 v14, v25, v44
	v_fmac_f32_e32 v20, v24, v44
	;; [unrolled: 1-line block ×3, first 2 shown]
	v_add_co_u32_e32 v24, vcc, s12, v34
	v_fma_f32 v7, -v25, v45, v20
	s_waitcnt vmcnt(0)
	v_fmac_f32_e32 v14, v27, v46
	v_addc_co_u32_e32 v25, vcc, v22, v35, vcc
	v_fmac_f32_e32 v7, v26, v46
	v_fmac_f32_e32 v14, v26, v47
	v_add_co_u32_e32 v26, vcc, s12, v36
	v_fma_f32 v7, -v27, v47, v7
	v_addc_co_u32_e32 v27, vcc, v22, v37, vcc
	global_load_dwordx2 v[50:51], v[24:25], off
	global_load_dwordx2 v[52:53], v[26:27], off
	v_add_co_u32_e32 v33, vcc, s12, v9
	v_addc_co_u32_e32 v34, vcc, v22, v10, vcc
	v_add_u32_e32 v10, -7, v8
	v_lshlrev_b64 v[9:10], 3, v[10:11]
	v_fmac_f32_e32 v19, v30, v44
	v_add_co_u32_e32 v35, vcc, s12, v9
	v_addc_co_u32_e32 v36, vcc, v22, v10, vcc
	v_add_u32_e32 v10, -4, v8
	v_lshlrev_b64 v[37:38], 3, v[10:11]
	v_add_u32_e32 v10, -1, v8
	v_lshlrev_b64 v[39:40], 3, v[10:11]
	v_add_co_u32_e32 v37, vcc, s12, v37
	v_addc_co_u32_e32 v38, vcc, v22, v38, vcc
	v_add_co_u32_e32 v39, vcc, s12, v39
	v_add_u32_e32 v10, 2, v32
	v_addc_co_u32_e32 v40, vcc, v22, v40, vcc
	v_fma_f32 v26, -v31, v45, v19
	v_lshlrev_b64 v[9:10], 3, v[10:11]
	v_fmac_f32_e32 v16, v31, v44
	v_add_co_u32_e32 v41, vcc, s14, v9
	v_addc_co_u32_e32 v42, vcc, v23, v10, vcc
	v_add_u32_e32 v10, -6, v8
	v_lshlrev_b64 v[9:10], 3, v[10:11]
	v_fmac_f32_e32 v16, v30, v45
	v_add_co_u32_e32 v48, vcc, s12, v9
	v_addc_co_u32_e32 v49, vcc, v22, v10, vcc
	v_add_u32_e32 v10, -3, v8
	v_lshlrev_b64 v[9:10], 3, v[10:11]
	v_add_u32_e32 v8, 0xc0, v8
	v_add_co_u32_e32 v9, vcc, s12, v9
	v_addc_co_u32_e32 v10, vcc, v22, v10, vcc
	v_cmp_ge_i32_e32 vcc, v6, v15
	s_or_b64 s[0:1], vcc, s[0:1]
	s_waitcnt vmcnt(1)
	v_fmac_f32_e32 v18, v50, v44
	s_waitcnt vmcnt(0)
	v_fmac_f32_e32 v17, v52, v44
	v_fma_f32 v32, -v51, v45, v18
	v_fma_f32 v43, -v53, v45, v17
	global_load_dwordx2 v[17:18], v[35:36], off
	global_load_dwordx2 v[19:20], v[37:38], off
	;; [unrolled: 1-line block ×3, first 2 shown]
	v_fmac_f32_e32 v13, v51, v44
	v_fmac_f32_e32 v12, v53, v44
	;; [unrolled: 1-line block ×4, first 2 shown]
	s_waitcnt vmcnt(2)
	v_fmac_f32_e32 v26, v17, v46
	v_fmac_f32_e32 v16, v18, v46
	v_fma_f32 v37, -v18, v47, v26
	v_fmac_f32_e32 v16, v17, v47
	global_load_dwordx2 v[26:27], v[41:42], off
	global_load_dwordx2 v[17:18], v[48:49], off
	;; [unrolled: 1-line block ×4, first 2 shown]
	s_waitcnt vmcnt(5)
	v_fmac_f32_e32 v32, v19, v46
	v_fmac_f32_e32 v13, v20, v46
	s_waitcnt vmcnt(4)
	v_fmac_f32_e32 v43, v24, v46
	v_fmac_f32_e32 v12, v25, v46
	v_fma_f32 v9, -v20, v47, v32
	v_fmac_f32_e32 v13, v19, v47
	v_fma_f32 v10, -v25, v47, v43
	v_fmac_f32_e32 v12, v24, v47
	s_waitcnt vmcnt(3)
	v_fmac_f32_e32 v7, v28, v26
	v_fmac_f32_e32 v14, v29, v26
	s_waitcnt vmcnt(2)
	v_fmac_f32_e32 v37, v17, v26
	;; [unrolled: 3-line block ×4, first 2 shown]
	v_fmac_f32_e32 v12, v36, v26
	v_fma_f32 v20, -v29, v27, v7
	v_fmac_f32_e32 v14, v28, v27
	v_fma_f32 v19, -v18, v27, v37
	v_fmac_f32_e32 v16, v17, v27
	v_fma_f32 v18, -v31, v27, v9
	v_fmac_f32_e32 v13, v30, v27
	v_fma_f32 v17, -v36, v27, v10
	v_fmac_f32_e32 v12, v35, v27
	s_andn2_b64 exec, exec, s[0:1]
	s_cbranch_execnz .LBB86_13
; %bb.14:
	s_or_b64 exec, exec, s[0:1]
.LBB86_15:
	s_or_b64 exec, exec, s[6:7]
.LBB86_16:
	v_mov_b32_dpp v10, v19 row_shr:1 row_mask:0xf bank_mask:0xf
	v_add_f32_e32 v10, v19, v10
	v_mov_b32_dpp v6, v20 row_shr:1 row_mask:0xf bank_mask:0xf
	v_mov_b32_dpp v8, v14 row_shr:1 row_mask:0xf bank_mask:0xf
	v_mov_b32_dpp v11, v10 row_shr:2 row_mask:0xf bank_mask:0xf
	v_add_f32_e32 v10, v10, v11
	v_add_f32_e32 v6, v20, v6
	v_add_f32_e32 v8, v14, v8
	v_mov_b32_dpp v11, v10 row_shr:4 row_mask:0xf bank_mask:0xe
	v_add_f32_e32 v11, v10, v11
	v_mov_b32_dpp v10, v16 row_shr:1 row_mask:0xf bank_mask:0xf
	v_add_f32_e32 v10, v16, v10
	v_mov_b32_dpp v7, v6 row_shr:2 row_mask:0xf bank_mask:0xf
	v_mov_b32_dpp v9, v8 row_shr:2 row_mask:0xf bank_mask:0xf
	v_mov_b32_dpp v15, v10 row_shr:2 row_mask:0xf bank_mask:0xf
	v_add_f32_e32 v10, v10, v15
	v_add_f32_e32 v6, v6, v7
	v_add_f32_e32 v8, v8, v9
	v_mov_b32_dpp v15, v10 row_shr:4 row_mask:0xf bank_mask:0xe
	v_add_f32_e32 v15, v10, v15
	;; [unrolled: 10-line block ×3, first 2 shown]
	v_mov_b32_dpp v10, v13 row_shr:1 row_mask:0xf bank_mask:0xf
	v_add_f32_e32 v10, v13, v10
	v_mov_b32_dpp v7, v6 row_shr:8 row_mask:0xf bank_mask:0xc
	v_mov_b32_dpp v9, v8 row_shr:8 row_mask:0xf bank_mask:0xc
	;; [unrolled: 1-line block ×3, first 2 shown]
	v_add_f32_e32 v10, v10, v13
	v_mov_b32_dpp v14, v11 row_shr:8 row_mask:0xf bank_mask:0xc
	v_mov_b32_dpp v16, v15 row_shr:8 row_mask:0xf bank_mask:0xc
	;; [unrolled: 1-line block ×3, first 2 shown]
	v_add_f32_e32 v13, v10, v13
	v_mov_b32_dpp v10, v17 row_shr:1 row_mask:0xf bank_mask:0xf
	v_add_f32_e32 v10, v17, v10
	v_mov_b32_dpp v19, v18 row_shr:8 row_mask:0xf bank_mask:0xc
	v_mov_b32_dpp v20, v13 row_shr:8 row_mask:0xf bank_mask:0xc
	;; [unrolled: 1-line block ×3, first 2 shown]
	v_add_f32_e32 v10, v10, v17
	v_cmp_eq_u32_e32 vcc, 15, v0
	s_nop 0
	v_mov_b32_dpp v17, v10 row_shr:4 row_mask:0xf bank_mask:0xe
	v_add_f32_e32 v17, v10, v17
	v_mov_b32_dpp v10, v12 row_shr:1 row_mask:0xf bank_mask:0xf
	v_add_f32_e32 v10, v12, v10
	v_mov_b32_dpp v21, v17 row_shr:8 row_mask:0xf bank_mask:0xc
	s_nop 0
	v_mov_b32_dpp v12, v10 row_shr:2 row_mask:0xf bank_mask:0xf
	v_add_f32_e32 v10, v10, v12
	s_nop 1
	v_mov_b32_dpp v12, v10 row_shr:4 row_mask:0xf bank_mask:0xe
	v_add_f32_e32 v22, v10, v12
	s_nop 1
	v_mov_b32_dpp v23, v22 row_shr:8 row_mask:0xf bank_mask:0xc
	s_and_b64 exec, exec, vcc
	s_cbranch_execz .LBB86_21
; %bb.17:
	s_load_dwordx2 s[2:3], s[4:5], 0x38
	v_cmp_eq_f32_e32 vcc, 0, v3
	v_cmp_eq_f32_e64 s[0:1], 0, v4
	v_add_f32_e32 v10, v6, v7
	v_add_f32_e32 v12, v8, v9
	;; [unrolled: 1-line block ×8, first 2 shown]
	s_and_b64 s[0:1], vcc, s[0:1]
	s_and_saveexec_b64 s[4:5], s[0:1]
	s_xor_b64 s[0:1], exec, s[4:5]
	s_cbranch_execz .LBB86_19
; %bb.18:
	v_lshlrev_b32_e32 v3, 2, v5
	v_ashrrev_i32_e32 v4, 31, v3
	v_lshlrev_b64 v[3:4], 3, v[3:4]
	s_waitcnt lgkmcnt(0)
	v_mov_b32_e32 v5, s3
	v_add_co_u32_e32 v17, vcc, s2, v3
	v_addc_co_u32_e32 v18, vcc, v5, v4, vcc
	v_mul_f32_e64 v3, v9, -v2
	v_mul_f32_e32 v4, v1, v9
	v_mul_f32_e64 v13, v12, -v2
	v_mul_f32_e32 v14, v1, v12
	;; [unrolled: 2-line block ×3, first 2 shown]
	v_fmac_f32_e32 v3, v1, v6
	v_fmac_f32_e32 v4, v2, v6
	v_mul_f32_e64 v5, v7, -v2
	v_mul_f32_e32 v6, v1, v7
	v_fmac_f32_e32 v13, v1, v10
	v_fmac_f32_e32 v14, v2, v10
	;; [unrolled: 1-line block ×6, first 2 shown]
	global_store_dwordx4 v[17:18], v[13:16], off
	global_store_dwordx4 v[17:18], v[3:6], off offset:16
                                        ; implicit-def: $vgpr5
                                        ; implicit-def: $vgpr10
                                        ; implicit-def: $vgpr12
                                        ; implicit-def: $vgpr8
                                        ; implicit-def: $vgpr11
                                        ; implicit-def: $vgpr6
                                        ; implicit-def: $vgpr9
                                        ; implicit-def: $vgpr0
                                        ; implicit-def: $vgpr7
                                        ; implicit-def: $vgpr1_vgpr2
                                        ; implicit-def: $vgpr3_vgpr4
.LBB86_19:
	s_andn2_saveexec_b64 s[0:1], s[0:1]
	s_cbranch_execz .LBB86_21
; %bb.20:
	v_lshlrev_b32_e32 v13, 2, v5
	v_ashrrev_i32_e32 v14, 31, v13
	v_lshlrev_b64 v[13:14], 3, v[13:14]
	s_waitcnt lgkmcnt(0)
	v_mov_b32_e32 v5, s3
	v_add_co_u32_e32 v25, vcc, s2, v13
	v_addc_co_u32_e32 v26, vcc, v5, v14, vcc
	global_load_dwordx4 v[13:16], v[25:26], off
	global_load_dwordx4 v[17:20], v[25:26], off offset:16
	v_mul_f32_e64 v5, v12, -v2
	v_mul_f32_e32 v22, v1, v12
	v_mul_f32_e64 v12, v11, -v2
	v_mul_f32_e32 v24, v1, v11
	;; [unrolled: 2-line block ×4, first 2 shown]
	v_fmac_f32_e32 v5, v1, v10
	v_fmac_f32_e32 v22, v2, v10
	;; [unrolled: 1-line block ×8, first 2 shown]
	s_waitcnt vmcnt(1)
	v_fmac_f32_e32 v5, v3, v13
	v_fmac_f32_e32 v22, v4, v13
	;; [unrolled: 1-line block ×4, first 2 shown]
	s_waitcnt vmcnt(0)
	v_fmac_f32_e32 v27, v3, v17
	v_fmac_f32_e32 v9, v4, v17
	v_fmac_f32_e32 v28, v3, v19
	v_fmac_f32_e32 v11, v4, v19
	v_fma_f32 v21, -v4, v14, v5
	v_fmac_f32_e32 v22, v3, v14
	v_fma_f32 v23, -v4, v16, v12
	v_fmac_f32_e32 v24, v3, v16
	;; [unrolled: 2-line block ×4, first 2 shown]
	global_store_dwordx4 v[25:26], v[21:24], off
	global_store_dwordx4 v[25:26], v[8:11], off offset:16
.LBB86_21:
	s_endpgm
	.section	.rodata,"a",@progbits
	.p2align	6, 0x0
	.amdhsa_kernel _ZN9rocsparseL19gebsrmvn_4xn_kernelILj128ELj3ELj16E21rocsparse_complex_numIfEEEvi20rocsparse_direction_NS_24const_host_device_scalarIT2_EEPKiS8_PKS5_SA_S6_PS5_21rocsparse_index_base_b
		.amdhsa_group_segment_fixed_size 0
		.amdhsa_private_segment_fixed_size 0
		.amdhsa_kernarg_size 72
		.amdhsa_user_sgpr_count 6
		.amdhsa_user_sgpr_private_segment_buffer 1
		.amdhsa_user_sgpr_dispatch_ptr 0
		.amdhsa_user_sgpr_queue_ptr 0
		.amdhsa_user_sgpr_kernarg_segment_ptr 1
		.amdhsa_user_sgpr_dispatch_id 0
		.amdhsa_user_sgpr_flat_scratch_init 0
		.amdhsa_user_sgpr_private_segment_size 0
		.amdhsa_uses_dynamic_stack 0
		.amdhsa_system_sgpr_private_segment_wavefront_offset 0
		.amdhsa_system_sgpr_workgroup_id_x 1
		.amdhsa_system_sgpr_workgroup_id_y 0
		.amdhsa_system_sgpr_workgroup_id_z 0
		.amdhsa_system_sgpr_workgroup_info 0
		.amdhsa_system_vgpr_workitem_id 0
		.amdhsa_next_free_vgpr 57
		.amdhsa_next_free_sgpr 16
		.amdhsa_reserve_vcc 1
		.amdhsa_reserve_flat_scratch 0
		.amdhsa_float_round_mode_32 0
		.amdhsa_float_round_mode_16_64 0
		.amdhsa_float_denorm_mode_32 3
		.amdhsa_float_denorm_mode_16_64 3
		.amdhsa_dx10_clamp 1
		.amdhsa_ieee_mode 1
		.amdhsa_fp16_overflow 0
		.amdhsa_exception_fp_ieee_invalid_op 0
		.amdhsa_exception_fp_denorm_src 0
		.amdhsa_exception_fp_ieee_div_zero 0
		.amdhsa_exception_fp_ieee_overflow 0
		.amdhsa_exception_fp_ieee_underflow 0
		.amdhsa_exception_fp_ieee_inexact 0
		.amdhsa_exception_int_div_zero 0
	.end_amdhsa_kernel
	.section	.text._ZN9rocsparseL19gebsrmvn_4xn_kernelILj128ELj3ELj16E21rocsparse_complex_numIfEEEvi20rocsparse_direction_NS_24const_host_device_scalarIT2_EEPKiS8_PKS5_SA_S6_PS5_21rocsparse_index_base_b,"axG",@progbits,_ZN9rocsparseL19gebsrmvn_4xn_kernelILj128ELj3ELj16E21rocsparse_complex_numIfEEEvi20rocsparse_direction_NS_24const_host_device_scalarIT2_EEPKiS8_PKS5_SA_S6_PS5_21rocsparse_index_base_b,comdat
.Lfunc_end86:
	.size	_ZN9rocsparseL19gebsrmvn_4xn_kernelILj128ELj3ELj16E21rocsparse_complex_numIfEEEvi20rocsparse_direction_NS_24const_host_device_scalarIT2_EEPKiS8_PKS5_SA_S6_PS5_21rocsparse_index_base_b, .Lfunc_end86-_ZN9rocsparseL19gebsrmvn_4xn_kernelILj128ELj3ELj16E21rocsparse_complex_numIfEEEvi20rocsparse_direction_NS_24const_host_device_scalarIT2_EEPKiS8_PKS5_SA_S6_PS5_21rocsparse_index_base_b
                                        ; -- End function
	.set _ZN9rocsparseL19gebsrmvn_4xn_kernelILj128ELj3ELj16E21rocsparse_complex_numIfEEEvi20rocsparse_direction_NS_24const_host_device_scalarIT2_EEPKiS8_PKS5_SA_S6_PS5_21rocsparse_index_base_b.num_vgpr, 57
	.set _ZN9rocsparseL19gebsrmvn_4xn_kernelILj128ELj3ELj16E21rocsparse_complex_numIfEEEvi20rocsparse_direction_NS_24const_host_device_scalarIT2_EEPKiS8_PKS5_SA_S6_PS5_21rocsparse_index_base_b.num_agpr, 0
	.set _ZN9rocsparseL19gebsrmvn_4xn_kernelILj128ELj3ELj16E21rocsparse_complex_numIfEEEvi20rocsparse_direction_NS_24const_host_device_scalarIT2_EEPKiS8_PKS5_SA_S6_PS5_21rocsparse_index_base_b.numbered_sgpr, 16
	.set _ZN9rocsparseL19gebsrmvn_4xn_kernelILj128ELj3ELj16E21rocsparse_complex_numIfEEEvi20rocsparse_direction_NS_24const_host_device_scalarIT2_EEPKiS8_PKS5_SA_S6_PS5_21rocsparse_index_base_b.num_named_barrier, 0
	.set _ZN9rocsparseL19gebsrmvn_4xn_kernelILj128ELj3ELj16E21rocsparse_complex_numIfEEEvi20rocsparse_direction_NS_24const_host_device_scalarIT2_EEPKiS8_PKS5_SA_S6_PS5_21rocsparse_index_base_b.private_seg_size, 0
	.set _ZN9rocsparseL19gebsrmvn_4xn_kernelILj128ELj3ELj16E21rocsparse_complex_numIfEEEvi20rocsparse_direction_NS_24const_host_device_scalarIT2_EEPKiS8_PKS5_SA_S6_PS5_21rocsparse_index_base_b.uses_vcc, 1
	.set _ZN9rocsparseL19gebsrmvn_4xn_kernelILj128ELj3ELj16E21rocsparse_complex_numIfEEEvi20rocsparse_direction_NS_24const_host_device_scalarIT2_EEPKiS8_PKS5_SA_S6_PS5_21rocsparse_index_base_b.uses_flat_scratch, 0
	.set _ZN9rocsparseL19gebsrmvn_4xn_kernelILj128ELj3ELj16E21rocsparse_complex_numIfEEEvi20rocsparse_direction_NS_24const_host_device_scalarIT2_EEPKiS8_PKS5_SA_S6_PS5_21rocsparse_index_base_b.has_dyn_sized_stack, 0
	.set _ZN9rocsparseL19gebsrmvn_4xn_kernelILj128ELj3ELj16E21rocsparse_complex_numIfEEEvi20rocsparse_direction_NS_24const_host_device_scalarIT2_EEPKiS8_PKS5_SA_S6_PS5_21rocsparse_index_base_b.has_recursion, 0
	.set _ZN9rocsparseL19gebsrmvn_4xn_kernelILj128ELj3ELj16E21rocsparse_complex_numIfEEEvi20rocsparse_direction_NS_24const_host_device_scalarIT2_EEPKiS8_PKS5_SA_S6_PS5_21rocsparse_index_base_b.has_indirect_call, 0
	.section	.AMDGPU.csdata,"",@progbits
; Kernel info:
; codeLenInByte = 2556
; TotalNumSgprs: 20
; NumVgprs: 57
; ScratchSize: 0
; MemoryBound: 0
; FloatMode: 240
; IeeeMode: 1
; LDSByteSize: 0 bytes/workgroup (compile time only)
; SGPRBlocks: 2
; VGPRBlocks: 14
; NumSGPRsForWavesPerEU: 20
; NumVGPRsForWavesPerEU: 57
; Occupancy: 4
; WaveLimiterHint : 1
; COMPUTE_PGM_RSRC2:SCRATCH_EN: 0
; COMPUTE_PGM_RSRC2:USER_SGPR: 6
; COMPUTE_PGM_RSRC2:TRAP_HANDLER: 0
; COMPUTE_PGM_RSRC2:TGID_X_EN: 1
; COMPUTE_PGM_RSRC2:TGID_Y_EN: 0
; COMPUTE_PGM_RSRC2:TGID_Z_EN: 0
; COMPUTE_PGM_RSRC2:TIDIG_COMP_CNT: 0
	.section	.text._ZN9rocsparseL19gebsrmvn_4xn_kernelILj128ELj3ELj32E21rocsparse_complex_numIfEEEvi20rocsparse_direction_NS_24const_host_device_scalarIT2_EEPKiS8_PKS5_SA_S6_PS5_21rocsparse_index_base_b,"axG",@progbits,_ZN9rocsparseL19gebsrmvn_4xn_kernelILj128ELj3ELj32E21rocsparse_complex_numIfEEEvi20rocsparse_direction_NS_24const_host_device_scalarIT2_EEPKiS8_PKS5_SA_S6_PS5_21rocsparse_index_base_b,comdat
	.globl	_ZN9rocsparseL19gebsrmvn_4xn_kernelILj128ELj3ELj32E21rocsparse_complex_numIfEEEvi20rocsparse_direction_NS_24const_host_device_scalarIT2_EEPKiS8_PKS5_SA_S6_PS5_21rocsparse_index_base_b ; -- Begin function _ZN9rocsparseL19gebsrmvn_4xn_kernelILj128ELj3ELj32E21rocsparse_complex_numIfEEEvi20rocsparse_direction_NS_24const_host_device_scalarIT2_EEPKiS8_PKS5_SA_S6_PS5_21rocsparse_index_base_b
	.p2align	8
	.type	_ZN9rocsparseL19gebsrmvn_4xn_kernelILj128ELj3ELj32E21rocsparse_complex_numIfEEEvi20rocsparse_direction_NS_24const_host_device_scalarIT2_EEPKiS8_PKS5_SA_S6_PS5_21rocsparse_index_base_b,@function
_ZN9rocsparseL19gebsrmvn_4xn_kernelILj128ELj3ELj32E21rocsparse_complex_numIfEEEvi20rocsparse_direction_NS_24const_host_device_scalarIT2_EEPKiS8_PKS5_SA_S6_PS5_21rocsparse_index_base_b: ; @_ZN9rocsparseL19gebsrmvn_4xn_kernelILj128ELj3ELj32E21rocsparse_complex_numIfEEEvi20rocsparse_direction_NS_24const_host_device_scalarIT2_EEPKiS8_PKS5_SA_S6_PS5_21rocsparse_index_base_b
; %bb.0:
	s_load_dwordx2 s[0:1], s[4:5], 0x8
	s_load_dwordx2 s[8:9], s[4:5], 0x30
	s_load_dwordx2 s[2:3], s[4:5], 0x40
	s_add_u32 s7, s4, 8
	s_addc_u32 s10, s5, 0
	s_add_u32 s11, s4, 48
	s_addc_u32 s12, s5, 0
	s_waitcnt lgkmcnt(0)
	s_bitcmp1_b32 s3, 0
	s_cselect_b32 s1, s10, s1
	s_cselect_b32 s0, s7, s0
	v_mov_b32_e32 v1, s0
	v_mov_b32_e32 v2, s1
	flat_load_dwordx2 v[1:2], v[1:2]
	s_cselect_b32 s0, s12, s9
	s_cselect_b32 s1, s11, s8
	v_mov_b32_e32 v3, s1
	v_mov_b32_e32 v4, s0
	flat_load_dwordx2 v[3:4], v[3:4]
	s_waitcnt vmcnt(0) lgkmcnt(0)
	v_cmp_eq_f32_e32 vcc, 0, v1
	v_cmp_eq_f32_e64 s[0:1], 0, v2
	s_and_b64 s[10:11], vcc, s[0:1]
	s_mov_b64 s[0:1], -1
	s_and_saveexec_b64 s[8:9], s[10:11]
; %bb.1:
	v_cmp_neq_f32_e32 vcc, 1.0, v3
	v_cmp_neq_f32_e64 s[0:1], 0, v4
	s_or_b64 s[0:1], vcc, s[0:1]
	s_orn2_b64 s[0:1], s[0:1], exec
; %bb.2:
	s_or_b64 exec, exec, s[8:9]
	s_and_saveexec_b64 s[8:9], s[0:1]
	s_cbranch_execz .LBB87_21
; %bb.3:
	s_load_dwordx2 s[0:1], s[4:5], 0x0
	v_lshrrev_b32_e32 v5, 5, v0
	v_lshl_or_b32 v5, s6, 2, v5
	s_waitcnt lgkmcnt(0)
	v_cmp_gt_i32_e32 vcc, s0, v5
	s_and_b64 exec, exec, vcc
	s_cbranch_execz .LBB87_21
; %bb.4:
	s_load_dwordx8 s[8:15], s[4:5], 0x10
	v_ashrrev_i32_e32 v6, 31, v5
	v_lshlrev_b64 v[6:7], 2, v[5:6]
	v_and_b32_e32 v0, 31, v0
	s_cmp_lg_u32 s1, 0
	s_waitcnt lgkmcnt(0)
	v_mov_b32_e32 v8, s9
	v_add_co_u32_e32 v6, vcc, s8, v6
	v_addc_co_u32_e32 v7, vcc, v8, v7, vcc
	global_load_dwordx2 v[6:7], v[6:7], off
	s_waitcnt vmcnt(0)
	v_subrev_u32_e32 v6, s2, v6
	v_subrev_u32_e32 v15, s2, v7
	v_add_u32_e32 v6, v6, v0
	v_cmp_lt_i32_e64 s[0:1], v6, v15
	s_cbranch_scc0 .LBB87_10
; %bb.5:
	v_mov_b32_e32 v14, 0
	v_mov_b32_e32 v20, 0
	;; [unrolled: 1-line block ×8, first 2 shown]
	s_and_saveexec_b64 s[6:7], s[0:1]
	s_cbranch_execz .LBB87_9
; %bb.6:
	v_mul_lo_u32 v7, v6, 12
	v_mov_b32_e32 v8, 0
	s_mov_b64 s[8:9], 0
	v_mov_b32_e32 v11, s11
	v_mov_b32_e32 v21, s13
	;; [unrolled: 1-line block ×12, first 2 shown]
.LBB87_7:                               ; =>This Inner Loop Header: Depth=1
	v_ashrrev_i32_e32 v10, 31, v9
	v_lshlrev_b64 v[23:24], 2, v[9:10]
	v_add_u32_e32 v25, 4, v7
	v_add_co_u32_e32 v23, vcc, s10, v23
	v_addc_co_u32_e32 v24, vcc, v11, v24, vcc
	global_load_dword v10, v[23:24], off
	v_lshlrev_b64 v[23:24], 3, v[7:8]
	v_mov_b32_e32 v26, v8
	v_lshlrev_b64 v[31:32], 3, v[25:26]
	v_add_co_u32_e32 v35, vcc, s12, v23
	v_add_u32_e32 v27, 8, v7
	v_mov_b32_e32 v28, v8
	v_addc_co_u32_e32 v36, vcc, v21, v24, vcc
	v_lshlrev_b64 v[33:34], 3, v[27:28]
	v_add_co_u32_e32 v52, vcc, s12, v31
	v_addc_co_u32_e32 v53, vcc, v21, v32, vcc
	v_mov_b32_e32 v48, v8
	v_add_co_u32_e32 v54, vcc, s12, v33
	global_load_dwordx4 v[23:26], v[35:36], off
	global_load_dwordx4 v[27:30], v[35:36], off offset:16
	v_addc_co_u32_e32 v55, vcc, v21, v34, vcc
	global_load_dwordx4 v[31:34], v[52:53], off
	global_load_dwordx4 v[35:38], v[52:53], off offset:16
	global_load_dwordx4 v[39:42], v[54:55], off offset:16
	global_load_dwordx4 v[43:46], v[54:55], off
	v_mov_b32_e32 v49, v8
	v_mov_b32_e32 v51, v8
	v_add_u32_e32 v9, 32, v9
	v_add_u32_e32 v7, 0x180, v7
	s_waitcnt vmcnt(6)
	v_subrev_u32_e32 v10, s2, v10
	v_lshl_add_u32 v47, v10, 1, v10
	v_lshlrev_b64 v[52:53], 3, v[47:48]
	v_add_u32_e32 v48, 1, v47
	v_add_u32_e32 v50, 2, v47
	v_lshlrev_b64 v[47:48], 3, v[48:49]
	v_lshlrev_b64 v[49:50], 3, v[50:51]
	v_add_co_u32_e32 v51, vcc, s14, v52
	v_addc_co_u32_e32 v52, vcc, v22, v53, vcc
	global_load_dwordx2 v[51:52], v[51:52], off
	v_add_co_u32_e32 v47, vcc, s14, v47
	v_addc_co_u32_e32 v48, vcc, v22, v48, vcc
	v_add_co_u32_e32 v49, vcc, s14, v49
	v_addc_co_u32_e32 v50, vcc, v22, v50, vcc
	global_load_dwordx2 v[53:54], v[47:48], off
	global_load_dwordx2 v[55:56], v[49:50], off
	v_cmp_ge_i32_e32 vcc, v9, v15
	s_or_b64 s[8:9], vcc, s[8:9]
	s_waitcnt vmcnt(2)
	v_fmac_f32_e32 v20, v23, v51
	v_fmac_f32_e32 v14, v24, v51
	v_fmac_f32_e32 v19, v25, v51
	v_fmac_f32_e32 v16, v26, v51
	v_fmac_f32_e32 v18, v27, v51
	v_fmac_f32_e32 v13, v28, v51
	v_fmac_f32_e32 v17, v29, v51
	v_fmac_f32_e32 v12, v30, v51
	v_fma_f32 v10, -v24, v52, v20
	v_fmac_f32_e32 v14, v23, v52
	v_fma_f32 v19, -v26, v52, v19
	v_fmac_f32_e32 v16, v25, v52
	v_fma_f32 v18, -v28, v52, v18
	v_fmac_f32_e32 v13, v27, v52
	v_fma_f32 v17, -v30, v52, v17
	v_fmac_f32_e32 v12, v29, v52
	s_waitcnt vmcnt(1)
	v_fmac_f32_e32 v10, v31, v53
	v_fmac_f32_e32 v14, v32, v53
	v_fmac_f32_e32 v19, v33, v53
	v_fmac_f32_e32 v16, v34, v53
	v_fmac_f32_e32 v18, v35, v53
	v_fmac_f32_e32 v13, v36, v53
	v_fmac_f32_e32 v17, v37, v53
	v_fmac_f32_e32 v12, v38, v53
	v_fma_f32 v10, -v32, v54, v10
	v_fmac_f32_e32 v14, v31, v54
	v_fma_f32 v19, -v34, v54, v19
	v_fmac_f32_e32 v16, v33, v54
	v_fma_f32 v18, -v36, v54, v18
	v_fmac_f32_e32 v13, v35, v54
	v_fma_f32 v17, -v38, v54, v17
	v_fmac_f32_e32 v12, v37, v54
	;; [unrolled: 17-line block ×3, first 2 shown]
	s_andn2_b64 exec, exec, s[8:9]
	s_cbranch_execnz .LBB87_7
; %bb.8:
	s_or_b64 exec, exec, s[8:9]
.LBB87_9:
	s_or_b64 exec, exec, s[6:7]
	s_cbranch_execz .LBB87_11
	s_branch .LBB87_16
.LBB87_10:
                                        ; implicit-def: $vgpr14
                                        ; implicit-def: $vgpr20
                                        ; implicit-def: $vgpr17
                                        ; implicit-def: $vgpr12
                                        ; implicit-def: $vgpr18
                                        ; implicit-def: $vgpr13
                                        ; implicit-def: $vgpr19
                                        ; implicit-def: $vgpr16
.LBB87_11:
	v_mov_b32_e32 v14, 0
	v_mov_b32_e32 v20, 0
	v_mov_b32_e32 v17, 0
	v_mov_b32_e32 v12, 0
	v_mov_b32_e32 v18, 0
	v_mov_b32_e32 v13, 0
	v_mov_b32_e32 v19, 0
	v_mov_b32_e32 v16, 0
	s_and_saveexec_b64 s[6:7], s[0:1]
	s_cbranch_execz .LBB87_15
; %bb.12:
	v_mad_u64_u32 v[8:9], s[0:1], v6, 12, 11
	v_mov_b32_e32 v11, 0
	s_mov_b64 s[0:1], 0
	v_mov_b32_e32 v21, s11
	v_mov_b32_e32 v22, s13
	;; [unrolled: 1-line block ×11, first 2 shown]
.LBB87_13:                              ; =>This Inner Loop Header: Depth=1
	v_ashrrev_i32_e32 v7, 31, v6
	v_lshlrev_b64 v[28:29], 2, v[6:7]
	v_add_u32_e32 v10, -11, v8
	v_lshlrev_b64 v[30:31], 3, v[10:11]
	v_add_co_u32_e32 v28, vcc, s10, v28
	v_addc_co_u32_e32 v29, vcc, v21, v29, vcc
	v_add_u32_e32 v24, -5, v8
	v_mov_b32_e32 v25, v11
	v_add_u32_e32 v26, -2, v8
	v_mov_b32_e32 v27, v11
	v_add_co_u32_e32 v38, vcc, s12, v30
	v_lshlrev_b64 v[34:35], 3, v[24:25]
	v_lshlrev_b64 v[36:37], 3, v[26:27]
	v_addc_co_u32_e32 v39, vcc, v22, v31, vcc
	global_load_dword v7, v[28:29], off
	global_load_dwordx4 v[24:27], v[38:39], off
	v_mov_b32_e32 v33, v11
	v_mov_b32_e32 v9, v11
	v_add_u32_e32 v6, 32, v6
	s_waitcnt vmcnt(1)
	v_subrev_u32_e32 v7, s2, v7
	v_lshl_add_u32 v32, v7, 1, v7
	v_lshlrev_b64 v[28:29], 3, v[32:33]
	v_add_u32_e32 v10, 1, v32
	v_lshlrev_b64 v[30:31], 3, v[10:11]
	v_add_co_u32_e32 v40, vcc, s14, v28
	v_addc_co_u32_e32 v41, vcc, v23, v29, vcc
	v_add_co_u32_e32 v42, vcc, s14, v30
	v_addc_co_u32_e32 v43, vcc, v23, v31, vcc
	global_load_dwordx4 v[28:31], v[38:39], off offset:16
	global_load_dwordx2 v[44:45], v[40:41], off
	global_load_dwordx2 v[46:47], v[42:43], off
	v_lshlrev_b64 v[9:10], 3, v[8:9]
	s_waitcnt vmcnt(1)
	v_fmac_f32_e32 v14, v25, v44
	v_fmac_f32_e32 v20, v24, v44
	;; [unrolled: 1-line block ×3, first 2 shown]
	v_add_co_u32_e32 v24, vcc, s12, v34
	v_fma_f32 v7, -v25, v45, v20
	s_waitcnt vmcnt(0)
	v_fmac_f32_e32 v14, v27, v46
	v_addc_co_u32_e32 v25, vcc, v22, v35, vcc
	v_fmac_f32_e32 v7, v26, v46
	v_fmac_f32_e32 v14, v26, v47
	v_add_co_u32_e32 v26, vcc, s12, v36
	v_fma_f32 v7, -v27, v47, v7
	v_addc_co_u32_e32 v27, vcc, v22, v37, vcc
	global_load_dwordx2 v[50:51], v[24:25], off
	global_load_dwordx2 v[52:53], v[26:27], off
	v_add_co_u32_e32 v33, vcc, s12, v9
	v_addc_co_u32_e32 v34, vcc, v22, v10, vcc
	v_add_u32_e32 v10, -7, v8
	v_lshlrev_b64 v[9:10], 3, v[10:11]
	v_fmac_f32_e32 v19, v30, v44
	v_add_co_u32_e32 v35, vcc, s12, v9
	v_addc_co_u32_e32 v36, vcc, v22, v10, vcc
	v_add_u32_e32 v10, -4, v8
	v_lshlrev_b64 v[37:38], 3, v[10:11]
	v_add_u32_e32 v10, -1, v8
	v_lshlrev_b64 v[39:40], 3, v[10:11]
	v_add_co_u32_e32 v37, vcc, s12, v37
	v_addc_co_u32_e32 v38, vcc, v22, v38, vcc
	v_add_co_u32_e32 v39, vcc, s12, v39
	v_add_u32_e32 v10, 2, v32
	v_addc_co_u32_e32 v40, vcc, v22, v40, vcc
	v_fma_f32 v26, -v31, v45, v19
	v_lshlrev_b64 v[9:10], 3, v[10:11]
	v_fmac_f32_e32 v16, v31, v44
	v_add_co_u32_e32 v41, vcc, s14, v9
	v_addc_co_u32_e32 v42, vcc, v23, v10, vcc
	v_add_u32_e32 v10, -6, v8
	v_lshlrev_b64 v[9:10], 3, v[10:11]
	v_fmac_f32_e32 v16, v30, v45
	v_add_co_u32_e32 v48, vcc, s12, v9
	v_addc_co_u32_e32 v49, vcc, v22, v10, vcc
	v_add_u32_e32 v10, -3, v8
	v_lshlrev_b64 v[9:10], 3, v[10:11]
	v_add_u32_e32 v8, 0x180, v8
	v_add_co_u32_e32 v9, vcc, s12, v9
	v_addc_co_u32_e32 v10, vcc, v22, v10, vcc
	v_cmp_ge_i32_e32 vcc, v6, v15
	s_or_b64 s[0:1], vcc, s[0:1]
	s_waitcnt vmcnt(1)
	v_fmac_f32_e32 v18, v50, v44
	s_waitcnt vmcnt(0)
	v_fmac_f32_e32 v17, v52, v44
	v_fma_f32 v32, -v51, v45, v18
	v_fma_f32 v43, -v53, v45, v17
	global_load_dwordx2 v[17:18], v[35:36], off
	global_load_dwordx2 v[19:20], v[37:38], off
	;; [unrolled: 1-line block ×3, first 2 shown]
	v_fmac_f32_e32 v13, v51, v44
	v_fmac_f32_e32 v12, v53, v44
	;; [unrolled: 1-line block ×4, first 2 shown]
	s_waitcnt vmcnt(2)
	v_fmac_f32_e32 v26, v17, v46
	v_fmac_f32_e32 v16, v18, v46
	v_fma_f32 v37, -v18, v47, v26
	v_fmac_f32_e32 v16, v17, v47
	global_load_dwordx2 v[26:27], v[41:42], off
	global_load_dwordx2 v[17:18], v[48:49], off
	;; [unrolled: 1-line block ×4, first 2 shown]
	s_waitcnt vmcnt(5)
	v_fmac_f32_e32 v32, v19, v46
	v_fmac_f32_e32 v13, v20, v46
	s_waitcnt vmcnt(4)
	v_fmac_f32_e32 v43, v24, v46
	v_fmac_f32_e32 v12, v25, v46
	v_fma_f32 v9, -v20, v47, v32
	v_fmac_f32_e32 v13, v19, v47
	v_fma_f32 v10, -v25, v47, v43
	v_fmac_f32_e32 v12, v24, v47
	s_waitcnt vmcnt(3)
	v_fmac_f32_e32 v7, v28, v26
	v_fmac_f32_e32 v14, v29, v26
	s_waitcnt vmcnt(2)
	v_fmac_f32_e32 v37, v17, v26
	;; [unrolled: 3-line block ×4, first 2 shown]
	v_fmac_f32_e32 v12, v36, v26
	v_fma_f32 v20, -v29, v27, v7
	v_fmac_f32_e32 v14, v28, v27
	v_fma_f32 v19, -v18, v27, v37
	;; [unrolled: 2-line block ×4, first 2 shown]
	v_fmac_f32_e32 v12, v35, v27
	s_andn2_b64 exec, exec, s[0:1]
	s_cbranch_execnz .LBB87_13
; %bb.14:
	s_or_b64 exec, exec, s[0:1]
.LBB87_15:
	s_or_b64 exec, exec, s[6:7]
.LBB87_16:
	v_mov_b32_dpp v10, v19 row_shr:1 row_mask:0xf bank_mask:0xf
	v_add_f32_e32 v10, v19, v10
	v_mov_b32_dpp v6, v20 row_shr:1 row_mask:0xf bank_mask:0xf
	v_mov_b32_dpp v8, v14 row_shr:1 row_mask:0xf bank_mask:0xf
	v_mov_b32_dpp v11, v10 row_shr:2 row_mask:0xf bank_mask:0xf
	v_add_f32_e32 v10, v10, v11
	v_add_f32_e32 v6, v20, v6
	;; [unrolled: 1-line block ×3, first 2 shown]
	v_mov_b32_dpp v11, v10 row_shr:4 row_mask:0xf bank_mask:0xe
	v_add_f32_e32 v10, v10, v11
	v_mov_b32_dpp v7, v6 row_shr:2 row_mask:0xf bank_mask:0xf
	v_mov_b32_dpp v9, v8 row_shr:2 row_mask:0xf bank_mask:0xf
	;; [unrolled: 1-line block ×3, first 2 shown]
	v_add_f32_e32 v11, v10, v11
	v_mov_b32_dpp v10, v16 row_shr:1 row_mask:0xf bank_mask:0xf
	v_add_f32_e32 v10, v16, v10
	v_add_f32_e32 v6, v6, v7
	;; [unrolled: 1-line block ×3, first 2 shown]
	v_mov_b32_dpp v15, v10 row_shr:2 row_mask:0xf bank_mask:0xf
	v_add_f32_e32 v10, v10, v15
	v_mov_b32_dpp v7, v6 row_shr:4 row_mask:0xf bank_mask:0xe
	v_mov_b32_dpp v9, v8 row_shr:4 row_mask:0xf bank_mask:0xe
	;; [unrolled: 1-line block ×3, first 2 shown]
	v_add_f32_e32 v10, v10, v15
	v_add_f32_e32 v6, v6, v7
	;; [unrolled: 1-line block ×3, first 2 shown]
	v_mov_b32_dpp v15, v10 row_shr:8 row_mask:0xf bank_mask:0xc
	v_add_f32_e32 v15, v10, v15
	v_mov_b32_dpp v10, v18 row_shr:1 row_mask:0xf bank_mask:0xf
	v_add_f32_e32 v10, v18, v10
	v_mov_b32_dpp v7, v6 row_shr:8 row_mask:0xf bank_mask:0xc
	v_mov_b32_dpp v9, v8 row_shr:8 row_mask:0xf bank_mask:0xc
	;; [unrolled: 1-line block ×3, first 2 shown]
	v_add_f32_e32 v10, v10, v18
	v_add_f32_e32 v6, v6, v7
	;; [unrolled: 1-line block ×3, first 2 shown]
	v_mov_b32_dpp v18, v10 row_shr:4 row_mask:0xf bank_mask:0xe
	v_add_f32_e32 v10, v10, v18
	v_mov_b32_dpp v7, v6 row_bcast:15 row_mask:0xa bank_mask:0xf
	v_mov_b32_dpp v9, v8 row_bcast:15 row_mask:0xa bank_mask:0xf
	v_mov_b32_dpp v18, v10 row_shr:8 row_mask:0xf bank_mask:0xc
	v_add_f32_e32 v18, v10, v18
	v_mov_b32_dpp v10, v13 row_shr:1 row_mask:0xf bank_mask:0xf
	v_add_f32_e32 v10, v13, v10
	v_mov_b32_dpp v14, v11 row_bcast:15 row_mask:0xa bank_mask:0xf
	v_mov_b32_dpp v16, v15 row_bcast:15 row_mask:0xa bank_mask:0xf
	v_mov_b32_dpp v13, v10 row_shr:2 row_mask:0xf bank_mask:0xf
	v_add_f32_e32 v10, v10, v13
	v_mov_b32_dpp v19, v18 row_bcast:15 row_mask:0xa bank_mask:0xf
	v_cmp_eq_u32_e32 vcc, 31, v0
	v_mov_b32_dpp v13, v10 row_shr:4 row_mask:0xf bank_mask:0xe
	v_add_f32_e32 v10, v10, v13
	s_nop 1
	v_mov_b32_dpp v13, v10 row_shr:8 row_mask:0xf bank_mask:0xc
	v_add_f32_e32 v13, v10, v13
	v_mov_b32_dpp v10, v17 row_shr:1 row_mask:0xf bank_mask:0xf
	v_add_f32_e32 v10, v17, v10
	v_mov_b32_dpp v20, v13 row_bcast:15 row_mask:0xa bank_mask:0xf
	s_nop 0
	v_mov_b32_dpp v17, v10 row_shr:2 row_mask:0xf bank_mask:0xf
	v_add_f32_e32 v10, v10, v17
	s_nop 1
	v_mov_b32_dpp v17, v10 row_shr:4 row_mask:0xf bank_mask:0xe
	v_add_f32_e32 v10, v10, v17
	;; [unrolled: 3-line block ×3, first 2 shown]
	v_mov_b32_dpp v10, v12 row_shr:1 row_mask:0xf bank_mask:0xf
	v_add_f32_e32 v10, v12, v10
	v_mov_b32_dpp v21, v17 row_bcast:15 row_mask:0xa bank_mask:0xf
	s_nop 0
	v_mov_b32_dpp v12, v10 row_shr:2 row_mask:0xf bank_mask:0xf
	v_add_f32_e32 v10, v10, v12
	s_nop 1
	v_mov_b32_dpp v12, v10 row_shr:4 row_mask:0xf bank_mask:0xe
	v_add_f32_e32 v10, v10, v12
	s_nop 1
	v_mov_b32_dpp v12, v10 row_shr:8 row_mask:0xf bank_mask:0xc
	v_add_f32_e32 v22, v10, v12
	s_nop 1
	v_mov_b32_dpp v23, v22 row_bcast:15 row_mask:0xa bank_mask:0xf
	s_and_b64 exec, exec, vcc
	s_cbranch_execz .LBB87_21
; %bb.17:
	s_load_dwordx2 s[2:3], s[4:5], 0x38
	v_cmp_eq_f32_e32 vcc, 0, v3
	v_cmp_eq_f32_e64 s[0:1], 0, v4
	v_add_f32_e32 v10, v6, v7
	v_add_f32_e32 v12, v8, v9
	;; [unrolled: 1-line block ×8, first 2 shown]
	s_and_b64 s[0:1], vcc, s[0:1]
	s_and_saveexec_b64 s[4:5], s[0:1]
	s_xor_b64 s[0:1], exec, s[4:5]
	s_cbranch_execz .LBB87_19
; %bb.18:
	v_lshlrev_b32_e32 v3, 2, v5
	v_ashrrev_i32_e32 v4, 31, v3
	v_lshlrev_b64 v[3:4], 3, v[3:4]
	s_waitcnt lgkmcnt(0)
	v_mov_b32_e32 v5, s3
	v_add_co_u32_e32 v17, vcc, s2, v3
	v_addc_co_u32_e32 v18, vcc, v5, v4, vcc
	v_mul_f32_e64 v3, v9, -v2
	v_mul_f32_e32 v4, v1, v9
	v_mul_f32_e64 v13, v12, -v2
	v_mul_f32_e32 v14, v1, v12
	;; [unrolled: 2-line block ×3, first 2 shown]
	v_fmac_f32_e32 v3, v1, v6
	v_fmac_f32_e32 v4, v2, v6
	v_mul_f32_e64 v5, v7, -v2
	v_mul_f32_e32 v6, v1, v7
	v_fmac_f32_e32 v13, v1, v10
	v_fmac_f32_e32 v14, v2, v10
	;; [unrolled: 1-line block ×6, first 2 shown]
	global_store_dwordx4 v[17:18], v[13:16], off
	global_store_dwordx4 v[17:18], v[3:6], off offset:16
                                        ; implicit-def: $vgpr5
                                        ; implicit-def: $vgpr10
                                        ; implicit-def: $vgpr12
                                        ; implicit-def: $vgpr8
                                        ; implicit-def: $vgpr11
                                        ; implicit-def: $vgpr6
                                        ; implicit-def: $vgpr9
                                        ; implicit-def: $vgpr0
                                        ; implicit-def: $vgpr7
                                        ; implicit-def: $vgpr1_vgpr2
                                        ; implicit-def: $vgpr3_vgpr4
.LBB87_19:
	s_andn2_saveexec_b64 s[0:1], s[0:1]
	s_cbranch_execz .LBB87_21
; %bb.20:
	v_lshlrev_b32_e32 v13, 2, v5
	v_ashrrev_i32_e32 v14, 31, v13
	v_lshlrev_b64 v[13:14], 3, v[13:14]
	s_waitcnt lgkmcnt(0)
	v_mov_b32_e32 v5, s3
	v_add_co_u32_e32 v25, vcc, s2, v13
	v_addc_co_u32_e32 v26, vcc, v5, v14, vcc
	global_load_dwordx4 v[13:16], v[25:26], off
	global_load_dwordx4 v[17:20], v[25:26], off offset:16
	v_mul_f32_e64 v5, v12, -v2
	v_mul_f32_e32 v22, v1, v12
	v_mul_f32_e64 v12, v11, -v2
	v_mul_f32_e32 v24, v1, v11
	;; [unrolled: 2-line block ×4, first 2 shown]
	v_fmac_f32_e32 v5, v1, v10
	v_fmac_f32_e32 v22, v2, v10
	;; [unrolled: 1-line block ×8, first 2 shown]
	s_waitcnt vmcnt(1)
	v_fmac_f32_e32 v5, v3, v13
	v_fmac_f32_e32 v22, v4, v13
	;; [unrolled: 1-line block ×4, first 2 shown]
	s_waitcnt vmcnt(0)
	v_fmac_f32_e32 v27, v3, v17
	v_fmac_f32_e32 v9, v4, v17
	;; [unrolled: 1-line block ×4, first 2 shown]
	v_fma_f32 v21, -v4, v14, v5
	v_fmac_f32_e32 v22, v3, v14
	v_fma_f32 v23, -v4, v16, v12
	v_fmac_f32_e32 v24, v3, v16
	;; [unrolled: 2-line block ×4, first 2 shown]
	global_store_dwordx4 v[25:26], v[21:24], off
	global_store_dwordx4 v[25:26], v[8:11], off offset:16
.LBB87_21:
	s_endpgm
	.section	.rodata,"a",@progbits
	.p2align	6, 0x0
	.amdhsa_kernel _ZN9rocsparseL19gebsrmvn_4xn_kernelILj128ELj3ELj32E21rocsparse_complex_numIfEEEvi20rocsparse_direction_NS_24const_host_device_scalarIT2_EEPKiS8_PKS5_SA_S6_PS5_21rocsparse_index_base_b
		.amdhsa_group_segment_fixed_size 0
		.amdhsa_private_segment_fixed_size 0
		.amdhsa_kernarg_size 72
		.amdhsa_user_sgpr_count 6
		.amdhsa_user_sgpr_private_segment_buffer 1
		.amdhsa_user_sgpr_dispatch_ptr 0
		.amdhsa_user_sgpr_queue_ptr 0
		.amdhsa_user_sgpr_kernarg_segment_ptr 1
		.amdhsa_user_sgpr_dispatch_id 0
		.amdhsa_user_sgpr_flat_scratch_init 0
		.amdhsa_user_sgpr_private_segment_size 0
		.amdhsa_uses_dynamic_stack 0
		.amdhsa_system_sgpr_private_segment_wavefront_offset 0
		.amdhsa_system_sgpr_workgroup_id_x 1
		.amdhsa_system_sgpr_workgroup_id_y 0
		.amdhsa_system_sgpr_workgroup_id_z 0
		.amdhsa_system_sgpr_workgroup_info 0
		.amdhsa_system_vgpr_workitem_id 0
		.amdhsa_next_free_vgpr 57
		.amdhsa_next_free_sgpr 16
		.amdhsa_reserve_vcc 1
		.amdhsa_reserve_flat_scratch 0
		.amdhsa_float_round_mode_32 0
		.amdhsa_float_round_mode_16_64 0
		.amdhsa_float_denorm_mode_32 3
		.amdhsa_float_denorm_mode_16_64 3
		.amdhsa_dx10_clamp 1
		.amdhsa_ieee_mode 1
		.amdhsa_fp16_overflow 0
		.amdhsa_exception_fp_ieee_invalid_op 0
		.amdhsa_exception_fp_denorm_src 0
		.amdhsa_exception_fp_ieee_div_zero 0
		.amdhsa_exception_fp_ieee_overflow 0
		.amdhsa_exception_fp_ieee_underflow 0
		.amdhsa_exception_fp_ieee_inexact 0
		.amdhsa_exception_int_div_zero 0
	.end_amdhsa_kernel
	.section	.text._ZN9rocsparseL19gebsrmvn_4xn_kernelILj128ELj3ELj32E21rocsparse_complex_numIfEEEvi20rocsparse_direction_NS_24const_host_device_scalarIT2_EEPKiS8_PKS5_SA_S6_PS5_21rocsparse_index_base_b,"axG",@progbits,_ZN9rocsparseL19gebsrmvn_4xn_kernelILj128ELj3ELj32E21rocsparse_complex_numIfEEEvi20rocsparse_direction_NS_24const_host_device_scalarIT2_EEPKiS8_PKS5_SA_S6_PS5_21rocsparse_index_base_b,comdat
.Lfunc_end87:
	.size	_ZN9rocsparseL19gebsrmvn_4xn_kernelILj128ELj3ELj32E21rocsparse_complex_numIfEEEvi20rocsparse_direction_NS_24const_host_device_scalarIT2_EEPKiS8_PKS5_SA_S6_PS5_21rocsparse_index_base_b, .Lfunc_end87-_ZN9rocsparseL19gebsrmvn_4xn_kernelILj128ELj3ELj32E21rocsparse_complex_numIfEEEvi20rocsparse_direction_NS_24const_host_device_scalarIT2_EEPKiS8_PKS5_SA_S6_PS5_21rocsparse_index_base_b
                                        ; -- End function
	.set _ZN9rocsparseL19gebsrmvn_4xn_kernelILj128ELj3ELj32E21rocsparse_complex_numIfEEEvi20rocsparse_direction_NS_24const_host_device_scalarIT2_EEPKiS8_PKS5_SA_S6_PS5_21rocsparse_index_base_b.num_vgpr, 57
	.set _ZN9rocsparseL19gebsrmvn_4xn_kernelILj128ELj3ELj32E21rocsparse_complex_numIfEEEvi20rocsparse_direction_NS_24const_host_device_scalarIT2_EEPKiS8_PKS5_SA_S6_PS5_21rocsparse_index_base_b.num_agpr, 0
	.set _ZN9rocsparseL19gebsrmvn_4xn_kernelILj128ELj3ELj32E21rocsparse_complex_numIfEEEvi20rocsparse_direction_NS_24const_host_device_scalarIT2_EEPKiS8_PKS5_SA_S6_PS5_21rocsparse_index_base_b.numbered_sgpr, 16
	.set _ZN9rocsparseL19gebsrmvn_4xn_kernelILj128ELj3ELj32E21rocsparse_complex_numIfEEEvi20rocsparse_direction_NS_24const_host_device_scalarIT2_EEPKiS8_PKS5_SA_S6_PS5_21rocsparse_index_base_b.num_named_barrier, 0
	.set _ZN9rocsparseL19gebsrmvn_4xn_kernelILj128ELj3ELj32E21rocsparse_complex_numIfEEEvi20rocsparse_direction_NS_24const_host_device_scalarIT2_EEPKiS8_PKS5_SA_S6_PS5_21rocsparse_index_base_b.private_seg_size, 0
	.set _ZN9rocsparseL19gebsrmvn_4xn_kernelILj128ELj3ELj32E21rocsparse_complex_numIfEEEvi20rocsparse_direction_NS_24const_host_device_scalarIT2_EEPKiS8_PKS5_SA_S6_PS5_21rocsparse_index_base_b.uses_vcc, 1
	.set _ZN9rocsparseL19gebsrmvn_4xn_kernelILj128ELj3ELj32E21rocsparse_complex_numIfEEEvi20rocsparse_direction_NS_24const_host_device_scalarIT2_EEPKiS8_PKS5_SA_S6_PS5_21rocsparse_index_base_b.uses_flat_scratch, 0
	.set _ZN9rocsparseL19gebsrmvn_4xn_kernelILj128ELj3ELj32E21rocsparse_complex_numIfEEEvi20rocsparse_direction_NS_24const_host_device_scalarIT2_EEPKiS8_PKS5_SA_S6_PS5_21rocsparse_index_base_b.has_dyn_sized_stack, 0
	.set _ZN9rocsparseL19gebsrmvn_4xn_kernelILj128ELj3ELj32E21rocsparse_complex_numIfEEEvi20rocsparse_direction_NS_24const_host_device_scalarIT2_EEPKiS8_PKS5_SA_S6_PS5_21rocsparse_index_base_b.has_recursion, 0
	.set _ZN9rocsparseL19gebsrmvn_4xn_kernelILj128ELj3ELj32E21rocsparse_complex_numIfEEEvi20rocsparse_direction_NS_24const_host_device_scalarIT2_EEPKiS8_PKS5_SA_S6_PS5_21rocsparse_index_base_b.has_indirect_call, 0
	.section	.AMDGPU.csdata,"",@progbits
; Kernel info:
; codeLenInByte = 2668
; TotalNumSgprs: 20
; NumVgprs: 57
; ScratchSize: 0
; MemoryBound: 0
; FloatMode: 240
; IeeeMode: 1
; LDSByteSize: 0 bytes/workgroup (compile time only)
; SGPRBlocks: 2
; VGPRBlocks: 14
; NumSGPRsForWavesPerEU: 20
; NumVGPRsForWavesPerEU: 57
; Occupancy: 4
; WaveLimiterHint : 1
; COMPUTE_PGM_RSRC2:SCRATCH_EN: 0
; COMPUTE_PGM_RSRC2:USER_SGPR: 6
; COMPUTE_PGM_RSRC2:TRAP_HANDLER: 0
; COMPUTE_PGM_RSRC2:TGID_X_EN: 1
; COMPUTE_PGM_RSRC2:TGID_Y_EN: 0
; COMPUTE_PGM_RSRC2:TGID_Z_EN: 0
; COMPUTE_PGM_RSRC2:TIDIG_COMP_CNT: 0
	.section	.text._ZN9rocsparseL19gebsrmvn_4xn_kernelILj128ELj3ELj64E21rocsparse_complex_numIfEEEvi20rocsparse_direction_NS_24const_host_device_scalarIT2_EEPKiS8_PKS5_SA_S6_PS5_21rocsparse_index_base_b,"axG",@progbits,_ZN9rocsparseL19gebsrmvn_4xn_kernelILj128ELj3ELj64E21rocsparse_complex_numIfEEEvi20rocsparse_direction_NS_24const_host_device_scalarIT2_EEPKiS8_PKS5_SA_S6_PS5_21rocsparse_index_base_b,comdat
	.globl	_ZN9rocsparseL19gebsrmvn_4xn_kernelILj128ELj3ELj64E21rocsparse_complex_numIfEEEvi20rocsparse_direction_NS_24const_host_device_scalarIT2_EEPKiS8_PKS5_SA_S6_PS5_21rocsparse_index_base_b ; -- Begin function _ZN9rocsparseL19gebsrmvn_4xn_kernelILj128ELj3ELj64E21rocsparse_complex_numIfEEEvi20rocsparse_direction_NS_24const_host_device_scalarIT2_EEPKiS8_PKS5_SA_S6_PS5_21rocsparse_index_base_b
	.p2align	8
	.type	_ZN9rocsparseL19gebsrmvn_4xn_kernelILj128ELj3ELj64E21rocsparse_complex_numIfEEEvi20rocsparse_direction_NS_24const_host_device_scalarIT2_EEPKiS8_PKS5_SA_S6_PS5_21rocsparse_index_base_b,@function
_ZN9rocsparseL19gebsrmvn_4xn_kernelILj128ELj3ELj64E21rocsparse_complex_numIfEEEvi20rocsparse_direction_NS_24const_host_device_scalarIT2_EEPKiS8_PKS5_SA_S6_PS5_21rocsparse_index_base_b: ; @_ZN9rocsparseL19gebsrmvn_4xn_kernelILj128ELj3ELj64E21rocsparse_complex_numIfEEEvi20rocsparse_direction_NS_24const_host_device_scalarIT2_EEPKiS8_PKS5_SA_S6_PS5_21rocsparse_index_base_b
; %bb.0:
	s_load_dwordx2 s[0:1], s[4:5], 0x8
	s_load_dwordx2 s[8:9], s[4:5], 0x30
	;; [unrolled: 1-line block ×3, first 2 shown]
	s_add_u32 s7, s4, 8
	s_addc_u32 s10, s5, 0
	s_add_u32 s11, s4, 48
	s_addc_u32 s12, s5, 0
	s_waitcnt lgkmcnt(0)
	s_bitcmp1_b32 s3, 0
	s_cselect_b32 s1, s10, s1
	s_cselect_b32 s0, s7, s0
	v_mov_b32_e32 v1, s0
	v_mov_b32_e32 v2, s1
	flat_load_dwordx2 v[1:2], v[1:2]
	s_cselect_b32 s0, s12, s9
	s_cselect_b32 s1, s11, s8
	v_mov_b32_e32 v3, s1
	v_mov_b32_e32 v4, s0
	flat_load_dwordx2 v[3:4], v[3:4]
	s_waitcnt vmcnt(0) lgkmcnt(0)
	v_cmp_eq_f32_e32 vcc, 0, v1
	v_cmp_eq_f32_e64 s[0:1], 0, v2
	s_and_b64 s[10:11], vcc, s[0:1]
	s_mov_b64 s[0:1], -1
	s_and_saveexec_b64 s[8:9], s[10:11]
; %bb.1:
	v_cmp_neq_f32_e32 vcc, 1.0, v3
	v_cmp_neq_f32_e64 s[0:1], 0, v4
	s_or_b64 s[0:1], vcc, s[0:1]
	s_orn2_b64 s[0:1], s[0:1], exec
; %bb.2:
	s_or_b64 exec, exec, s[8:9]
	s_and_saveexec_b64 s[8:9], s[0:1]
	s_cbranch_execz .LBB88_21
; %bb.3:
	s_load_dwordx2 s[0:1], s[4:5], 0x0
	v_lshrrev_b32_e32 v5, 6, v0
	v_lshl_or_b32 v5, s6, 1, v5
	s_waitcnt lgkmcnt(0)
	v_cmp_gt_i32_e32 vcc, s0, v5
	s_and_b64 exec, exec, vcc
	s_cbranch_execz .LBB88_21
; %bb.4:
	s_load_dwordx8 s[8:15], s[4:5], 0x10
	v_ashrrev_i32_e32 v6, 31, v5
	v_lshlrev_b64 v[6:7], 2, v[5:6]
	v_and_b32_e32 v0, 63, v0
	s_cmp_lg_u32 s1, 0
	s_waitcnt lgkmcnt(0)
	v_mov_b32_e32 v8, s9
	v_add_co_u32_e32 v6, vcc, s8, v6
	v_addc_co_u32_e32 v7, vcc, v8, v7, vcc
	global_load_dwordx2 v[6:7], v[6:7], off
	s_waitcnt vmcnt(0)
	v_subrev_u32_e32 v6, s2, v6
	v_subrev_u32_e32 v16, s2, v7
	v_add_u32_e32 v6, v6, v0
	v_cmp_lt_i32_e64 s[0:1], v6, v16
	s_cbranch_scc0 .LBB88_10
; %bb.5:
	v_mov_b32_e32 v14, 0
	v_mov_b32_e32 v20, 0
	;; [unrolled: 1-line block ×8, first 2 shown]
	s_and_saveexec_b64 s[6:7], s[0:1]
	s_cbranch_execz .LBB88_9
; %bb.6:
	v_mul_lo_u32 v7, v6, 12
	v_mov_b32_e32 v8, 0
	s_mov_b64 s[8:9], 0
	v_mov_b32_e32 v11, s11
	v_mov_b32_e32 v21, s13
	;; [unrolled: 1-line block ×12, first 2 shown]
.LBB88_7:                               ; =>This Inner Loop Header: Depth=1
	v_ashrrev_i32_e32 v10, 31, v9
	v_lshlrev_b64 v[23:24], 2, v[9:10]
	v_add_u32_e32 v25, 4, v7
	v_add_co_u32_e32 v23, vcc, s10, v23
	v_addc_co_u32_e32 v24, vcc, v11, v24, vcc
	global_load_dword v10, v[23:24], off
	v_lshlrev_b64 v[23:24], 3, v[7:8]
	v_mov_b32_e32 v26, v8
	v_lshlrev_b64 v[31:32], 3, v[25:26]
	v_add_co_u32_e32 v35, vcc, s12, v23
	v_add_u32_e32 v27, 8, v7
	v_mov_b32_e32 v28, v8
	v_addc_co_u32_e32 v36, vcc, v21, v24, vcc
	v_lshlrev_b64 v[33:34], 3, v[27:28]
	v_add_co_u32_e32 v52, vcc, s12, v31
	v_addc_co_u32_e32 v53, vcc, v21, v32, vcc
	v_mov_b32_e32 v48, v8
	v_add_co_u32_e32 v54, vcc, s12, v33
	global_load_dwordx4 v[23:26], v[35:36], off
	global_load_dwordx4 v[27:30], v[35:36], off offset:16
	v_addc_co_u32_e32 v55, vcc, v21, v34, vcc
	global_load_dwordx4 v[31:34], v[52:53], off
	global_load_dwordx4 v[35:38], v[52:53], off offset:16
	global_load_dwordx4 v[39:42], v[54:55], off offset:16
	global_load_dwordx4 v[43:46], v[54:55], off
	v_mov_b32_e32 v49, v8
	v_mov_b32_e32 v51, v8
	v_add_u32_e32 v9, 64, v9
	v_add_u32_e32 v7, 0x300, v7
	s_waitcnt vmcnt(6)
	v_subrev_u32_e32 v10, s2, v10
	v_lshl_add_u32 v47, v10, 1, v10
	v_lshlrev_b64 v[52:53], 3, v[47:48]
	v_add_u32_e32 v48, 1, v47
	v_add_u32_e32 v50, 2, v47
	v_lshlrev_b64 v[47:48], 3, v[48:49]
	v_lshlrev_b64 v[49:50], 3, v[50:51]
	v_add_co_u32_e32 v51, vcc, s14, v52
	v_addc_co_u32_e32 v52, vcc, v22, v53, vcc
	global_load_dwordx2 v[51:52], v[51:52], off
	v_add_co_u32_e32 v47, vcc, s14, v47
	v_addc_co_u32_e32 v48, vcc, v22, v48, vcc
	v_add_co_u32_e32 v49, vcc, s14, v49
	v_addc_co_u32_e32 v50, vcc, v22, v50, vcc
	global_load_dwordx2 v[53:54], v[47:48], off
	global_load_dwordx2 v[55:56], v[49:50], off
	v_cmp_ge_i32_e32 vcc, v9, v16
	s_or_b64 s[8:9], vcc, s[8:9]
	s_waitcnt vmcnt(2)
	v_fmac_f32_e32 v20, v23, v51
	v_fmac_f32_e32 v14, v24, v51
	v_fmac_f32_e32 v19, v25, v51
	v_fmac_f32_e32 v15, v26, v51
	v_fmac_f32_e32 v18, v27, v51
	v_fmac_f32_e32 v13, v28, v51
	v_fmac_f32_e32 v17, v29, v51
	v_fmac_f32_e32 v12, v30, v51
	v_fma_f32 v10, -v24, v52, v20
	v_fmac_f32_e32 v14, v23, v52
	v_fma_f32 v19, -v26, v52, v19
	v_fmac_f32_e32 v15, v25, v52
	v_fma_f32 v18, -v28, v52, v18
	v_fmac_f32_e32 v13, v27, v52
	v_fma_f32 v17, -v30, v52, v17
	v_fmac_f32_e32 v12, v29, v52
	s_waitcnt vmcnt(1)
	v_fmac_f32_e32 v10, v31, v53
	v_fmac_f32_e32 v14, v32, v53
	v_fmac_f32_e32 v19, v33, v53
	v_fmac_f32_e32 v15, v34, v53
	v_fmac_f32_e32 v18, v35, v53
	v_fmac_f32_e32 v13, v36, v53
	v_fmac_f32_e32 v17, v37, v53
	v_fmac_f32_e32 v12, v38, v53
	v_fma_f32 v10, -v32, v54, v10
	v_fmac_f32_e32 v14, v31, v54
	v_fma_f32 v19, -v34, v54, v19
	v_fmac_f32_e32 v15, v33, v54
	v_fma_f32 v18, -v36, v54, v18
	v_fmac_f32_e32 v13, v35, v54
	v_fma_f32 v17, -v38, v54, v17
	v_fmac_f32_e32 v12, v37, v54
	;; [unrolled: 17-line block ×3, first 2 shown]
	s_andn2_b64 exec, exec, s[8:9]
	s_cbranch_execnz .LBB88_7
; %bb.8:
	s_or_b64 exec, exec, s[8:9]
.LBB88_9:
	s_or_b64 exec, exec, s[6:7]
	s_cbranch_execz .LBB88_11
	s_branch .LBB88_16
.LBB88_10:
                                        ; implicit-def: $vgpr14
                                        ; implicit-def: $vgpr20
                                        ; implicit-def: $vgpr17
                                        ; implicit-def: $vgpr12
                                        ; implicit-def: $vgpr18
                                        ; implicit-def: $vgpr13
                                        ; implicit-def: $vgpr19
                                        ; implicit-def: $vgpr15
.LBB88_11:
	v_mov_b32_e32 v14, 0
	v_mov_b32_e32 v20, 0
	v_mov_b32_e32 v17, 0
	v_mov_b32_e32 v12, 0
	v_mov_b32_e32 v18, 0
	v_mov_b32_e32 v13, 0
	v_mov_b32_e32 v19, 0
	v_mov_b32_e32 v15, 0
	s_and_saveexec_b64 s[6:7], s[0:1]
	s_cbranch_execz .LBB88_15
; %bb.12:
	v_mad_u64_u32 v[8:9], s[0:1], v6, 12, 11
	v_mov_b32_e32 v11, 0
	s_mov_b64 s[0:1], 0
	v_mov_b32_e32 v21, s11
	v_mov_b32_e32 v22, s13
	;; [unrolled: 1-line block ×11, first 2 shown]
.LBB88_13:                              ; =>This Inner Loop Header: Depth=1
	v_ashrrev_i32_e32 v7, 31, v6
	v_lshlrev_b64 v[28:29], 2, v[6:7]
	v_add_u32_e32 v10, -11, v8
	v_lshlrev_b64 v[30:31], 3, v[10:11]
	v_add_co_u32_e32 v28, vcc, s10, v28
	v_addc_co_u32_e32 v29, vcc, v21, v29, vcc
	v_add_u32_e32 v24, -5, v8
	v_mov_b32_e32 v25, v11
	v_add_u32_e32 v26, -2, v8
	v_mov_b32_e32 v27, v11
	v_add_co_u32_e32 v38, vcc, s12, v30
	v_lshlrev_b64 v[34:35], 3, v[24:25]
	v_lshlrev_b64 v[36:37], 3, v[26:27]
	v_addc_co_u32_e32 v39, vcc, v22, v31, vcc
	global_load_dword v7, v[28:29], off
	global_load_dwordx4 v[24:27], v[38:39], off
	v_mov_b32_e32 v33, v11
	v_mov_b32_e32 v9, v11
	v_add_u32_e32 v6, 64, v6
	s_waitcnt vmcnt(1)
	v_subrev_u32_e32 v7, s2, v7
	v_lshl_add_u32 v32, v7, 1, v7
	v_lshlrev_b64 v[28:29], 3, v[32:33]
	v_add_u32_e32 v10, 1, v32
	v_lshlrev_b64 v[30:31], 3, v[10:11]
	v_add_co_u32_e32 v40, vcc, s14, v28
	v_addc_co_u32_e32 v41, vcc, v23, v29, vcc
	v_add_co_u32_e32 v42, vcc, s14, v30
	v_addc_co_u32_e32 v43, vcc, v23, v31, vcc
	global_load_dwordx4 v[28:31], v[38:39], off offset:16
	global_load_dwordx2 v[44:45], v[40:41], off
	global_load_dwordx2 v[46:47], v[42:43], off
	v_lshlrev_b64 v[9:10], 3, v[8:9]
	s_waitcnt vmcnt(1)
	v_fmac_f32_e32 v14, v25, v44
	v_fmac_f32_e32 v20, v24, v44
	;; [unrolled: 1-line block ×3, first 2 shown]
	v_add_co_u32_e32 v24, vcc, s12, v34
	v_fma_f32 v7, -v25, v45, v20
	s_waitcnt vmcnt(0)
	v_fmac_f32_e32 v14, v27, v46
	v_addc_co_u32_e32 v25, vcc, v22, v35, vcc
	v_fmac_f32_e32 v7, v26, v46
	v_fmac_f32_e32 v14, v26, v47
	v_add_co_u32_e32 v26, vcc, s12, v36
	v_fma_f32 v7, -v27, v47, v7
	v_addc_co_u32_e32 v27, vcc, v22, v37, vcc
	global_load_dwordx2 v[50:51], v[24:25], off
	global_load_dwordx2 v[52:53], v[26:27], off
	v_add_co_u32_e32 v33, vcc, s12, v9
	v_addc_co_u32_e32 v34, vcc, v22, v10, vcc
	v_add_u32_e32 v10, -7, v8
	v_lshlrev_b64 v[9:10], 3, v[10:11]
	v_fmac_f32_e32 v19, v30, v44
	v_add_co_u32_e32 v35, vcc, s12, v9
	v_addc_co_u32_e32 v36, vcc, v22, v10, vcc
	v_add_u32_e32 v10, -4, v8
	v_lshlrev_b64 v[37:38], 3, v[10:11]
	v_add_u32_e32 v10, -1, v8
	v_lshlrev_b64 v[39:40], 3, v[10:11]
	v_add_co_u32_e32 v37, vcc, s12, v37
	v_addc_co_u32_e32 v38, vcc, v22, v38, vcc
	v_add_co_u32_e32 v39, vcc, s12, v39
	v_add_u32_e32 v10, 2, v32
	v_addc_co_u32_e32 v40, vcc, v22, v40, vcc
	v_fma_f32 v26, -v31, v45, v19
	v_lshlrev_b64 v[9:10], 3, v[10:11]
	v_fmac_f32_e32 v15, v31, v44
	v_add_co_u32_e32 v41, vcc, s14, v9
	v_addc_co_u32_e32 v42, vcc, v23, v10, vcc
	v_add_u32_e32 v10, -6, v8
	v_lshlrev_b64 v[9:10], 3, v[10:11]
	v_fmac_f32_e32 v15, v30, v45
	v_add_co_u32_e32 v48, vcc, s12, v9
	v_addc_co_u32_e32 v49, vcc, v22, v10, vcc
	v_add_u32_e32 v10, -3, v8
	v_lshlrev_b64 v[9:10], 3, v[10:11]
	v_add_u32_e32 v8, 0x300, v8
	v_add_co_u32_e32 v9, vcc, s12, v9
	v_addc_co_u32_e32 v10, vcc, v22, v10, vcc
	v_cmp_ge_i32_e32 vcc, v6, v16
	s_or_b64 s[0:1], vcc, s[0:1]
	s_waitcnt vmcnt(1)
	v_fmac_f32_e32 v18, v50, v44
	s_waitcnt vmcnt(0)
	v_fmac_f32_e32 v17, v52, v44
	v_fma_f32 v32, -v51, v45, v18
	v_fma_f32 v43, -v53, v45, v17
	global_load_dwordx2 v[17:18], v[35:36], off
	global_load_dwordx2 v[19:20], v[37:38], off
	;; [unrolled: 1-line block ×3, first 2 shown]
	v_fmac_f32_e32 v13, v51, v44
	v_fmac_f32_e32 v12, v53, v44
	;; [unrolled: 1-line block ×4, first 2 shown]
	s_waitcnt vmcnt(2)
	v_fmac_f32_e32 v26, v17, v46
	v_fmac_f32_e32 v15, v18, v46
	v_fma_f32 v37, -v18, v47, v26
	v_fmac_f32_e32 v15, v17, v47
	global_load_dwordx2 v[26:27], v[41:42], off
	global_load_dwordx2 v[17:18], v[48:49], off
	;; [unrolled: 1-line block ×4, first 2 shown]
	s_waitcnt vmcnt(5)
	v_fmac_f32_e32 v32, v19, v46
	v_fmac_f32_e32 v13, v20, v46
	s_waitcnt vmcnt(4)
	v_fmac_f32_e32 v43, v24, v46
	v_fmac_f32_e32 v12, v25, v46
	v_fma_f32 v9, -v20, v47, v32
	v_fmac_f32_e32 v13, v19, v47
	v_fma_f32 v10, -v25, v47, v43
	v_fmac_f32_e32 v12, v24, v47
	s_waitcnt vmcnt(3)
	v_fmac_f32_e32 v7, v28, v26
	v_fmac_f32_e32 v14, v29, v26
	s_waitcnt vmcnt(2)
	v_fmac_f32_e32 v37, v17, v26
	;; [unrolled: 3-line block ×4, first 2 shown]
	v_fmac_f32_e32 v12, v36, v26
	v_fma_f32 v20, -v29, v27, v7
	v_fmac_f32_e32 v14, v28, v27
	v_fma_f32 v19, -v18, v27, v37
	;; [unrolled: 2-line block ×4, first 2 shown]
	v_fmac_f32_e32 v12, v35, v27
	s_andn2_b64 exec, exec, s[0:1]
	s_cbranch_execnz .LBB88_13
; %bb.14:
	s_or_b64 exec, exec, s[0:1]
.LBB88_15:
	s_or_b64 exec, exec, s[6:7]
.LBB88_16:
	v_mov_b32_dpp v10, v19 row_shr:1 row_mask:0xf bank_mask:0xf
	v_add_f32_e32 v10, v19, v10
	v_mov_b32_dpp v6, v20 row_shr:1 row_mask:0xf bank_mask:0xf
	v_mov_b32_dpp v8, v14 row_shr:1 row_mask:0xf bank_mask:0xf
	;; [unrolled: 1-line block ×3, first 2 shown]
	v_add_f32_e32 v10, v10, v11
	v_add_f32_e32 v6, v20, v6
	;; [unrolled: 1-line block ×3, first 2 shown]
	v_mov_b32_dpp v11, v10 row_shr:4 row_mask:0xf bank_mask:0xe
	v_add_f32_e32 v10, v10, v11
	v_mov_b32_dpp v7, v6 row_shr:2 row_mask:0xf bank_mask:0xf
	v_mov_b32_dpp v9, v8 row_shr:2 row_mask:0xf bank_mask:0xf
	;; [unrolled: 1-line block ×3, first 2 shown]
	v_add_f32_e32 v10, v10, v11
	v_add_f32_e32 v6, v6, v7
	;; [unrolled: 1-line block ×3, first 2 shown]
	v_mov_b32_dpp v11, v10 row_bcast:15 row_mask:0xa bank_mask:0xf
	v_add_f32_e32 v11, v10, v11
	v_mov_b32_dpp v10, v15 row_shr:1 row_mask:0xf bank_mask:0xf
	v_add_f32_e32 v10, v15, v10
	v_mov_b32_dpp v7, v6 row_shr:4 row_mask:0xf bank_mask:0xe
	v_mov_b32_dpp v9, v8 row_shr:4 row_mask:0xf bank_mask:0xe
	;; [unrolled: 1-line block ×3, first 2 shown]
	v_add_f32_e32 v10, v10, v15
	v_add_f32_e32 v6, v6, v7
	;; [unrolled: 1-line block ×3, first 2 shown]
	v_mov_b32_dpp v15, v10 row_shr:4 row_mask:0xf bank_mask:0xe
	v_add_f32_e32 v10, v10, v15
	v_mov_b32_dpp v7, v6 row_shr:8 row_mask:0xf bank_mask:0xc
	v_mov_b32_dpp v9, v8 row_shr:8 row_mask:0xf bank_mask:0xc
	;; [unrolled: 1-line block ×3, first 2 shown]
	v_add_f32_e32 v10, v10, v15
	v_add_f32_e32 v6, v6, v7
	v_add_f32_e32 v8, v8, v9
	v_mov_b32_dpp v15, v10 row_bcast:15 row_mask:0xa bank_mask:0xf
	v_add_f32_e32 v15, v10, v15
	v_mov_b32_dpp v10, v18 row_shr:1 row_mask:0xf bank_mask:0xf
	v_add_f32_e32 v10, v18, v10
	v_mov_b32_dpp v7, v6 row_bcast:15 row_mask:0xa bank_mask:0xf
	v_mov_b32_dpp v9, v8 row_bcast:15 row_mask:0xa bank_mask:0xf
	v_mov_b32_dpp v18, v10 row_shr:2 row_mask:0xf bank_mask:0xf
	v_add_f32_e32 v10, v10, v18
	v_add_f32_e32 v6, v6, v7
	;; [unrolled: 1-line block ×3, first 2 shown]
	v_mov_b32_dpp v18, v10 row_shr:4 row_mask:0xf bank_mask:0xe
	v_add_f32_e32 v10, v10, v18
	v_mov_b32_dpp v7, v6 row_bcast:31 row_mask:0xc bank_mask:0xf
	v_mov_b32_dpp v9, v8 row_bcast:31 row_mask:0xc bank_mask:0xf
	v_mov_b32_dpp v18, v10 row_shr:8 row_mask:0xf bank_mask:0xc
	v_add_f32_e32 v10, v10, v18
	v_mov_b32_dpp v14, v11 row_bcast:31 row_mask:0xc bank_mask:0xf
	v_mov_b32_dpp v16, v15 row_bcast:31 row_mask:0xc bank_mask:0xf
	;; [unrolled: 1-line block ×3, first 2 shown]
	v_add_f32_e32 v18, v10, v18
	v_mov_b32_dpp v10, v13 row_shr:1 row_mask:0xf bank_mask:0xf
	v_add_f32_e32 v10, v13, v10
	v_mov_b32_dpp v19, v18 row_bcast:31 row_mask:0xc bank_mask:0xf
	v_cmp_eq_u32_e32 vcc, 63, v0
	v_mov_b32_dpp v13, v10 row_shr:2 row_mask:0xf bank_mask:0xf
	v_add_f32_e32 v10, v10, v13
	s_nop 1
	v_mov_b32_dpp v13, v10 row_shr:4 row_mask:0xf bank_mask:0xe
	v_add_f32_e32 v10, v10, v13
	s_nop 1
	;; [unrolled: 3-line block ×3, first 2 shown]
	v_mov_b32_dpp v13, v10 row_bcast:15 row_mask:0xa bank_mask:0xf
	v_add_f32_e32 v13, v10, v13
	v_mov_b32_dpp v10, v17 row_shr:1 row_mask:0xf bank_mask:0xf
	v_add_f32_e32 v10, v17, v10
	v_mov_b32_dpp v20, v13 row_bcast:31 row_mask:0xc bank_mask:0xf
	s_nop 0
	v_mov_b32_dpp v17, v10 row_shr:2 row_mask:0xf bank_mask:0xf
	v_add_f32_e32 v10, v10, v17
	s_nop 1
	v_mov_b32_dpp v17, v10 row_shr:4 row_mask:0xf bank_mask:0xe
	v_add_f32_e32 v10, v10, v17
	;; [unrolled: 3-line block ×3, first 2 shown]
	s_nop 1
	v_mov_b32_dpp v17, v10 row_bcast:15 row_mask:0xa bank_mask:0xf
	v_add_f32_e32 v17, v10, v17
	v_mov_b32_dpp v10, v12 row_shr:1 row_mask:0xf bank_mask:0xf
	v_add_f32_e32 v10, v12, v10
	v_mov_b32_dpp v21, v17 row_bcast:31 row_mask:0xc bank_mask:0xf
	s_nop 0
	v_mov_b32_dpp v12, v10 row_shr:2 row_mask:0xf bank_mask:0xf
	v_add_f32_e32 v10, v10, v12
	s_nop 1
	v_mov_b32_dpp v12, v10 row_shr:4 row_mask:0xf bank_mask:0xe
	v_add_f32_e32 v10, v10, v12
	s_nop 1
	v_mov_b32_dpp v12, v10 row_shr:8 row_mask:0xf bank_mask:0xc
	v_add_f32_e32 v10, v10, v12
	s_nop 1
	v_mov_b32_dpp v12, v10 row_bcast:15 row_mask:0xa bank_mask:0xf
	v_add_f32_e32 v22, v10, v12
	s_nop 1
	v_mov_b32_dpp v23, v22 row_bcast:31 row_mask:0xc bank_mask:0xf
	s_and_b64 exec, exec, vcc
	s_cbranch_execz .LBB88_21
; %bb.17:
	s_load_dwordx2 s[2:3], s[4:5], 0x38
	v_cmp_eq_f32_e32 vcc, 0, v3
	v_cmp_eq_f32_e64 s[0:1], 0, v4
	v_add_f32_e32 v10, v6, v7
	v_add_f32_e32 v12, v8, v9
	;; [unrolled: 1-line block ×8, first 2 shown]
	s_and_b64 s[0:1], vcc, s[0:1]
	s_and_saveexec_b64 s[4:5], s[0:1]
	s_xor_b64 s[0:1], exec, s[4:5]
	s_cbranch_execz .LBB88_19
; %bb.18:
	v_lshlrev_b32_e32 v3, 2, v5
	v_ashrrev_i32_e32 v4, 31, v3
	v_lshlrev_b64 v[3:4], 3, v[3:4]
	s_waitcnt lgkmcnt(0)
	v_mov_b32_e32 v5, s3
	v_add_co_u32_e32 v17, vcc, s2, v3
	v_addc_co_u32_e32 v18, vcc, v5, v4, vcc
	v_mul_f32_e64 v3, v9, -v2
	v_mul_f32_e32 v4, v1, v9
	v_mul_f32_e64 v13, v12, -v2
	v_mul_f32_e32 v14, v1, v12
	;; [unrolled: 2-line block ×3, first 2 shown]
	v_fmac_f32_e32 v3, v1, v6
	v_fmac_f32_e32 v4, v2, v6
	v_mul_f32_e64 v5, v7, -v2
	v_mul_f32_e32 v6, v1, v7
	v_fmac_f32_e32 v13, v1, v10
	v_fmac_f32_e32 v14, v2, v10
	;; [unrolled: 1-line block ×6, first 2 shown]
	global_store_dwordx4 v[17:18], v[13:16], off
	global_store_dwordx4 v[17:18], v[3:6], off offset:16
                                        ; implicit-def: $vgpr5
                                        ; implicit-def: $vgpr10
                                        ; implicit-def: $vgpr12
                                        ; implicit-def: $vgpr8
                                        ; implicit-def: $vgpr11
                                        ; implicit-def: $vgpr6
                                        ; implicit-def: $vgpr9
                                        ; implicit-def: $vgpr0
                                        ; implicit-def: $vgpr7
                                        ; implicit-def: $vgpr1_vgpr2
                                        ; implicit-def: $vgpr3_vgpr4
.LBB88_19:
	s_andn2_saveexec_b64 s[0:1], s[0:1]
	s_cbranch_execz .LBB88_21
; %bb.20:
	v_lshlrev_b32_e32 v13, 2, v5
	v_ashrrev_i32_e32 v14, 31, v13
	v_lshlrev_b64 v[13:14], 3, v[13:14]
	s_waitcnt lgkmcnt(0)
	v_mov_b32_e32 v5, s3
	v_add_co_u32_e32 v25, vcc, s2, v13
	v_addc_co_u32_e32 v26, vcc, v5, v14, vcc
	global_load_dwordx4 v[13:16], v[25:26], off
	global_load_dwordx4 v[17:20], v[25:26], off offset:16
	v_mul_f32_e64 v5, v12, -v2
	v_mul_f32_e32 v22, v1, v12
	v_mul_f32_e64 v12, v11, -v2
	v_mul_f32_e32 v24, v1, v11
	;; [unrolled: 2-line block ×4, first 2 shown]
	v_fmac_f32_e32 v5, v1, v10
	v_fmac_f32_e32 v22, v2, v10
	;; [unrolled: 1-line block ×8, first 2 shown]
	s_waitcnt vmcnt(1)
	v_fmac_f32_e32 v5, v3, v13
	v_fmac_f32_e32 v22, v4, v13
	;; [unrolled: 1-line block ×4, first 2 shown]
	s_waitcnt vmcnt(0)
	v_fmac_f32_e32 v27, v3, v17
	v_fmac_f32_e32 v9, v4, v17
	;; [unrolled: 1-line block ×4, first 2 shown]
	v_fma_f32 v21, -v4, v14, v5
	v_fmac_f32_e32 v22, v3, v14
	v_fma_f32 v23, -v4, v16, v12
	v_fmac_f32_e32 v24, v3, v16
	;; [unrolled: 2-line block ×4, first 2 shown]
	global_store_dwordx4 v[25:26], v[21:24], off
	global_store_dwordx4 v[25:26], v[8:11], off offset:16
.LBB88_21:
	s_endpgm
	.section	.rodata,"a",@progbits
	.p2align	6, 0x0
	.amdhsa_kernel _ZN9rocsparseL19gebsrmvn_4xn_kernelILj128ELj3ELj64E21rocsparse_complex_numIfEEEvi20rocsparse_direction_NS_24const_host_device_scalarIT2_EEPKiS8_PKS5_SA_S6_PS5_21rocsparse_index_base_b
		.amdhsa_group_segment_fixed_size 0
		.amdhsa_private_segment_fixed_size 0
		.amdhsa_kernarg_size 72
		.amdhsa_user_sgpr_count 6
		.amdhsa_user_sgpr_private_segment_buffer 1
		.amdhsa_user_sgpr_dispatch_ptr 0
		.amdhsa_user_sgpr_queue_ptr 0
		.amdhsa_user_sgpr_kernarg_segment_ptr 1
		.amdhsa_user_sgpr_dispatch_id 0
		.amdhsa_user_sgpr_flat_scratch_init 0
		.amdhsa_user_sgpr_private_segment_size 0
		.amdhsa_uses_dynamic_stack 0
		.amdhsa_system_sgpr_private_segment_wavefront_offset 0
		.amdhsa_system_sgpr_workgroup_id_x 1
		.amdhsa_system_sgpr_workgroup_id_y 0
		.amdhsa_system_sgpr_workgroup_id_z 0
		.amdhsa_system_sgpr_workgroup_info 0
		.amdhsa_system_vgpr_workitem_id 0
		.amdhsa_next_free_vgpr 57
		.amdhsa_next_free_sgpr 16
		.amdhsa_reserve_vcc 1
		.amdhsa_reserve_flat_scratch 0
		.amdhsa_float_round_mode_32 0
		.amdhsa_float_round_mode_16_64 0
		.amdhsa_float_denorm_mode_32 3
		.amdhsa_float_denorm_mode_16_64 3
		.amdhsa_dx10_clamp 1
		.amdhsa_ieee_mode 1
		.amdhsa_fp16_overflow 0
		.amdhsa_exception_fp_ieee_invalid_op 0
		.amdhsa_exception_fp_denorm_src 0
		.amdhsa_exception_fp_ieee_div_zero 0
		.amdhsa_exception_fp_ieee_overflow 0
		.amdhsa_exception_fp_ieee_underflow 0
		.amdhsa_exception_fp_ieee_inexact 0
		.amdhsa_exception_int_div_zero 0
	.end_amdhsa_kernel
	.section	.text._ZN9rocsparseL19gebsrmvn_4xn_kernelILj128ELj3ELj64E21rocsparse_complex_numIfEEEvi20rocsparse_direction_NS_24const_host_device_scalarIT2_EEPKiS8_PKS5_SA_S6_PS5_21rocsparse_index_base_b,"axG",@progbits,_ZN9rocsparseL19gebsrmvn_4xn_kernelILj128ELj3ELj64E21rocsparse_complex_numIfEEEvi20rocsparse_direction_NS_24const_host_device_scalarIT2_EEPKiS8_PKS5_SA_S6_PS5_21rocsparse_index_base_b,comdat
.Lfunc_end88:
	.size	_ZN9rocsparseL19gebsrmvn_4xn_kernelILj128ELj3ELj64E21rocsparse_complex_numIfEEEvi20rocsparse_direction_NS_24const_host_device_scalarIT2_EEPKiS8_PKS5_SA_S6_PS5_21rocsparse_index_base_b, .Lfunc_end88-_ZN9rocsparseL19gebsrmvn_4xn_kernelILj128ELj3ELj64E21rocsparse_complex_numIfEEEvi20rocsparse_direction_NS_24const_host_device_scalarIT2_EEPKiS8_PKS5_SA_S6_PS5_21rocsparse_index_base_b
                                        ; -- End function
	.set _ZN9rocsparseL19gebsrmvn_4xn_kernelILj128ELj3ELj64E21rocsparse_complex_numIfEEEvi20rocsparse_direction_NS_24const_host_device_scalarIT2_EEPKiS8_PKS5_SA_S6_PS5_21rocsparse_index_base_b.num_vgpr, 57
	.set _ZN9rocsparseL19gebsrmvn_4xn_kernelILj128ELj3ELj64E21rocsparse_complex_numIfEEEvi20rocsparse_direction_NS_24const_host_device_scalarIT2_EEPKiS8_PKS5_SA_S6_PS5_21rocsparse_index_base_b.num_agpr, 0
	.set _ZN9rocsparseL19gebsrmvn_4xn_kernelILj128ELj3ELj64E21rocsparse_complex_numIfEEEvi20rocsparse_direction_NS_24const_host_device_scalarIT2_EEPKiS8_PKS5_SA_S6_PS5_21rocsparse_index_base_b.numbered_sgpr, 16
	.set _ZN9rocsparseL19gebsrmvn_4xn_kernelILj128ELj3ELj64E21rocsparse_complex_numIfEEEvi20rocsparse_direction_NS_24const_host_device_scalarIT2_EEPKiS8_PKS5_SA_S6_PS5_21rocsparse_index_base_b.num_named_barrier, 0
	.set _ZN9rocsparseL19gebsrmvn_4xn_kernelILj128ELj3ELj64E21rocsparse_complex_numIfEEEvi20rocsparse_direction_NS_24const_host_device_scalarIT2_EEPKiS8_PKS5_SA_S6_PS5_21rocsparse_index_base_b.private_seg_size, 0
	.set _ZN9rocsparseL19gebsrmvn_4xn_kernelILj128ELj3ELj64E21rocsparse_complex_numIfEEEvi20rocsparse_direction_NS_24const_host_device_scalarIT2_EEPKiS8_PKS5_SA_S6_PS5_21rocsparse_index_base_b.uses_vcc, 1
	.set _ZN9rocsparseL19gebsrmvn_4xn_kernelILj128ELj3ELj64E21rocsparse_complex_numIfEEEvi20rocsparse_direction_NS_24const_host_device_scalarIT2_EEPKiS8_PKS5_SA_S6_PS5_21rocsparse_index_base_b.uses_flat_scratch, 0
	.set _ZN9rocsparseL19gebsrmvn_4xn_kernelILj128ELj3ELj64E21rocsparse_complex_numIfEEEvi20rocsparse_direction_NS_24const_host_device_scalarIT2_EEPKiS8_PKS5_SA_S6_PS5_21rocsparse_index_base_b.has_dyn_sized_stack, 0
	.set _ZN9rocsparseL19gebsrmvn_4xn_kernelILj128ELj3ELj64E21rocsparse_complex_numIfEEEvi20rocsparse_direction_NS_24const_host_device_scalarIT2_EEPKiS8_PKS5_SA_S6_PS5_21rocsparse_index_base_b.has_recursion, 0
	.set _ZN9rocsparseL19gebsrmvn_4xn_kernelILj128ELj3ELj64E21rocsparse_complex_numIfEEEvi20rocsparse_direction_NS_24const_host_device_scalarIT2_EEPKiS8_PKS5_SA_S6_PS5_21rocsparse_index_base_b.has_indirect_call, 0
	.section	.AMDGPU.csdata,"",@progbits
; Kernel info:
; codeLenInByte = 2780
; TotalNumSgprs: 20
; NumVgprs: 57
; ScratchSize: 0
; MemoryBound: 0
; FloatMode: 240
; IeeeMode: 1
; LDSByteSize: 0 bytes/workgroup (compile time only)
; SGPRBlocks: 2
; VGPRBlocks: 14
; NumSGPRsForWavesPerEU: 20
; NumVGPRsForWavesPerEU: 57
; Occupancy: 4
; WaveLimiterHint : 1
; COMPUTE_PGM_RSRC2:SCRATCH_EN: 0
; COMPUTE_PGM_RSRC2:USER_SGPR: 6
; COMPUTE_PGM_RSRC2:TRAP_HANDLER: 0
; COMPUTE_PGM_RSRC2:TGID_X_EN: 1
; COMPUTE_PGM_RSRC2:TGID_Y_EN: 0
; COMPUTE_PGM_RSRC2:TGID_Z_EN: 0
; COMPUTE_PGM_RSRC2:TIDIG_COMP_CNT: 0
	.section	.text._ZN9rocsparseL19gebsrmvn_4xn_kernelILj128ELj5ELj4E21rocsparse_complex_numIfEEEvi20rocsparse_direction_NS_24const_host_device_scalarIT2_EEPKiS8_PKS5_SA_S6_PS5_21rocsparse_index_base_b,"axG",@progbits,_ZN9rocsparseL19gebsrmvn_4xn_kernelILj128ELj5ELj4E21rocsparse_complex_numIfEEEvi20rocsparse_direction_NS_24const_host_device_scalarIT2_EEPKiS8_PKS5_SA_S6_PS5_21rocsparse_index_base_b,comdat
	.globl	_ZN9rocsparseL19gebsrmvn_4xn_kernelILj128ELj5ELj4E21rocsparse_complex_numIfEEEvi20rocsparse_direction_NS_24const_host_device_scalarIT2_EEPKiS8_PKS5_SA_S6_PS5_21rocsparse_index_base_b ; -- Begin function _ZN9rocsparseL19gebsrmvn_4xn_kernelILj128ELj5ELj4E21rocsparse_complex_numIfEEEvi20rocsparse_direction_NS_24const_host_device_scalarIT2_EEPKiS8_PKS5_SA_S6_PS5_21rocsparse_index_base_b
	.p2align	8
	.type	_ZN9rocsparseL19gebsrmvn_4xn_kernelILj128ELj5ELj4E21rocsparse_complex_numIfEEEvi20rocsparse_direction_NS_24const_host_device_scalarIT2_EEPKiS8_PKS5_SA_S6_PS5_21rocsparse_index_base_b,@function
_ZN9rocsparseL19gebsrmvn_4xn_kernelILj128ELj5ELj4E21rocsparse_complex_numIfEEEvi20rocsparse_direction_NS_24const_host_device_scalarIT2_EEPKiS8_PKS5_SA_S6_PS5_21rocsparse_index_base_b: ; @_ZN9rocsparseL19gebsrmvn_4xn_kernelILj128ELj5ELj4E21rocsparse_complex_numIfEEEvi20rocsparse_direction_NS_24const_host_device_scalarIT2_EEPKiS8_PKS5_SA_S6_PS5_21rocsparse_index_base_b
; %bb.0:
	s_load_dwordx2 s[0:1], s[4:5], 0x8
	s_load_dwordx2 s[8:9], s[4:5], 0x30
	;; [unrolled: 1-line block ×3, first 2 shown]
	s_add_u32 s7, s4, 8
	s_addc_u32 s10, s5, 0
	s_add_u32 s11, s4, 48
	s_addc_u32 s12, s5, 0
	s_waitcnt lgkmcnt(0)
	s_bitcmp1_b32 s3, 0
	s_cselect_b32 s1, s10, s1
	s_cselect_b32 s0, s7, s0
	v_mov_b32_e32 v1, s0
	v_mov_b32_e32 v2, s1
	flat_load_dwordx2 v[1:2], v[1:2]
	s_cselect_b32 s0, s12, s9
	s_cselect_b32 s1, s11, s8
	v_mov_b32_e32 v3, s1
	v_mov_b32_e32 v4, s0
	flat_load_dwordx2 v[3:4], v[3:4]
	s_waitcnt vmcnt(0) lgkmcnt(0)
	v_cmp_eq_f32_e32 vcc, 0, v1
	v_cmp_eq_f32_e64 s[0:1], 0, v2
	s_and_b64 s[10:11], vcc, s[0:1]
	s_mov_b64 s[0:1], -1
	s_and_saveexec_b64 s[8:9], s[10:11]
; %bb.1:
	v_cmp_neq_f32_e32 vcc, 1.0, v3
	v_cmp_neq_f32_e64 s[0:1], 0, v4
	s_or_b64 s[0:1], vcc, s[0:1]
	s_orn2_b64 s[0:1], s[0:1], exec
; %bb.2:
	s_or_b64 exec, exec, s[8:9]
	s_and_saveexec_b64 s[8:9], s[0:1]
	s_cbranch_execz .LBB89_21
; %bb.3:
	s_load_dwordx2 s[0:1], s[4:5], 0x0
	v_lshrrev_b32_e32 v5, 2, v0
	v_lshl_or_b32 v5, s6, 5, v5
	s_waitcnt lgkmcnt(0)
	v_cmp_gt_i32_e32 vcc, s0, v5
	s_and_b64 exec, exec, vcc
	s_cbranch_execz .LBB89_21
; %bb.4:
	s_load_dwordx8 s[8:15], s[4:5], 0x10
	v_ashrrev_i32_e32 v6, 31, v5
	v_lshlrev_b64 v[6:7], 2, v[5:6]
	v_and_b32_e32 v0, 3, v0
	s_cmp_lg_u32 s1, 0
	s_waitcnt lgkmcnt(0)
	v_mov_b32_e32 v8, s9
	v_add_co_u32_e32 v6, vcc, s8, v6
	v_addc_co_u32_e32 v7, vcc, v8, v7, vcc
	global_load_dwordx2 v[6:7], v[6:7], off
	s_waitcnt vmcnt(0)
	v_subrev_u32_e32 v6, s2, v6
	v_subrev_u32_e32 v15, s2, v7
	v_add_u32_e32 v6, v6, v0
	v_cmp_lt_i32_e64 s[0:1], v6, v15
	s_cbranch_scc0 .LBB89_10
; %bb.5:
	v_mov_b32_e32 v14, 0
	v_mov_b32_e32 v19, 0
	;; [unrolled: 1-line block ×8, first 2 shown]
	s_and_saveexec_b64 s[6:7], s[0:1]
	s_cbranch_execz .LBB89_9
; %bb.6:
	v_mad_u64_u32 v[7:8], s[8:9], v6, 20, 16
	v_mov_b32_e32 v10, 0
	s_mov_b64 s[8:9], 0
	v_mov_b32_e32 v22, s11
	v_mov_b32_e32 v23, s13
	;; [unrolled: 1-line block ×12, first 2 shown]
.LBB89_7:                               ; =>This Inner Loop Header: Depth=1
	v_ashrrev_i32_e32 v12, 31, v11
	v_lshlrev_b64 v[25:26], 2, v[11:12]
	v_add_u32_e32 v9, -16, v7
	v_lshlrev_b64 v[27:28], 3, v[9:10]
	v_add_co_u32_e32 v33, vcc, s10, v25
	v_mov_b32_e32 v8, v10
	v_addc_co_u32_e32 v34, vcc, v22, v26, vcc
	v_lshlrev_b64 v[29:30], 3, v[7:8]
	v_add_co_u32_e32 v35, vcc, s12, v27
	v_addc_co_u32_e32 v36, vcc, v23, v28, vcc
	v_add_co_u32_e32 v41, vcc, s12, v29
	v_addc_co_u32_e32 v42, vcc, v23, v30, vcc
	global_load_dword v12, v[33:34], off
	global_load_dwordx4 v[25:28], v[35:36], off
	global_load_dwordx4 v[29:32], v[35:36], off offset:16
	v_add_u32_e32 v9, -12, v7
	v_lshlrev_b64 v[8:9], 3, v[9:10]
	v_mov_b32_e32 v46, v10
	v_add_co_u32_e32 v8, vcc, s12, v8
	global_load_dwordx4 v[33:36], v[41:42], off
	global_load_dwordx4 v[37:40], v[41:42], off offset:16
	v_addc_co_u32_e32 v9, vcc, v23, v9, vcc
	v_add_u32_e32 v11, 4, v11
	s_waitcnt vmcnt(4)
	v_subrev_u32_e32 v12, s2, v12
	v_lshl_add_u32 v45, v12, 2, v12
	v_lshlrev_b64 v[41:42], 3, v[45:46]
	v_add_co_u32_e32 v46, vcc, s14, v41
	v_addc_co_u32_e32 v47, vcc, v24, v42, vcc
	global_load_dwordx4 v[41:44], v[8:9], off
	global_load_dwordx2 v[48:49], v[46:47], off
	s_waitcnt vmcnt(0)
	v_fmac_f32_e32 v19, v25, v48
	v_fmac_f32_e32 v14, v26, v48
	;; [unrolled: 1-line block ×4, first 2 shown]
	v_fma_f32 v12, -v26, v49, v19
	v_fmac_f32_e32 v14, v25, v49
	v_fma_f32 v50, -v28, v49, v21
	v_fmac_f32_e32 v17, v27, v49
	global_load_dwordx4 v[25:28], v[8:9], off offset:16
	v_add_u32_e32 v9, 1, v45
	v_lshlrev_b64 v[46:47], 3, v[9:10]
	v_fmac_f32_e32 v20, v29, v48
	v_fma_f32 v8, -v30, v49, v20
	v_add_co_u32_e32 v20, vcc, s14, v46
	v_fmac_f32_e32 v18, v31, v48
	v_fmac_f32_e32 v13, v32, v48
	v_addc_co_u32_e32 v21, vcc, v24, v47, vcc
	v_fma_f32 v51, -v32, v49, v18
	v_fmac_f32_e32 v13, v31, v49
	global_load_dwordx2 v[31:32], v[20:21], off
	v_add_u32_e32 v9, -8, v7
	v_lshlrev_b64 v[18:19], 3, v[9:10]
	v_fmac_f32_e32 v16, v30, v48
	v_add_u32_e32 v9, 2, v45
	v_fmac_f32_e32 v16, v29, v49
	v_lshlrev_b64 v[29:30], 3, v[9:10]
	v_add_co_u32_e32 v46, vcc, s12, v18
	v_addc_co_u32_e32 v47, vcc, v23, v19, vcc
	v_add_co_u32_e32 v29, vcc, s14, v29
	v_addc_co_u32_e32 v30, vcc, v24, v30, vcc
	global_load_dwordx4 v[18:21], v[46:47], off
	v_add_u32_e32 v9, -4, v7
	v_lshlrev_b64 v[48:49], 3, v[9:10]
	v_add_u32_e32 v9, 3, v45
	v_add_u32_e32 v7, 0x50, v7
	s_waitcnt vmcnt(1)
	v_fmac_f32_e32 v12, v41, v31
	v_fmac_f32_e32 v14, v42, v31
	v_fma_f32 v12, -v42, v32, v12
	v_fmac_f32_e32 v14, v41, v32
	global_load_dwordx2 v[41:42], v[29:30], off
	v_fmac_f32_e32 v50, v43, v31
	v_fmac_f32_e32 v17, v44, v31
	;; [unrolled: 1-line block ×6, first 2 shown]
	v_fma_f32 v50, -v44, v32, v50
	v_fmac_f32_e32 v17, v43, v32
	v_fma_f32 v52, -v26, v32, v8
	v_fmac_f32_e32 v16, v25, v32
	v_fma_f32 v51, -v28, v32, v51
	v_fmac_f32_e32 v13, v27, v32
	v_lshlrev_b64 v[31:32], 3, v[9:10]
	v_add_co_u32_e32 v43, vcc, s12, v48
	v_add_u32_e32 v9, 4, v45
	v_addc_co_u32_e32 v44, vcc, v23, v49, vcc
	global_load_dwordx4 v[25:28], v[46:47], off offset:16
	v_lshlrev_b64 v[8:9], 3, v[9:10]
	v_add_co_u32_e32 v45, vcc, s14, v31
	s_waitcnt vmcnt(1)
	v_fmac_f32_e32 v12, v18, v41
	v_fmac_f32_e32 v14, v19, v41
	;; [unrolled: 1-line block ×4, first 2 shown]
	v_fma_f32 v12, -v19, v42, v12
	v_fmac_f32_e32 v14, v18, v42
	v_fma_f32 v53, -v21, v42, v50
	v_fmac_f32_e32 v17, v20, v42
	global_load_dwordx4 v[18:21], v[43:44], off
	v_addc_co_u32_e32 v46, vcc, v24, v32, vcc
	v_add_co_u32_e32 v8, vcc, s14, v8
	v_addc_co_u32_e32 v9, vcc, v24, v9, vcc
	global_load_dwordx4 v[29:32], v[43:44], off offset:16
	global_load_dwordx2 v[47:48], v[45:46], off
	global_load_dwordx2 v[49:50], v[8:9], off
	v_cmp_ge_i32_e32 vcc, v11, v15
	s_or_b64 s[8:9], vcc, s[8:9]
	s_waitcnt vmcnt(4)
	v_fmac_f32_e32 v52, v25, v41
	v_fmac_f32_e32 v16, v26, v41
	;; [unrolled: 1-line block ×4, first 2 shown]
	v_fma_f32 v8, -v26, v42, v52
	v_fmac_f32_e32 v16, v25, v42
	v_fma_f32 v9, -v28, v42, v51
	v_fmac_f32_e32 v13, v27, v42
	s_waitcnt vmcnt(1)
	v_fmac_f32_e32 v12, v18, v47
	v_fmac_f32_e32 v14, v19, v47
	;; [unrolled: 1-line block ×8, first 2 shown]
	v_fma_f32 v12, -v19, v48, v12
	v_fmac_f32_e32 v14, v18, v48
	v_fma_f32 v18, -v21, v48, v53
	v_fmac_f32_e32 v17, v20, v48
	;; [unrolled: 2-line block ×4, first 2 shown]
	s_waitcnt vmcnt(0)
	v_fmac_f32_e32 v12, v33, v49
	v_fmac_f32_e32 v14, v34, v49
	;; [unrolled: 1-line block ×8, first 2 shown]
	v_fma_f32 v19, -v34, v50, v12
	v_fmac_f32_e32 v14, v33, v50
	v_fma_f32 v21, -v36, v50, v18
	v_fmac_f32_e32 v17, v35, v50
	;; [unrolled: 2-line block ×4, first 2 shown]
	s_andn2_b64 exec, exec, s[8:9]
	s_cbranch_execnz .LBB89_7
; %bb.8:
	s_or_b64 exec, exec, s[8:9]
.LBB89_9:
	s_or_b64 exec, exec, s[6:7]
	s_cbranch_execz .LBB89_11
	s_branch .LBB89_16
.LBB89_10:
                                        ; implicit-def: $vgpr14
                                        ; implicit-def: $vgpr19
                                        ; implicit-def: $vgpr18
                                        ; implicit-def: $vgpr13
                                        ; implicit-def: $vgpr20
                                        ; implicit-def: $vgpr16
                                        ; implicit-def: $vgpr21
                                        ; implicit-def: $vgpr17
.LBB89_11:
	v_mov_b32_e32 v14, 0
	v_mov_b32_e32 v19, 0
	;; [unrolled: 1-line block ×8, first 2 shown]
	s_and_saveexec_b64 s[6:7], s[0:1]
	s_cbranch_execz .LBB89_15
; %bb.12:
	v_mad_u64_u32 v[8:9], s[0:1], v6, 20, 19
	v_mov_b32_e32 v11, 0
	s_mov_b64 s[0:1], 0
	v_mov_b32_e32 v12, s11
	v_mov_b32_e32 v22, s13
	;; [unrolled: 1-line block ×11, first 2 shown]
.LBB89_13:                              ; =>This Inner Loop Header: Depth=1
	v_ashrrev_i32_e32 v7, 31, v6
	v_lshlrev_b64 v[30:31], 2, v[6:7]
	v_subrev_u32_e32 v10, 19, v8
	v_add_co_u32_e32 v30, vcc, s10, v30
	v_addc_co_u32_e32 v31, vcc, v12, v31, vcc
	global_load_dword v7, v[30:31], off
	v_lshlrev_b64 v[32:33], 3, v[10:11]
	v_add_u32_e32 v24, -14, v8
	v_mov_b32_e32 v25, v11
	v_lshlrev_b64 v[24:25], 3, v[24:25]
	v_add_co_u32_e32 v32, vcc, s12, v32
	v_add_u32_e32 v26, -9, v8
	v_mov_b32_e32 v27, v11
	v_addc_co_u32_e32 v33, vcc, v22, v33, vcc
	v_lshlrev_b64 v[26:27], 3, v[26:27]
	v_add_co_u32_e32 v24, vcc, s12, v24
	v_add_u32_e32 v28, -4, v8
	v_mov_b32_e32 v29, v11
	v_addc_co_u32_e32 v25, vcc, v22, v25, vcc
	v_lshlrev_b64 v[28:29], 3, v[28:29]
	v_add_co_u32_e32 v26, vcc, s12, v26
	v_mov_b32_e32 v9, v11
	v_addc_co_u32_e32 v27, vcc, v22, v27, vcc
	v_lshlrev_b64 v[9:10], 3, v[8:9]
	v_add_co_u32_e32 v28, vcc, s12, v28
	v_addc_co_u32_e32 v29, vcc, v22, v29, vcc
	v_add_co_u32_e32 v34, vcc, s12, v9
	v_addc_co_u32_e32 v35, vcc, v22, v10, vcc
	v_mov_b32_e32 v10, v11
	v_add_u32_e32 v6, 4, v6
	s_waitcnt vmcnt(0)
	v_subrev_u32_e32 v7, s2, v7
	v_lshl_add_u32 v9, v7, 2, v7
	v_lshlrev_b64 v[30:31], 3, v[9:10]
	v_add_u32_e32 v10, 1, v9
	v_add_co_u32_e32 v30, vcc, s14, v30
	v_addc_co_u32_e32 v31, vcc, v23, v31, vcc
	global_load_dwordx2 v[38:39], v[24:25], off
	global_load_dwordx2 v[40:41], v[26:27], off
	;; [unrolled: 1-line block ×4, first 2 shown]
	s_nop 0
	global_load_dwordx4 v[24:27], v[32:33], off
	global_load_dwordx4 v[28:31], v[32:33], off offset:16
	v_lshlrev_b64 v[36:37], 3, v[10:11]
	v_add_u32_e32 v10, -13, v8
	v_add_co_u32_e32 v36, vcc, s14, v36
	v_addc_co_u32_e32 v37, vcc, v23, v37, vcc
	s_waitcnt vmcnt(2)
	v_fmac_f32_e32 v20, v40, v44
	v_fmac_f32_e32 v16, v41, v44
	;; [unrolled: 1-line block ×3, first 2 shown]
	s_waitcnt vmcnt(1)
	v_fmac_f32_e32 v19, v24, v44
	v_fma_f32 v41, -v41, v45, v20
	v_fmac_f32_e32 v16, v40, v45
	v_fma_f32 v40, -v43, v45, v18
	v_fma_f32 v20, -v25, v45, v19
	global_load_dwordx2 v[18:19], v[36:37], off
	v_fmac_f32_e32 v21, v38, v44
	v_fma_f32 v7, -v39, v45, v21
	v_fmac_f32_e32 v14, v25, v44
	v_fmac_f32_e32 v14, v24, v45
	;; [unrolled: 1-line block ×6, first 2 shown]
	s_waitcnt vmcnt(0)
	v_fmac_f32_e32 v20, v26, v18
	v_fma_f32 v46, -v27, v19, v20
	v_lshlrev_b64 v[20:21], 3, v[10:11]
	v_add_u32_e32 v10, -8, v8
	v_add_co_u32_e32 v20, vcc, s12, v20
	v_lshlrev_b64 v[24:25], 3, v[10:11]
	v_fmac_f32_e32 v14, v27, v18
	v_addc_co_u32_e32 v21, vcc, v22, v21, vcc
	v_add_u32_e32 v10, -3, v8
	v_fmac_f32_e32 v14, v26, v19
	v_add_co_u32_e32 v24, vcc, s12, v24
	v_lshlrev_b64 v[26:27], 3, v[10:11]
	v_addc_co_u32_e32 v25, vcc, v22, v25, vcc
	v_add_co_u32_e32 v26, vcc, s12, v26
	v_addc_co_u32_e32 v27, vcc, v22, v27, vcc
	global_load_dwordx2 v[32:33], v[20:21], off
	global_load_dwordx2 v[36:37], v[24:25], off
	;; [unrolled: 1-line block ×3, first 2 shown]
	v_add_u32_e32 v10, 2, v9
	v_lshlrev_b64 v[20:21], 3, v[10:11]
	v_add_u32_e32 v10, -12, v8
	v_add_co_u32_e32 v20, vcc, s14, v20
	v_addc_co_u32_e32 v21, vcc, v23, v21, vcc
	s_waitcnt vmcnt(2)
	v_fmac_f32_e32 v7, v32, v18
	v_fmac_f32_e32 v17, v33, v18
	s_waitcnt vmcnt(1)
	v_fmac_f32_e32 v41, v36, v18
	v_fmac_f32_e32 v16, v37, v18
	;; [unrolled: 3-line block ×3, first 2 shown]
	v_fma_f32 v7, -v33, v19, v7
	v_fmac_f32_e32 v17, v32, v19
	v_fma_f32 v47, -v37, v19, v41
	v_fmac_f32_e32 v16, v36, v19
	;; [unrolled: 2-line block ×3, first 2 shown]
	v_lshlrev_b64 v[18:19], 3, v[10:11]
	v_add_u32_e32 v10, -7, v8
	v_add_co_u32_e32 v18, vcc, s12, v18
	v_lshlrev_b64 v[24:25], 3, v[10:11]
	v_addc_co_u32_e32 v19, vcc, v22, v19, vcc
	v_add_u32_e32 v10, -2, v8
	v_add_co_u32_e32 v24, vcc, s12, v24
	v_lshlrev_b64 v[26:27], 3, v[10:11]
	v_addc_co_u32_e32 v25, vcc, v22, v25, vcc
	v_add_u32_e32 v10, 3, v9
	v_add_co_u32_e32 v26, vcc, s12, v26
	v_lshlrev_b64 v[32:33], 3, v[10:11]
	v_addc_co_u32_e32 v27, vcc, v22, v27, vcc
	v_add_co_u32_e32 v32, vcc, s14, v32
	v_addc_co_u32_e32 v33, vcc, v23, v33, vcc
	global_load_dwordx2 v[38:39], v[20:21], off
	global_load_dwordx2 v[40:41], v[18:19], off
	;; [unrolled: 1-line block ×4, first 2 shown]
	v_add_u32_e32 v10, -11, v8
	global_load_dwordx2 v[20:21], v[32:33], off
	v_lshlrev_b64 v[36:37], 3, v[10:11]
	v_add_u32_e32 v10, -6, v8
	v_add_co_u32_e32 v36, vcc, s12, v36
	v_lshlrev_b64 v[18:19], 3, v[10:11]
	v_addc_co_u32_e32 v37, vcc, v22, v37, vcc
	v_add_u32_e32 v10, -1, v8
	v_add_co_u32_e32 v18, vcc, s12, v18
	v_addc_co_u32_e32 v19, vcc, v22, v19, vcc
	s_waitcnt vmcnt(4)
	v_fmac_f32_e32 v46, v28, v38
	v_fma_f32 v24, -v29, v39, v46
	s_waitcnt vmcnt(3)
	v_fmac_f32_e32 v7, v40, v38
	s_waitcnt vmcnt(1)
	v_fmac_f32_e32 v13, v45, v38
	v_fmac_f32_e32 v48, v44, v38
	s_waitcnt vmcnt(0)
	v_fmac_f32_e32 v24, v30, v20
	v_fmac_f32_e32 v13, v44, v39
	v_fma_f32 v44, -v31, v21, v24
	v_lshlrev_b64 v[24:25], 3, v[10:11]
	v_add_u32_e32 v10, -15, v8
	v_lshlrev_b64 v[26:27], 3, v[10:11]
	v_add_co_u32_e32 v24, vcc, s12, v24
	v_addc_co_u32_e32 v25, vcc, v22, v25, vcc
	v_fmac_f32_e32 v17, v41, v38
	v_fmac_f32_e32 v47, v42, v38
	;; [unrolled: 1-line block ×4, first 2 shown]
	v_add_co_u32_e32 v26, vcc, s12, v26
	v_fma_f32 v7, -v41, v39, v7
	v_fmac_f32_e32 v17, v40, v39
	v_fma_f32 v47, -v43, v39, v47
	v_fmac_f32_e32 v16, v42, v39
	;; [unrolled: 2-line block ×3, first 2 shown]
	v_addc_co_u32_e32 v27, vcc, v22, v27, vcc
	global_load_dwordx2 v[32:33], v[36:37], off
	global_load_dwordx2 v[38:39], v[18:19], off
	;; [unrolled: 1-line block ×4, first 2 shown]
	v_add_u32_e32 v10, 4, v9
	v_lshlrev_b64 v[9:10], 3, v[10:11]
	v_fmac_f32_e32 v14, v31, v20
	v_add_co_u32_e32 v28, vcc, s14, v9
	v_addc_co_u32_e32 v29, vcc, v23, v10, vcc
	v_add_u32_e32 v10, -10, v8
	v_lshlrev_b64 v[9:10], 3, v[10:11]
	v_fmac_f32_e32 v14, v30, v21
	v_add_co_u32_e32 v30, vcc, s12, v9
	v_addc_co_u32_e32 v31, vcc, v22, v10, vcc
	v_add_u32_e32 v10, -5, v8
	v_lshlrev_b64 v[9:10], 3, v[10:11]
	v_add_u32_e32 v8, 0x50, v8
	v_add_co_u32_e32 v9, vcc, s12, v9
	v_addc_co_u32_e32 v10, vcc, v22, v10, vcc
	v_cmp_ge_i32_e32 vcc, v6, v15
	s_or_b64 s[0:1], vcc, s[0:1]
	s_waitcnt vmcnt(3)
	v_fmac_f32_e32 v7, v32, v20
	v_fmac_f32_e32 v17, v33, v20
	v_fma_f32 v7, -v33, v21, v7
	v_fmac_f32_e32 v17, v32, v21
	global_load_dwordx2 v[24:25], v[28:29], off
	global_load_dwordx2 v[26:27], v[30:31], off
	;; [unrolled: 1-line block ×4, first 2 shown]
	s_waitcnt vmcnt(6)
	v_fmac_f32_e32 v47, v38, v20
	v_fmac_f32_e32 v16, v39, v20
	s_waitcnt vmcnt(5)
	v_fmac_f32_e32 v45, v40, v20
	v_fmac_f32_e32 v13, v41, v20
	v_fma_f32 v18, -v39, v21, v47
	v_fmac_f32_e32 v16, v38, v21
	v_fma_f32 v9, -v41, v21, v45
	v_fmac_f32_e32 v13, v40, v21
	s_waitcnt vmcnt(3)
	v_fmac_f32_e32 v44, v42, v24
	v_fmac_f32_e32 v14, v43, v24
	s_waitcnt vmcnt(2)
	v_fmac_f32_e32 v7, v26, v24
	;; [unrolled: 3-line block ×4, first 2 shown]
	v_fmac_f32_e32 v13, v37, v24
	v_fma_f32 v19, -v43, v25, v44
	v_fmac_f32_e32 v14, v42, v25
	v_fma_f32 v21, -v27, v25, v7
	;; [unrolled: 2-line block ×4, first 2 shown]
	v_fmac_f32_e32 v13, v36, v25
	s_andn2_b64 exec, exec, s[0:1]
	s_cbranch_execnz .LBB89_13
; %bb.14:
	s_or_b64 exec, exec, s[0:1]
.LBB89_15:
	s_or_b64 exec, exec, s[6:7]
.LBB89_16:
	v_mov_b32_dpp v10, v21 row_shr:1 row_mask:0xf bank_mask:0xf
	v_add_f32_e32 v11, v21, v10
	v_mov_b32_dpp v6, v19 row_shr:1 row_mask:0xf bank_mask:0xf
	v_mov_b32_dpp v10, v17 row_shr:1 row_mask:0xf bank_mask:0xf
	v_add_f32_e32 v15, v17, v10
	v_add_f32_e32 v6, v19, v6
	v_mov_b32_dpp v10, v20 row_shr:1 row_mask:0xf bank_mask:0xf
	v_add_f32_e32 v19, v20, v10
	v_mov_b32_dpp v8, v14 row_shr:1 row_mask:0xf bank_mask:0xf
	v_mov_b32_dpp v10, v16 row_shr:1 row_mask:0xf bank_mask:0xf
	v_add_f32_e32 v16, v16, v10
	v_add_f32_e32 v8, v14, v8
	v_mov_b32_dpp v10, v18 row_shr:1 row_mask:0xf bank_mask:0xf
	v_add_f32_e32 v18, v18, v10
	v_mov_b32_dpp v7, v6 row_shr:2 row_mask:0xf bank_mask:0xf
	v_mov_b32_dpp v10, v13 row_shr:1 row_mask:0xf bank_mask:0xf
	v_add_f32_e32 v13, v13, v10
	v_mov_b32_dpp v9, v8 row_shr:2 row_mask:0xf bank_mask:0xf
	v_mov_b32_dpp v14, v11 row_shr:2 row_mask:0xf bank_mask:0xf
	;; [unrolled: 1-line block ×7, first 2 shown]
	v_cmp_eq_u32_e32 vcc, 3, v0
	s_and_b64 exec, exec, vcc
	s_cbranch_execz .LBB89_21
; %bb.17:
	s_load_dwordx2 s[2:3], s[4:5], 0x38
	v_cmp_eq_f32_e32 vcc, 0, v3
	v_cmp_eq_f32_e64 s[0:1], 0, v4
	v_add_f32_e32 v10, v6, v7
	v_add_f32_e32 v12, v8, v9
	;; [unrolled: 1-line block ×8, first 2 shown]
	s_and_b64 s[0:1], vcc, s[0:1]
	s_and_saveexec_b64 s[4:5], s[0:1]
	s_xor_b64 s[0:1], exec, s[4:5]
	s_cbranch_execz .LBB89_19
; %bb.18:
	v_lshlrev_b32_e32 v3, 2, v5
	v_ashrrev_i32_e32 v4, 31, v3
	v_lshlrev_b64 v[3:4], 3, v[3:4]
	s_waitcnt lgkmcnt(0)
	v_mov_b32_e32 v5, s3
	v_add_co_u32_e32 v17, vcc, s2, v3
	v_addc_co_u32_e32 v18, vcc, v5, v4, vcc
	v_mul_f32_e64 v3, v9, -v2
	v_mul_f32_e32 v4, v1, v9
	v_mul_f32_e64 v13, v12, -v2
	v_mul_f32_e32 v14, v1, v12
	;; [unrolled: 2-line block ×3, first 2 shown]
	v_fmac_f32_e32 v3, v1, v6
	v_fmac_f32_e32 v4, v2, v6
	v_mul_f32_e64 v5, v7, -v2
	v_mul_f32_e32 v6, v1, v7
	v_fmac_f32_e32 v13, v1, v10
	v_fmac_f32_e32 v14, v2, v10
	;; [unrolled: 1-line block ×6, first 2 shown]
	global_store_dwordx4 v[17:18], v[13:16], off
	global_store_dwordx4 v[17:18], v[3:6], off offset:16
                                        ; implicit-def: $vgpr5
                                        ; implicit-def: $vgpr10
                                        ; implicit-def: $vgpr12
                                        ; implicit-def: $vgpr8
                                        ; implicit-def: $vgpr11
                                        ; implicit-def: $vgpr6
                                        ; implicit-def: $vgpr9
                                        ; implicit-def: $vgpr0
                                        ; implicit-def: $vgpr7
                                        ; implicit-def: $vgpr1_vgpr2
                                        ; implicit-def: $vgpr3_vgpr4
.LBB89_19:
	s_andn2_saveexec_b64 s[0:1], s[0:1]
	s_cbranch_execz .LBB89_21
; %bb.20:
	v_lshlrev_b32_e32 v13, 2, v5
	v_ashrrev_i32_e32 v14, 31, v13
	v_lshlrev_b64 v[13:14], 3, v[13:14]
	s_waitcnt lgkmcnt(0)
	v_mov_b32_e32 v5, s3
	v_add_co_u32_e32 v25, vcc, s2, v13
	v_addc_co_u32_e32 v26, vcc, v5, v14, vcc
	global_load_dwordx4 v[13:16], v[25:26], off
	global_load_dwordx4 v[17:20], v[25:26], off offset:16
	v_mul_f32_e64 v5, v12, -v2
	v_mul_f32_e32 v22, v1, v12
	v_mul_f32_e64 v12, v11, -v2
	v_mul_f32_e32 v24, v1, v11
	;; [unrolled: 2-line block ×4, first 2 shown]
	v_fmac_f32_e32 v5, v1, v10
	v_fmac_f32_e32 v22, v2, v10
	;; [unrolled: 1-line block ×8, first 2 shown]
	s_waitcnt vmcnt(1)
	v_fmac_f32_e32 v5, v3, v13
	v_fmac_f32_e32 v22, v4, v13
	;; [unrolled: 1-line block ×4, first 2 shown]
	s_waitcnt vmcnt(0)
	v_fmac_f32_e32 v27, v3, v17
	v_fmac_f32_e32 v9, v4, v17
	;; [unrolled: 1-line block ×4, first 2 shown]
	v_fma_f32 v21, -v4, v14, v5
	v_fmac_f32_e32 v22, v3, v14
	v_fma_f32 v23, -v4, v16, v12
	v_fmac_f32_e32 v24, v3, v16
	;; [unrolled: 2-line block ×4, first 2 shown]
	global_store_dwordx4 v[25:26], v[21:24], off
	global_store_dwordx4 v[25:26], v[8:11], off offset:16
.LBB89_21:
	s_endpgm
	.section	.rodata,"a",@progbits
	.p2align	6, 0x0
	.amdhsa_kernel _ZN9rocsparseL19gebsrmvn_4xn_kernelILj128ELj5ELj4E21rocsparse_complex_numIfEEEvi20rocsparse_direction_NS_24const_host_device_scalarIT2_EEPKiS8_PKS5_SA_S6_PS5_21rocsparse_index_base_b
		.amdhsa_group_segment_fixed_size 0
		.amdhsa_private_segment_fixed_size 0
		.amdhsa_kernarg_size 72
		.amdhsa_user_sgpr_count 6
		.amdhsa_user_sgpr_private_segment_buffer 1
		.amdhsa_user_sgpr_dispatch_ptr 0
		.amdhsa_user_sgpr_queue_ptr 0
		.amdhsa_user_sgpr_kernarg_segment_ptr 1
		.amdhsa_user_sgpr_dispatch_id 0
		.amdhsa_user_sgpr_flat_scratch_init 0
		.amdhsa_user_sgpr_private_segment_size 0
		.amdhsa_uses_dynamic_stack 0
		.amdhsa_system_sgpr_private_segment_wavefront_offset 0
		.amdhsa_system_sgpr_workgroup_id_x 1
		.amdhsa_system_sgpr_workgroup_id_y 0
		.amdhsa_system_sgpr_workgroup_id_z 0
		.amdhsa_system_sgpr_workgroup_info 0
		.amdhsa_system_vgpr_workitem_id 0
		.amdhsa_next_free_vgpr 54
		.amdhsa_next_free_sgpr 16
		.amdhsa_reserve_vcc 1
		.amdhsa_reserve_flat_scratch 0
		.amdhsa_float_round_mode_32 0
		.amdhsa_float_round_mode_16_64 0
		.amdhsa_float_denorm_mode_32 3
		.amdhsa_float_denorm_mode_16_64 3
		.amdhsa_dx10_clamp 1
		.amdhsa_ieee_mode 1
		.amdhsa_fp16_overflow 0
		.amdhsa_exception_fp_ieee_invalid_op 0
		.amdhsa_exception_fp_denorm_src 0
		.amdhsa_exception_fp_ieee_div_zero 0
		.amdhsa_exception_fp_ieee_overflow 0
		.amdhsa_exception_fp_ieee_underflow 0
		.amdhsa_exception_fp_ieee_inexact 0
		.amdhsa_exception_int_div_zero 0
	.end_amdhsa_kernel
	.section	.text._ZN9rocsparseL19gebsrmvn_4xn_kernelILj128ELj5ELj4E21rocsparse_complex_numIfEEEvi20rocsparse_direction_NS_24const_host_device_scalarIT2_EEPKiS8_PKS5_SA_S6_PS5_21rocsparse_index_base_b,"axG",@progbits,_ZN9rocsparseL19gebsrmvn_4xn_kernelILj128ELj5ELj4E21rocsparse_complex_numIfEEEvi20rocsparse_direction_NS_24const_host_device_scalarIT2_EEPKiS8_PKS5_SA_S6_PS5_21rocsparse_index_base_b,comdat
.Lfunc_end89:
	.size	_ZN9rocsparseL19gebsrmvn_4xn_kernelILj128ELj5ELj4E21rocsparse_complex_numIfEEEvi20rocsparse_direction_NS_24const_host_device_scalarIT2_EEPKiS8_PKS5_SA_S6_PS5_21rocsparse_index_base_b, .Lfunc_end89-_ZN9rocsparseL19gebsrmvn_4xn_kernelILj128ELj5ELj4E21rocsparse_complex_numIfEEEvi20rocsparse_direction_NS_24const_host_device_scalarIT2_EEPKiS8_PKS5_SA_S6_PS5_21rocsparse_index_base_b
                                        ; -- End function
	.set _ZN9rocsparseL19gebsrmvn_4xn_kernelILj128ELj5ELj4E21rocsparse_complex_numIfEEEvi20rocsparse_direction_NS_24const_host_device_scalarIT2_EEPKiS8_PKS5_SA_S6_PS5_21rocsparse_index_base_b.num_vgpr, 54
	.set _ZN9rocsparseL19gebsrmvn_4xn_kernelILj128ELj5ELj4E21rocsparse_complex_numIfEEEvi20rocsparse_direction_NS_24const_host_device_scalarIT2_EEPKiS8_PKS5_SA_S6_PS5_21rocsparse_index_base_b.num_agpr, 0
	.set _ZN9rocsparseL19gebsrmvn_4xn_kernelILj128ELj5ELj4E21rocsparse_complex_numIfEEEvi20rocsparse_direction_NS_24const_host_device_scalarIT2_EEPKiS8_PKS5_SA_S6_PS5_21rocsparse_index_base_b.numbered_sgpr, 16
	.set _ZN9rocsparseL19gebsrmvn_4xn_kernelILj128ELj5ELj4E21rocsparse_complex_numIfEEEvi20rocsparse_direction_NS_24const_host_device_scalarIT2_EEPKiS8_PKS5_SA_S6_PS5_21rocsparse_index_base_b.num_named_barrier, 0
	.set _ZN9rocsparseL19gebsrmvn_4xn_kernelILj128ELj5ELj4E21rocsparse_complex_numIfEEEvi20rocsparse_direction_NS_24const_host_device_scalarIT2_EEPKiS8_PKS5_SA_S6_PS5_21rocsparse_index_base_b.private_seg_size, 0
	.set _ZN9rocsparseL19gebsrmvn_4xn_kernelILj128ELj5ELj4E21rocsparse_complex_numIfEEEvi20rocsparse_direction_NS_24const_host_device_scalarIT2_EEPKiS8_PKS5_SA_S6_PS5_21rocsparse_index_base_b.uses_vcc, 1
	.set _ZN9rocsparseL19gebsrmvn_4xn_kernelILj128ELj5ELj4E21rocsparse_complex_numIfEEEvi20rocsparse_direction_NS_24const_host_device_scalarIT2_EEPKiS8_PKS5_SA_S6_PS5_21rocsparse_index_base_b.uses_flat_scratch, 0
	.set _ZN9rocsparseL19gebsrmvn_4xn_kernelILj128ELj5ELj4E21rocsparse_complex_numIfEEEvi20rocsparse_direction_NS_24const_host_device_scalarIT2_EEPKiS8_PKS5_SA_S6_PS5_21rocsparse_index_base_b.has_dyn_sized_stack, 0
	.set _ZN9rocsparseL19gebsrmvn_4xn_kernelILj128ELj5ELj4E21rocsparse_complex_numIfEEEvi20rocsparse_direction_NS_24const_host_device_scalarIT2_EEPKiS8_PKS5_SA_S6_PS5_21rocsparse_index_base_b.has_recursion, 0
	.set _ZN9rocsparseL19gebsrmvn_4xn_kernelILj128ELj5ELj4E21rocsparse_complex_numIfEEEvi20rocsparse_direction_NS_24const_host_device_scalarIT2_EEPKiS8_PKS5_SA_S6_PS5_21rocsparse_index_base_b.has_indirect_call, 0
	.section	.AMDGPU.csdata,"",@progbits
; Kernel info:
; codeLenInByte = 3108
; TotalNumSgprs: 20
; NumVgprs: 54
; ScratchSize: 0
; MemoryBound: 0
; FloatMode: 240
; IeeeMode: 1
; LDSByteSize: 0 bytes/workgroup (compile time only)
; SGPRBlocks: 2
; VGPRBlocks: 13
; NumSGPRsForWavesPerEU: 20
; NumVGPRsForWavesPerEU: 54
; Occupancy: 4
; WaveLimiterHint : 1
; COMPUTE_PGM_RSRC2:SCRATCH_EN: 0
; COMPUTE_PGM_RSRC2:USER_SGPR: 6
; COMPUTE_PGM_RSRC2:TRAP_HANDLER: 0
; COMPUTE_PGM_RSRC2:TGID_X_EN: 1
; COMPUTE_PGM_RSRC2:TGID_Y_EN: 0
; COMPUTE_PGM_RSRC2:TGID_Z_EN: 0
; COMPUTE_PGM_RSRC2:TIDIG_COMP_CNT: 0
	.section	.text._ZN9rocsparseL19gebsrmvn_4xn_kernelILj128ELj5ELj8E21rocsparse_complex_numIfEEEvi20rocsparse_direction_NS_24const_host_device_scalarIT2_EEPKiS8_PKS5_SA_S6_PS5_21rocsparse_index_base_b,"axG",@progbits,_ZN9rocsparseL19gebsrmvn_4xn_kernelILj128ELj5ELj8E21rocsparse_complex_numIfEEEvi20rocsparse_direction_NS_24const_host_device_scalarIT2_EEPKiS8_PKS5_SA_S6_PS5_21rocsparse_index_base_b,comdat
	.globl	_ZN9rocsparseL19gebsrmvn_4xn_kernelILj128ELj5ELj8E21rocsparse_complex_numIfEEEvi20rocsparse_direction_NS_24const_host_device_scalarIT2_EEPKiS8_PKS5_SA_S6_PS5_21rocsparse_index_base_b ; -- Begin function _ZN9rocsparseL19gebsrmvn_4xn_kernelILj128ELj5ELj8E21rocsparse_complex_numIfEEEvi20rocsparse_direction_NS_24const_host_device_scalarIT2_EEPKiS8_PKS5_SA_S6_PS5_21rocsparse_index_base_b
	.p2align	8
	.type	_ZN9rocsparseL19gebsrmvn_4xn_kernelILj128ELj5ELj8E21rocsparse_complex_numIfEEEvi20rocsparse_direction_NS_24const_host_device_scalarIT2_EEPKiS8_PKS5_SA_S6_PS5_21rocsparse_index_base_b,@function
_ZN9rocsparseL19gebsrmvn_4xn_kernelILj128ELj5ELj8E21rocsparse_complex_numIfEEEvi20rocsparse_direction_NS_24const_host_device_scalarIT2_EEPKiS8_PKS5_SA_S6_PS5_21rocsparse_index_base_b: ; @_ZN9rocsparseL19gebsrmvn_4xn_kernelILj128ELj5ELj8E21rocsparse_complex_numIfEEEvi20rocsparse_direction_NS_24const_host_device_scalarIT2_EEPKiS8_PKS5_SA_S6_PS5_21rocsparse_index_base_b
; %bb.0:
	s_load_dwordx2 s[0:1], s[4:5], 0x8
	s_load_dwordx2 s[8:9], s[4:5], 0x30
	;; [unrolled: 1-line block ×3, first 2 shown]
	s_add_u32 s7, s4, 8
	s_addc_u32 s10, s5, 0
	s_add_u32 s11, s4, 48
	s_addc_u32 s12, s5, 0
	s_waitcnt lgkmcnt(0)
	s_bitcmp1_b32 s3, 0
	s_cselect_b32 s1, s10, s1
	s_cselect_b32 s0, s7, s0
	v_mov_b32_e32 v1, s0
	v_mov_b32_e32 v2, s1
	flat_load_dwordx2 v[1:2], v[1:2]
	s_cselect_b32 s0, s12, s9
	s_cselect_b32 s1, s11, s8
	v_mov_b32_e32 v3, s1
	v_mov_b32_e32 v4, s0
	flat_load_dwordx2 v[3:4], v[3:4]
	s_waitcnt vmcnt(0) lgkmcnt(0)
	v_cmp_eq_f32_e32 vcc, 0, v1
	v_cmp_eq_f32_e64 s[0:1], 0, v2
	s_and_b64 s[10:11], vcc, s[0:1]
	s_mov_b64 s[0:1], -1
	s_and_saveexec_b64 s[8:9], s[10:11]
; %bb.1:
	v_cmp_neq_f32_e32 vcc, 1.0, v3
	v_cmp_neq_f32_e64 s[0:1], 0, v4
	s_or_b64 s[0:1], vcc, s[0:1]
	s_orn2_b64 s[0:1], s[0:1], exec
; %bb.2:
	s_or_b64 exec, exec, s[8:9]
	s_and_saveexec_b64 s[8:9], s[0:1]
	s_cbranch_execz .LBB90_21
; %bb.3:
	s_load_dwordx2 s[0:1], s[4:5], 0x0
	v_lshrrev_b32_e32 v5, 3, v0
	v_lshl_or_b32 v5, s6, 4, v5
	s_waitcnt lgkmcnt(0)
	v_cmp_gt_i32_e32 vcc, s0, v5
	s_and_b64 exec, exec, vcc
	s_cbranch_execz .LBB90_21
; %bb.4:
	s_load_dwordx8 s[8:15], s[4:5], 0x10
	v_ashrrev_i32_e32 v6, 31, v5
	v_lshlrev_b64 v[6:7], 2, v[5:6]
	v_and_b32_e32 v0, 7, v0
	s_cmp_lg_u32 s1, 0
	s_waitcnt lgkmcnt(0)
	v_mov_b32_e32 v8, s9
	v_add_co_u32_e32 v6, vcc, s8, v6
	v_addc_co_u32_e32 v7, vcc, v8, v7, vcc
	global_load_dwordx2 v[6:7], v[6:7], off
	s_waitcnt vmcnt(0)
	v_subrev_u32_e32 v6, s2, v6
	v_subrev_u32_e32 v16, s2, v7
	v_add_u32_e32 v6, v6, v0
	v_cmp_lt_i32_e64 s[0:1], v6, v16
	s_cbranch_scc0 .LBB90_10
; %bb.5:
	v_mov_b32_e32 v14, 0
	v_mov_b32_e32 v19, 0
	;; [unrolled: 1-line block ×8, first 2 shown]
	s_and_saveexec_b64 s[6:7], s[0:1]
	s_cbranch_execz .LBB90_9
; %bb.6:
	v_mad_u64_u32 v[7:8], s[8:9], v6, 20, 16
	v_mov_b32_e32 v10, 0
	s_mov_b64 s[8:9], 0
	v_mov_b32_e32 v22, s11
	v_mov_b32_e32 v23, s13
	;; [unrolled: 1-line block ×12, first 2 shown]
.LBB90_7:                               ; =>This Inner Loop Header: Depth=1
	v_ashrrev_i32_e32 v12, 31, v11
	v_lshlrev_b64 v[25:26], 2, v[11:12]
	v_add_u32_e32 v9, -16, v7
	v_lshlrev_b64 v[27:28], 3, v[9:10]
	v_add_co_u32_e32 v33, vcc, s10, v25
	v_mov_b32_e32 v8, v10
	v_addc_co_u32_e32 v34, vcc, v22, v26, vcc
	v_lshlrev_b64 v[29:30], 3, v[7:8]
	v_add_co_u32_e32 v35, vcc, s12, v27
	v_addc_co_u32_e32 v36, vcc, v23, v28, vcc
	v_add_co_u32_e32 v41, vcc, s12, v29
	v_addc_co_u32_e32 v42, vcc, v23, v30, vcc
	global_load_dword v12, v[33:34], off
	global_load_dwordx4 v[25:28], v[35:36], off
	global_load_dwordx4 v[29:32], v[35:36], off offset:16
	v_add_u32_e32 v9, -12, v7
	v_lshlrev_b64 v[8:9], 3, v[9:10]
	v_mov_b32_e32 v46, v10
	v_add_co_u32_e32 v8, vcc, s12, v8
	global_load_dwordx4 v[33:36], v[41:42], off
	global_load_dwordx4 v[37:40], v[41:42], off offset:16
	v_addc_co_u32_e32 v9, vcc, v23, v9, vcc
	v_add_u32_e32 v11, 8, v11
	s_waitcnt vmcnt(4)
	v_subrev_u32_e32 v12, s2, v12
	v_lshl_add_u32 v45, v12, 2, v12
	v_lshlrev_b64 v[41:42], 3, v[45:46]
	v_add_co_u32_e32 v46, vcc, s14, v41
	v_addc_co_u32_e32 v47, vcc, v24, v42, vcc
	global_load_dwordx4 v[41:44], v[8:9], off
	global_load_dwordx2 v[48:49], v[46:47], off
	s_waitcnt vmcnt(0)
	v_fmac_f32_e32 v19, v25, v48
	v_fmac_f32_e32 v14, v26, v48
	;; [unrolled: 1-line block ×4, first 2 shown]
	v_fma_f32 v12, -v26, v49, v19
	v_fmac_f32_e32 v14, v25, v49
	v_fma_f32 v50, -v28, v49, v21
	v_fmac_f32_e32 v17, v27, v49
	global_load_dwordx4 v[25:28], v[8:9], off offset:16
	v_add_u32_e32 v9, 1, v45
	v_lshlrev_b64 v[46:47], 3, v[9:10]
	v_fmac_f32_e32 v20, v29, v48
	v_fma_f32 v8, -v30, v49, v20
	v_add_co_u32_e32 v20, vcc, s14, v46
	v_fmac_f32_e32 v18, v31, v48
	v_fmac_f32_e32 v13, v32, v48
	v_addc_co_u32_e32 v21, vcc, v24, v47, vcc
	v_fma_f32 v51, -v32, v49, v18
	v_fmac_f32_e32 v13, v31, v49
	global_load_dwordx2 v[31:32], v[20:21], off
	v_add_u32_e32 v9, -8, v7
	v_lshlrev_b64 v[18:19], 3, v[9:10]
	v_fmac_f32_e32 v15, v30, v48
	v_add_u32_e32 v9, 2, v45
	v_fmac_f32_e32 v15, v29, v49
	v_lshlrev_b64 v[29:30], 3, v[9:10]
	v_add_co_u32_e32 v46, vcc, s12, v18
	v_addc_co_u32_e32 v47, vcc, v23, v19, vcc
	v_add_co_u32_e32 v29, vcc, s14, v29
	v_addc_co_u32_e32 v30, vcc, v24, v30, vcc
	global_load_dwordx4 v[18:21], v[46:47], off
	v_add_u32_e32 v9, -4, v7
	v_lshlrev_b64 v[48:49], 3, v[9:10]
	v_add_u32_e32 v9, 3, v45
	v_add_u32_e32 v7, 0xa0, v7
	s_waitcnt vmcnt(1)
	v_fmac_f32_e32 v12, v41, v31
	v_fmac_f32_e32 v14, v42, v31
	v_fma_f32 v12, -v42, v32, v12
	v_fmac_f32_e32 v14, v41, v32
	global_load_dwordx2 v[41:42], v[29:30], off
	v_fmac_f32_e32 v50, v43, v31
	v_fmac_f32_e32 v17, v44, v31
	;; [unrolled: 1-line block ×6, first 2 shown]
	v_fma_f32 v50, -v44, v32, v50
	v_fmac_f32_e32 v17, v43, v32
	v_fma_f32 v52, -v26, v32, v8
	v_fmac_f32_e32 v15, v25, v32
	;; [unrolled: 2-line block ×3, first 2 shown]
	v_lshlrev_b64 v[31:32], 3, v[9:10]
	v_add_co_u32_e32 v43, vcc, s12, v48
	v_add_u32_e32 v9, 4, v45
	v_addc_co_u32_e32 v44, vcc, v23, v49, vcc
	global_load_dwordx4 v[25:28], v[46:47], off offset:16
	v_lshlrev_b64 v[8:9], 3, v[9:10]
	v_add_co_u32_e32 v45, vcc, s14, v31
	s_waitcnt vmcnt(1)
	v_fmac_f32_e32 v12, v18, v41
	v_fmac_f32_e32 v14, v19, v41
	;; [unrolled: 1-line block ×4, first 2 shown]
	v_fma_f32 v12, -v19, v42, v12
	v_fmac_f32_e32 v14, v18, v42
	v_fma_f32 v53, -v21, v42, v50
	v_fmac_f32_e32 v17, v20, v42
	global_load_dwordx4 v[18:21], v[43:44], off
	v_addc_co_u32_e32 v46, vcc, v24, v32, vcc
	v_add_co_u32_e32 v8, vcc, s14, v8
	v_addc_co_u32_e32 v9, vcc, v24, v9, vcc
	global_load_dwordx4 v[29:32], v[43:44], off offset:16
	global_load_dwordx2 v[47:48], v[45:46], off
	global_load_dwordx2 v[49:50], v[8:9], off
	v_cmp_ge_i32_e32 vcc, v11, v16
	s_or_b64 s[8:9], vcc, s[8:9]
	s_waitcnt vmcnt(4)
	v_fmac_f32_e32 v52, v25, v41
	v_fmac_f32_e32 v15, v26, v41
	v_fmac_f32_e32 v51, v27, v41
	v_fmac_f32_e32 v13, v28, v41
	v_fma_f32 v8, -v26, v42, v52
	v_fmac_f32_e32 v15, v25, v42
	v_fma_f32 v9, -v28, v42, v51
	v_fmac_f32_e32 v13, v27, v42
	s_waitcnt vmcnt(1)
	v_fmac_f32_e32 v12, v18, v47
	v_fmac_f32_e32 v14, v19, v47
	v_fmac_f32_e32 v53, v20, v47
	v_fmac_f32_e32 v17, v21, v47
	v_fmac_f32_e32 v8, v29, v47
	v_fmac_f32_e32 v15, v30, v47
	v_fmac_f32_e32 v9, v31, v47
	v_fmac_f32_e32 v13, v32, v47
	v_fma_f32 v12, -v19, v48, v12
	v_fmac_f32_e32 v14, v18, v48
	v_fma_f32 v18, -v21, v48, v53
	v_fmac_f32_e32 v17, v20, v48
	;; [unrolled: 2-line block ×4, first 2 shown]
	s_waitcnt vmcnt(0)
	v_fmac_f32_e32 v12, v33, v49
	v_fmac_f32_e32 v14, v34, v49
	;; [unrolled: 1-line block ×8, first 2 shown]
	v_fma_f32 v19, -v34, v50, v12
	v_fmac_f32_e32 v14, v33, v50
	v_fma_f32 v21, -v36, v50, v18
	v_fmac_f32_e32 v17, v35, v50
	;; [unrolled: 2-line block ×4, first 2 shown]
	s_andn2_b64 exec, exec, s[8:9]
	s_cbranch_execnz .LBB90_7
; %bb.8:
	s_or_b64 exec, exec, s[8:9]
.LBB90_9:
	s_or_b64 exec, exec, s[6:7]
	s_cbranch_execz .LBB90_11
	s_branch .LBB90_16
.LBB90_10:
                                        ; implicit-def: $vgpr14
                                        ; implicit-def: $vgpr19
                                        ; implicit-def: $vgpr18
                                        ; implicit-def: $vgpr13
                                        ; implicit-def: $vgpr20
                                        ; implicit-def: $vgpr15
                                        ; implicit-def: $vgpr21
                                        ; implicit-def: $vgpr17
.LBB90_11:
	v_mov_b32_e32 v14, 0
	v_mov_b32_e32 v19, 0
	;; [unrolled: 1-line block ×8, first 2 shown]
	s_and_saveexec_b64 s[6:7], s[0:1]
	s_cbranch_execz .LBB90_15
; %bb.12:
	v_mad_u64_u32 v[8:9], s[0:1], v6, 20, 19
	v_mov_b32_e32 v11, 0
	s_mov_b64 s[0:1], 0
	v_mov_b32_e32 v12, s11
	v_mov_b32_e32 v22, s13
	;; [unrolled: 1-line block ×11, first 2 shown]
.LBB90_13:                              ; =>This Inner Loop Header: Depth=1
	v_ashrrev_i32_e32 v7, 31, v6
	v_lshlrev_b64 v[30:31], 2, v[6:7]
	v_subrev_u32_e32 v10, 19, v8
	v_add_co_u32_e32 v30, vcc, s10, v30
	v_addc_co_u32_e32 v31, vcc, v12, v31, vcc
	global_load_dword v7, v[30:31], off
	v_lshlrev_b64 v[32:33], 3, v[10:11]
	v_add_u32_e32 v24, -14, v8
	v_mov_b32_e32 v25, v11
	v_lshlrev_b64 v[24:25], 3, v[24:25]
	v_add_co_u32_e32 v32, vcc, s12, v32
	v_add_u32_e32 v26, -9, v8
	v_mov_b32_e32 v27, v11
	v_addc_co_u32_e32 v33, vcc, v22, v33, vcc
	v_lshlrev_b64 v[26:27], 3, v[26:27]
	v_add_co_u32_e32 v24, vcc, s12, v24
	v_add_u32_e32 v28, -4, v8
	v_mov_b32_e32 v29, v11
	v_addc_co_u32_e32 v25, vcc, v22, v25, vcc
	v_lshlrev_b64 v[28:29], 3, v[28:29]
	v_add_co_u32_e32 v26, vcc, s12, v26
	v_mov_b32_e32 v9, v11
	v_addc_co_u32_e32 v27, vcc, v22, v27, vcc
	v_lshlrev_b64 v[9:10], 3, v[8:9]
	v_add_co_u32_e32 v28, vcc, s12, v28
	v_addc_co_u32_e32 v29, vcc, v22, v29, vcc
	v_add_co_u32_e32 v34, vcc, s12, v9
	v_addc_co_u32_e32 v35, vcc, v22, v10, vcc
	v_mov_b32_e32 v10, v11
	v_add_u32_e32 v6, 8, v6
	s_waitcnt vmcnt(0)
	v_subrev_u32_e32 v7, s2, v7
	v_lshl_add_u32 v9, v7, 2, v7
	v_lshlrev_b64 v[30:31], 3, v[9:10]
	v_add_u32_e32 v10, 1, v9
	v_add_co_u32_e32 v30, vcc, s14, v30
	v_addc_co_u32_e32 v31, vcc, v23, v31, vcc
	global_load_dwordx2 v[38:39], v[24:25], off
	global_load_dwordx2 v[40:41], v[26:27], off
	;; [unrolled: 1-line block ×4, first 2 shown]
	s_nop 0
	global_load_dwordx4 v[24:27], v[32:33], off
	global_load_dwordx4 v[28:31], v[32:33], off offset:16
	v_lshlrev_b64 v[36:37], 3, v[10:11]
	v_add_u32_e32 v10, -13, v8
	v_add_co_u32_e32 v36, vcc, s14, v36
	v_addc_co_u32_e32 v37, vcc, v23, v37, vcc
	s_waitcnt vmcnt(2)
	v_fmac_f32_e32 v20, v40, v44
	v_fmac_f32_e32 v15, v41, v44
	;; [unrolled: 1-line block ×3, first 2 shown]
	s_waitcnt vmcnt(1)
	v_fmac_f32_e32 v19, v24, v44
	v_fma_f32 v41, -v41, v45, v20
	v_fmac_f32_e32 v15, v40, v45
	v_fma_f32 v40, -v43, v45, v18
	v_fma_f32 v20, -v25, v45, v19
	global_load_dwordx2 v[18:19], v[36:37], off
	v_fmac_f32_e32 v21, v38, v44
	v_fma_f32 v7, -v39, v45, v21
	v_fmac_f32_e32 v14, v25, v44
	v_fmac_f32_e32 v14, v24, v45
	;; [unrolled: 1-line block ×6, first 2 shown]
	s_waitcnt vmcnt(0)
	v_fmac_f32_e32 v20, v26, v18
	v_fma_f32 v46, -v27, v19, v20
	v_lshlrev_b64 v[20:21], 3, v[10:11]
	v_add_u32_e32 v10, -8, v8
	v_add_co_u32_e32 v20, vcc, s12, v20
	v_lshlrev_b64 v[24:25], 3, v[10:11]
	v_fmac_f32_e32 v14, v27, v18
	v_addc_co_u32_e32 v21, vcc, v22, v21, vcc
	v_add_u32_e32 v10, -3, v8
	v_fmac_f32_e32 v14, v26, v19
	v_add_co_u32_e32 v24, vcc, s12, v24
	v_lshlrev_b64 v[26:27], 3, v[10:11]
	v_addc_co_u32_e32 v25, vcc, v22, v25, vcc
	v_add_co_u32_e32 v26, vcc, s12, v26
	v_addc_co_u32_e32 v27, vcc, v22, v27, vcc
	global_load_dwordx2 v[32:33], v[20:21], off
	global_load_dwordx2 v[36:37], v[24:25], off
	global_load_dwordx2 v[38:39], v[26:27], off
	v_add_u32_e32 v10, 2, v9
	v_lshlrev_b64 v[20:21], 3, v[10:11]
	v_add_u32_e32 v10, -12, v8
	v_add_co_u32_e32 v20, vcc, s14, v20
	v_addc_co_u32_e32 v21, vcc, v23, v21, vcc
	s_waitcnt vmcnt(2)
	v_fmac_f32_e32 v7, v32, v18
	v_fmac_f32_e32 v17, v33, v18
	s_waitcnt vmcnt(1)
	v_fmac_f32_e32 v41, v36, v18
	v_fmac_f32_e32 v15, v37, v18
	;; [unrolled: 3-line block ×3, first 2 shown]
	v_fma_f32 v7, -v33, v19, v7
	v_fmac_f32_e32 v17, v32, v19
	v_fma_f32 v47, -v37, v19, v41
	v_fmac_f32_e32 v15, v36, v19
	;; [unrolled: 2-line block ×3, first 2 shown]
	v_lshlrev_b64 v[18:19], 3, v[10:11]
	v_add_u32_e32 v10, -7, v8
	v_add_co_u32_e32 v18, vcc, s12, v18
	v_lshlrev_b64 v[24:25], 3, v[10:11]
	v_addc_co_u32_e32 v19, vcc, v22, v19, vcc
	v_add_u32_e32 v10, -2, v8
	v_add_co_u32_e32 v24, vcc, s12, v24
	v_lshlrev_b64 v[26:27], 3, v[10:11]
	v_addc_co_u32_e32 v25, vcc, v22, v25, vcc
	v_add_u32_e32 v10, 3, v9
	v_add_co_u32_e32 v26, vcc, s12, v26
	v_lshlrev_b64 v[32:33], 3, v[10:11]
	v_addc_co_u32_e32 v27, vcc, v22, v27, vcc
	v_add_co_u32_e32 v32, vcc, s14, v32
	v_addc_co_u32_e32 v33, vcc, v23, v33, vcc
	global_load_dwordx2 v[38:39], v[20:21], off
	global_load_dwordx2 v[40:41], v[18:19], off
	;; [unrolled: 1-line block ×4, first 2 shown]
	v_add_u32_e32 v10, -11, v8
	global_load_dwordx2 v[20:21], v[32:33], off
	v_lshlrev_b64 v[36:37], 3, v[10:11]
	v_add_u32_e32 v10, -6, v8
	v_add_co_u32_e32 v36, vcc, s12, v36
	v_lshlrev_b64 v[18:19], 3, v[10:11]
	v_addc_co_u32_e32 v37, vcc, v22, v37, vcc
	v_add_u32_e32 v10, -1, v8
	v_add_co_u32_e32 v18, vcc, s12, v18
	v_addc_co_u32_e32 v19, vcc, v22, v19, vcc
	s_waitcnt vmcnt(4)
	v_fmac_f32_e32 v46, v28, v38
	v_fma_f32 v24, -v29, v39, v46
	s_waitcnt vmcnt(3)
	v_fmac_f32_e32 v7, v40, v38
	s_waitcnt vmcnt(1)
	v_fmac_f32_e32 v13, v45, v38
	v_fmac_f32_e32 v48, v44, v38
	s_waitcnt vmcnt(0)
	v_fmac_f32_e32 v24, v30, v20
	v_fmac_f32_e32 v13, v44, v39
	v_fma_f32 v44, -v31, v21, v24
	v_lshlrev_b64 v[24:25], 3, v[10:11]
	v_add_u32_e32 v10, -15, v8
	v_lshlrev_b64 v[26:27], 3, v[10:11]
	v_add_co_u32_e32 v24, vcc, s12, v24
	v_addc_co_u32_e32 v25, vcc, v22, v25, vcc
	v_fmac_f32_e32 v17, v41, v38
	v_fmac_f32_e32 v47, v42, v38
	;; [unrolled: 1-line block ×4, first 2 shown]
	v_add_co_u32_e32 v26, vcc, s12, v26
	v_fma_f32 v7, -v41, v39, v7
	v_fmac_f32_e32 v17, v40, v39
	v_fma_f32 v47, -v43, v39, v47
	v_fmac_f32_e32 v15, v42, v39
	;; [unrolled: 2-line block ×3, first 2 shown]
	v_addc_co_u32_e32 v27, vcc, v22, v27, vcc
	global_load_dwordx2 v[32:33], v[36:37], off
	global_load_dwordx2 v[38:39], v[18:19], off
	;; [unrolled: 1-line block ×4, first 2 shown]
	v_add_u32_e32 v10, 4, v9
	v_lshlrev_b64 v[9:10], 3, v[10:11]
	v_fmac_f32_e32 v14, v31, v20
	v_add_co_u32_e32 v28, vcc, s14, v9
	v_addc_co_u32_e32 v29, vcc, v23, v10, vcc
	v_add_u32_e32 v10, -10, v8
	v_lshlrev_b64 v[9:10], 3, v[10:11]
	v_fmac_f32_e32 v14, v30, v21
	v_add_co_u32_e32 v30, vcc, s12, v9
	v_addc_co_u32_e32 v31, vcc, v22, v10, vcc
	v_add_u32_e32 v10, -5, v8
	v_lshlrev_b64 v[9:10], 3, v[10:11]
	v_add_u32_e32 v8, 0xa0, v8
	v_add_co_u32_e32 v9, vcc, s12, v9
	v_addc_co_u32_e32 v10, vcc, v22, v10, vcc
	v_cmp_ge_i32_e32 vcc, v6, v16
	s_or_b64 s[0:1], vcc, s[0:1]
	s_waitcnt vmcnt(3)
	v_fmac_f32_e32 v7, v32, v20
	v_fmac_f32_e32 v17, v33, v20
	v_fma_f32 v7, -v33, v21, v7
	v_fmac_f32_e32 v17, v32, v21
	global_load_dwordx2 v[24:25], v[28:29], off
	global_load_dwordx2 v[26:27], v[30:31], off
	;; [unrolled: 1-line block ×4, first 2 shown]
	s_waitcnt vmcnt(6)
	v_fmac_f32_e32 v47, v38, v20
	v_fmac_f32_e32 v15, v39, v20
	s_waitcnt vmcnt(5)
	v_fmac_f32_e32 v45, v40, v20
	v_fmac_f32_e32 v13, v41, v20
	v_fma_f32 v18, -v39, v21, v47
	v_fmac_f32_e32 v15, v38, v21
	v_fma_f32 v9, -v41, v21, v45
	v_fmac_f32_e32 v13, v40, v21
	s_waitcnt vmcnt(3)
	v_fmac_f32_e32 v44, v42, v24
	v_fmac_f32_e32 v14, v43, v24
	s_waitcnt vmcnt(2)
	v_fmac_f32_e32 v7, v26, v24
	;; [unrolled: 3-line block ×4, first 2 shown]
	v_fmac_f32_e32 v13, v37, v24
	v_fma_f32 v19, -v43, v25, v44
	v_fmac_f32_e32 v14, v42, v25
	v_fma_f32 v21, -v27, v25, v7
	;; [unrolled: 2-line block ×4, first 2 shown]
	v_fmac_f32_e32 v13, v36, v25
	s_andn2_b64 exec, exec, s[0:1]
	s_cbranch_execnz .LBB90_13
; %bb.14:
	s_or_b64 exec, exec, s[0:1]
.LBB90_15:
	s_or_b64 exec, exec, s[6:7]
.LBB90_16:
	v_mov_b32_dpp v10, v21 row_shr:1 row_mask:0xf bank_mask:0xf
	v_add_f32_e32 v10, v21, v10
	v_mov_b32_dpp v6, v19 row_shr:1 row_mask:0xf bank_mask:0xf
	v_add_f32_e32 v6, v19, v6
	;; [unrolled: 2-line block ×7, first 2 shown]
	v_mov_b32_dpp v7, v6 row_shr:2 row_mask:0xf bank_mask:0xf
	v_mov_b32_dpp v9, v8 row_shr:2 row_mask:0xf bank_mask:0xf
	;; [unrolled: 1-line block ×3, first 2 shown]
	v_add_f32_e32 v19, v10, v12
	v_mov_b32_dpp v10, v15 row_shr:1 row_mask:0xf bank_mask:0xf
	v_add_f32_e32 v10, v15, v10
	v_add_f32_e32 v6, v6, v7
	;; [unrolled: 1-line block ×3, first 2 shown]
	v_mov_b32_dpp v12, v10 row_shr:2 row_mask:0xf bank_mask:0xf
	v_add_f32_e32 v15, v10, v12
	v_mov_b32_dpp v10, v18 row_shr:1 row_mask:0xf bank_mask:0xf
	v_add_f32_e32 v10, v18, v10
	v_mov_b32_dpp v7, v6 row_shr:4 row_mask:0xf bank_mask:0xe
	v_mov_b32_dpp v9, v8 row_shr:4 row_mask:0xf bank_mask:0xe
	;; [unrolled: 1-line block ×3, first 2 shown]
	v_add_f32_e32 v18, v10, v12
	v_mov_b32_dpp v10, v13 row_shr:1 row_mask:0xf bank_mask:0xf
	v_add_f32_e32 v10, v13, v10
	v_mov_b32_dpp v14, v11 row_shr:4 row_mask:0xf bank_mask:0xe
	v_mov_b32_dpp v17, v16 row_shr:4 row_mask:0xf bank_mask:0xe
	v_mov_b32_dpp v12, v10 row_shr:2 row_mask:0xf bank_mask:0xf
	v_add_f32_e32 v13, v10, v12
	v_mov_b32_dpp v20, v19 row_shr:4 row_mask:0xf bank_mask:0xe
	v_mov_b32_dpp v21, v15 row_shr:4 row_mask:0xf bank_mask:0xe
	;; [unrolled: 1-line block ×4, first 2 shown]
	v_cmp_eq_u32_e32 vcc, 7, v0
	s_and_b64 exec, exec, vcc
	s_cbranch_execz .LBB90_21
; %bb.17:
	s_load_dwordx2 s[2:3], s[4:5], 0x38
	v_cmp_eq_f32_e32 vcc, 0, v3
	v_cmp_eq_f32_e64 s[0:1], 0, v4
	v_add_f32_e32 v10, v6, v7
	v_add_f32_e32 v12, v8, v9
	;; [unrolled: 1-line block ×8, first 2 shown]
	s_and_b64 s[0:1], vcc, s[0:1]
	s_and_saveexec_b64 s[4:5], s[0:1]
	s_xor_b64 s[0:1], exec, s[4:5]
	s_cbranch_execz .LBB90_19
; %bb.18:
	v_lshlrev_b32_e32 v3, 2, v5
	v_ashrrev_i32_e32 v4, 31, v3
	v_lshlrev_b64 v[3:4], 3, v[3:4]
	s_waitcnt lgkmcnt(0)
	v_mov_b32_e32 v5, s3
	v_add_co_u32_e32 v17, vcc, s2, v3
	v_addc_co_u32_e32 v18, vcc, v5, v4, vcc
	v_mul_f32_e64 v3, v9, -v2
	v_mul_f32_e32 v4, v1, v9
	v_mul_f32_e64 v13, v12, -v2
	v_mul_f32_e32 v14, v1, v12
	v_mul_f32_e64 v15, v11, -v2
	v_mul_f32_e32 v16, v1, v11
	v_fmac_f32_e32 v3, v1, v6
	v_fmac_f32_e32 v4, v2, v6
	v_mul_f32_e64 v5, v7, -v2
	v_mul_f32_e32 v6, v1, v7
	v_fmac_f32_e32 v13, v1, v10
	v_fmac_f32_e32 v14, v2, v10
	;; [unrolled: 1-line block ×6, first 2 shown]
	global_store_dwordx4 v[17:18], v[13:16], off
	global_store_dwordx4 v[17:18], v[3:6], off offset:16
                                        ; implicit-def: $vgpr5
                                        ; implicit-def: $vgpr10
                                        ; implicit-def: $vgpr12
                                        ; implicit-def: $vgpr8
                                        ; implicit-def: $vgpr11
                                        ; implicit-def: $vgpr6
                                        ; implicit-def: $vgpr9
                                        ; implicit-def: $vgpr0
                                        ; implicit-def: $vgpr7
                                        ; implicit-def: $vgpr1_vgpr2
                                        ; implicit-def: $vgpr3_vgpr4
.LBB90_19:
	s_andn2_saveexec_b64 s[0:1], s[0:1]
	s_cbranch_execz .LBB90_21
; %bb.20:
	v_lshlrev_b32_e32 v13, 2, v5
	v_ashrrev_i32_e32 v14, 31, v13
	v_lshlrev_b64 v[13:14], 3, v[13:14]
	s_waitcnt lgkmcnt(0)
	v_mov_b32_e32 v5, s3
	v_add_co_u32_e32 v25, vcc, s2, v13
	v_addc_co_u32_e32 v26, vcc, v5, v14, vcc
	global_load_dwordx4 v[13:16], v[25:26], off
	global_load_dwordx4 v[17:20], v[25:26], off offset:16
	v_mul_f32_e64 v5, v12, -v2
	v_mul_f32_e32 v22, v1, v12
	v_mul_f32_e64 v12, v11, -v2
	v_mul_f32_e32 v24, v1, v11
	;; [unrolled: 2-line block ×4, first 2 shown]
	v_fmac_f32_e32 v5, v1, v10
	v_fmac_f32_e32 v22, v2, v10
	;; [unrolled: 1-line block ×8, first 2 shown]
	s_waitcnt vmcnt(1)
	v_fmac_f32_e32 v5, v3, v13
	v_fmac_f32_e32 v22, v4, v13
	;; [unrolled: 1-line block ×4, first 2 shown]
	s_waitcnt vmcnt(0)
	v_fmac_f32_e32 v27, v3, v17
	v_fmac_f32_e32 v9, v4, v17
	;; [unrolled: 1-line block ×4, first 2 shown]
	v_fma_f32 v21, -v4, v14, v5
	v_fmac_f32_e32 v22, v3, v14
	v_fma_f32 v23, -v4, v16, v12
	v_fmac_f32_e32 v24, v3, v16
	;; [unrolled: 2-line block ×4, first 2 shown]
	global_store_dwordx4 v[25:26], v[21:24], off
	global_store_dwordx4 v[25:26], v[8:11], off offset:16
.LBB90_21:
	s_endpgm
	.section	.rodata,"a",@progbits
	.p2align	6, 0x0
	.amdhsa_kernel _ZN9rocsparseL19gebsrmvn_4xn_kernelILj128ELj5ELj8E21rocsparse_complex_numIfEEEvi20rocsparse_direction_NS_24const_host_device_scalarIT2_EEPKiS8_PKS5_SA_S6_PS5_21rocsparse_index_base_b
		.amdhsa_group_segment_fixed_size 0
		.amdhsa_private_segment_fixed_size 0
		.amdhsa_kernarg_size 72
		.amdhsa_user_sgpr_count 6
		.amdhsa_user_sgpr_private_segment_buffer 1
		.amdhsa_user_sgpr_dispatch_ptr 0
		.amdhsa_user_sgpr_queue_ptr 0
		.amdhsa_user_sgpr_kernarg_segment_ptr 1
		.amdhsa_user_sgpr_dispatch_id 0
		.amdhsa_user_sgpr_flat_scratch_init 0
		.amdhsa_user_sgpr_private_segment_size 0
		.amdhsa_uses_dynamic_stack 0
		.amdhsa_system_sgpr_private_segment_wavefront_offset 0
		.amdhsa_system_sgpr_workgroup_id_x 1
		.amdhsa_system_sgpr_workgroup_id_y 0
		.amdhsa_system_sgpr_workgroup_id_z 0
		.amdhsa_system_sgpr_workgroup_info 0
		.amdhsa_system_vgpr_workitem_id 0
		.amdhsa_next_free_vgpr 54
		.amdhsa_next_free_sgpr 16
		.amdhsa_reserve_vcc 1
		.amdhsa_reserve_flat_scratch 0
		.amdhsa_float_round_mode_32 0
		.amdhsa_float_round_mode_16_64 0
		.amdhsa_float_denorm_mode_32 3
		.amdhsa_float_denorm_mode_16_64 3
		.amdhsa_dx10_clamp 1
		.amdhsa_ieee_mode 1
		.amdhsa_fp16_overflow 0
		.amdhsa_exception_fp_ieee_invalid_op 0
		.amdhsa_exception_fp_denorm_src 0
		.amdhsa_exception_fp_ieee_div_zero 0
		.amdhsa_exception_fp_ieee_overflow 0
		.amdhsa_exception_fp_ieee_underflow 0
		.amdhsa_exception_fp_ieee_inexact 0
		.amdhsa_exception_int_div_zero 0
	.end_amdhsa_kernel
	.section	.text._ZN9rocsparseL19gebsrmvn_4xn_kernelILj128ELj5ELj8E21rocsparse_complex_numIfEEEvi20rocsparse_direction_NS_24const_host_device_scalarIT2_EEPKiS8_PKS5_SA_S6_PS5_21rocsparse_index_base_b,"axG",@progbits,_ZN9rocsparseL19gebsrmvn_4xn_kernelILj128ELj5ELj8E21rocsparse_complex_numIfEEEvi20rocsparse_direction_NS_24const_host_device_scalarIT2_EEPKiS8_PKS5_SA_S6_PS5_21rocsparse_index_base_b,comdat
.Lfunc_end90:
	.size	_ZN9rocsparseL19gebsrmvn_4xn_kernelILj128ELj5ELj8E21rocsparse_complex_numIfEEEvi20rocsparse_direction_NS_24const_host_device_scalarIT2_EEPKiS8_PKS5_SA_S6_PS5_21rocsparse_index_base_b, .Lfunc_end90-_ZN9rocsparseL19gebsrmvn_4xn_kernelILj128ELj5ELj8E21rocsparse_complex_numIfEEEvi20rocsparse_direction_NS_24const_host_device_scalarIT2_EEPKiS8_PKS5_SA_S6_PS5_21rocsparse_index_base_b
                                        ; -- End function
	.set _ZN9rocsparseL19gebsrmvn_4xn_kernelILj128ELj5ELj8E21rocsparse_complex_numIfEEEvi20rocsparse_direction_NS_24const_host_device_scalarIT2_EEPKiS8_PKS5_SA_S6_PS5_21rocsparse_index_base_b.num_vgpr, 54
	.set _ZN9rocsparseL19gebsrmvn_4xn_kernelILj128ELj5ELj8E21rocsparse_complex_numIfEEEvi20rocsparse_direction_NS_24const_host_device_scalarIT2_EEPKiS8_PKS5_SA_S6_PS5_21rocsparse_index_base_b.num_agpr, 0
	.set _ZN9rocsparseL19gebsrmvn_4xn_kernelILj128ELj5ELj8E21rocsparse_complex_numIfEEEvi20rocsparse_direction_NS_24const_host_device_scalarIT2_EEPKiS8_PKS5_SA_S6_PS5_21rocsparse_index_base_b.numbered_sgpr, 16
	.set _ZN9rocsparseL19gebsrmvn_4xn_kernelILj128ELj5ELj8E21rocsparse_complex_numIfEEEvi20rocsparse_direction_NS_24const_host_device_scalarIT2_EEPKiS8_PKS5_SA_S6_PS5_21rocsparse_index_base_b.num_named_barrier, 0
	.set _ZN9rocsparseL19gebsrmvn_4xn_kernelILj128ELj5ELj8E21rocsparse_complex_numIfEEEvi20rocsparse_direction_NS_24const_host_device_scalarIT2_EEPKiS8_PKS5_SA_S6_PS5_21rocsparse_index_base_b.private_seg_size, 0
	.set _ZN9rocsparseL19gebsrmvn_4xn_kernelILj128ELj5ELj8E21rocsparse_complex_numIfEEEvi20rocsparse_direction_NS_24const_host_device_scalarIT2_EEPKiS8_PKS5_SA_S6_PS5_21rocsparse_index_base_b.uses_vcc, 1
	.set _ZN9rocsparseL19gebsrmvn_4xn_kernelILj128ELj5ELj8E21rocsparse_complex_numIfEEEvi20rocsparse_direction_NS_24const_host_device_scalarIT2_EEPKiS8_PKS5_SA_S6_PS5_21rocsparse_index_base_b.uses_flat_scratch, 0
	.set _ZN9rocsparseL19gebsrmvn_4xn_kernelILj128ELj5ELj8E21rocsparse_complex_numIfEEEvi20rocsparse_direction_NS_24const_host_device_scalarIT2_EEPKiS8_PKS5_SA_S6_PS5_21rocsparse_index_base_b.has_dyn_sized_stack, 0
	.set _ZN9rocsparseL19gebsrmvn_4xn_kernelILj128ELj5ELj8E21rocsparse_complex_numIfEEEvi20rocsparse_direction_NS_24const_host_device_scalarIT2_EEPKiS8_PKS5_SA_S6_PS5_21rocsparse_index_base_b.has_recursion, 0
	.set _ZN9rocsparseL19gebsrmvn_4xn_kernelILj128ELj5ELj8E21rocsparse_complex_numIfEEEvi20rocsparse_direction_NS_24const_host_device_scalarIT2_EEPKiS8_PKS5_SA_S6_PS5_21rocsparse_index_base_b.has_indirect_call, 0
	.section	.AMDGPU.csdata,"",@progbits
; Kernel info:
; codeLenInByte = 3204
; TotalNumSgprs: 20
; NumVgprs: 54
; ScratchSize: 0
; MemoryBound: 0
; FloatMode: 240
; IeeeMode: 1
; LDSByteSize: 0 bytes/workgroup (compile time only)
; SGPRBlocks: 2
; VGPRBlocks: 13
; NumSGPRsForWavesPerEU: 20
; NumVGPRsForWavesPerEU: 54
; Occupancy: 4
; WaveLimiterHint : 1
; COMPUTE_PGM_RSRC2:SCRATCH_EN: 0
; COMPUTE_PGM_RSRC2:USER_SGPR: 6
; COMPUTE_PGM_RSRC2:TRAP_HANDLER: 0
; COMPUTE_PGM_RSRC2:TGID_X_EN: 1
; COMPUTE_PGM_RSRC2:TGID_Y_EN: 0
; COMPUTE_PGM_RSRC2:TGID_Z_EN: 0
; COMPUTE_PGM_RSRC2:TIDIG_COMP_CNT: 0
	.section	.text._ZN9rocsparseL19gebsrmvn_4xn_kernelILj128ELj5ELj16E21rocsparse_complex_numIfEEEvi20rocsparse_direction_NS_24const_host_device_scalarIT2_EEPKiS8_PKS5_SA_S6_PS5_21rocsparse_index_base_b,"axG",@progbits,_ZN9rocsparseL19gebsrmvn_4xn_kernelILj128ELj5ELj16E21rocsparse_complex_numIfEEEvi20rocsparse_direction_NS_24const_host_device_scalarIT2_EEPKiS8_PKS5_SA_S6_PS5_21rocsparse_index_base_b,comdat
	.globl	_ZN9rocsparseL19gebsrmvn_4xn_kernelILj128ELj5ELj16E21rocsparse_complex_numIfEEEvi20rocsparse_direction_NS_24const_host_device_scalarIT2_EEPKiS8_PKS5_SA_S6_PS5_21rocsparse_index_base_b ; -- Begin function _ZN9rocsparseL19gebsrmvn_4xn_kernelILj128ELj5ELj16E21rocsparse_complex_numIfEEEvi20rocsparse_direction_NS_24const_host_device_scalarIT2_EEPKiS8_PKS5_SA_S6_PS5_21rocsparse_index_base_b
	.p2align	8
	.type	_ZN9rocsparseL19gebsrmvn_4xn_kernelILj128ELj5ELj16E21rocsparse_complex_numIfEEEvi20rocsparse_direction_NS_24const_host_device_scalarIT2_EEPKiS8_PKS5_SA_S6_PS5_21rocsparse_index_base_b,@function
_ZN9rocsparseL19gebsrmvn_4xn_kernelILj128ELj5ELj16E21rocsparse_complex_numIfEEEvi20rocsparse_direction_NS_24const_host_device_scalarIT2_EEPKiS8_PKS5_SA_S6_PS5_21rocsparse_index_base_b: ; @_ZN9rocsparseL19gebsrmvn_4xn_kernelILj128ELj5ELj16E21rocsparse_complex_numIfEEEvi20rocsparse_direction_NS_24const_host_device_scalarIT2_EEPKiS8_PKS5_SA_S6_PS5_21rocsparse_index_base_b
; %bb.0:
	s_load_dwordx2 s[0:1], s[4:5], 0x8
	s_load_dwordx2 s[8:9], s[4:5], 0x30
	;; [unrolled: 1-line block ×3, first 2 shown]
	s_add_u32 s7, s4, 8
	s_addc_u32 s10, s5, 0
	s_add_u32 s11, s4, 48
	s_addc_u32 s12, s5, 0
	s_waitcnt lgkmcnt(0)
	s_bitcmp1_b32 s3, 0
	s_cselect_b32 s1, s10, s1
	s_cselect_b32 s0, s7, s0
	v_mov_b32_e32 v1, s0
	v_mov_b32_e32 v2, s1
	flat_load_dwordx2 v[1:2], v[1:2]
	s_cselect_b32 s0, s12, s9
	s_cselect_b32 s1, s11, s8
	v_mov_b32_e32 v3, s1
	v_mov_b32_e32 v4, s0
	flat_load_dwordx2 v[3:4], v[3:4]
	s_waitcnt vmcnt(0) lgkmcnt(0)
	v_cmp_eq_f32_e32 vcc, 0, v1
	v_cmp_eq_f32_e64 s[0:1], 0, v2
	s_and_b64 s[10:11], vcc, s[0:1]
	s_mov_b64 s[0:1], -1
	s_and_saveexec_b64 s[8:9], s[10:11]
; %bb.1:
	v_cmp_neq_f32_e32 vcc, 1.0, v3
	v_cmp_neq_f32_e64 s[0:1], 0, v4
	s_or_b64 s[0:1], vcc, s[0:1]
	s_orn2_b64 s[0:1], s[0:1], exec
; %bb.2:
	s_or_b64 exec, exec, s[8:9]
	s_and_saveexec_b64 s[8:9], s[0:1]
	s_cbranch_execz .LBB91_21
; %bb.3:
	s_load_dwordx2 s[0:1], s[4:5], 0x0
	v_lshrrev_b32_e32 v5, 4, v0
	v_lshl_or_b32 v5, s6, 3, v5
	s_waitcnt lgkmcnt(0)
	v_cmp_gt_i32_e32 vcc, s0, v5
	s_and_b64 exec, exec, vcc
	s_cbranch_execz .LBB91_21
; %bb.4:
	s_load_dwordx8 s[8:15], s[4:5], 0x10
	v_ashrrev_i32_e32 v6, 31, v5
	v_lshlrev_b64 v[6:7], 2, v[5:6]
	v_and_b32_e32 v0, 15, v0
	s_cmp_lg_u32 s1, 0
	s_waitcnt lgkmcnt(0)
	v_mov_b32_e32 v8, s9
	v_add_co_u32_e32 v6, vcc, s8, v6
	v_addc_co_u32_e32 v7, vcc, v8, v7, vcc
	global_load_dwordx2 v[6:7], v[6:7], off
	s_waitcnt vmcnt(0)
	v_subrev_u32_e32 v6, s2, v6
	v_subrev_u32_e32 v16, s2, v7
	v_add_u32_e32 v6, v6, v0
	v_cmp_lt_i32_e64 s[0:1], v6, v16
	s_cbranch_scc0 .LBB91_10
; %bb.5:
	v_mov_b32_e32 v15, 0
	v_mov_b32_e32 v20, 0
	;; [unrolled: 1-line block ×8, first 2 shown]
	s_and_saveexec_b64 s[6:7], s[0:1]
	s_cbranch_execz .LBB91_9
; %bb.6:
	v_mad_u64_u32 v[7:8], s[8:9], v6, 20, 16
	v_mov_b32_e32 v10, 0
	s_mov_b64 s[8:9], 0
	v_mov_b32_e32 v22, s11
	v_mov_b32_e32 v23, s13
	;; [unrolled: 1-line block ×12, first 2 shown]
.LBB91_7:                               ; =>This Inner Loop Header: Depth=1
	v_ashrrev_i32_e32 v12, 31, v11
	v_lshlrev_b64 v[25:26], 2, v[11:12]
	v_add_u32_e32 v9, -16, v7
	v_lshlrev_b64 v[27:28], 3, v[9:10]
	v_add_co_u32_e32 v33, vcc, s10, v25
	v_mov_b32_e32 v8, v10
	v_addc_co_u32_e32 v34, vcc, v22, v26, vcc
	v_lshlrev_b64 v[29:30], 3, v[7:8]
	v_add_co_u32_e32 v35, vcc, s12, v27
	v_addc_co_u32_e32 v36, vcc, v23, v28, vcc
	v_add_co_u32_e32 v41, vcc, s12, v29
	v_addc_co_u32_e32 v42, vcc, v23, v30, vcc
	global_load_dword v12, v[33:34], off
	global_load_dwordx4 v[25:28], v[35:36], off
	global_load_dwordx4 v[29:32], v[35:36], off offset:16
	v_add_u32_e32 v9, -12, v7
	v_lshlrev_b64 v[8:9], 3, v[9:10]
	v_mov_b32_e32 v46, v10
	v_add_co_u32_e32 v8, vcc, s12, v8
	global_load_dwordx4 v[33:36], v[41:42], off
	global_load_dwordx4 v[37:40], v[41:42], off offset:16
	v_addc_co_u32_e32 v9, vcc, v23, v9, vcc
	v_add_u32_e32 v11, 16, v11
	s_waitcnt vmcnt(4)
	v_subrev_u32_e32 v12, s2, v12
	v_lshl_add_u32 v45, v12, 2, v12
	v_lshlrev_b64 v[41:42], 3, v[45:46]
	v_add_co_u32_e32 v46, vcc, s14, v41
	v_addc_co_u32_e32 v47, vcc, v24, v42, vcc
	global_load_dwordx4 v[41:44], v[8:9], off
	global_load_dwordx2 v[48:49], v[46:47], off
	s_waitcnt vmcnt(0)
	v_fmac_f32_e32 v20, v25, v48
	v_fmac_f32_e32 v15, v26, v48
	;; [unrolled: 1-line block ×4, first 2 shown]
	v_fma_f32 v12, -v26, v49, v20
	v_fmac_f32_e32 v15, v25, v49
	v_fma_f32 v50, -v28, v49, v21
	v_fmac_f32_e32 v17, v27, v49
	global_load_dwordx4 v[25:28], v[8:9], off offset:16
	v_add_u32_e32 v9, 1, v45
	v_lshlrev_b64 v[20:21], 3, v[9:10]
	v_fmac_f32_e32 v18, v31, v48
	v_add_co_u32_e32 v20, vcc, s14, v20
	v_fmac_f32_e32 v13, v32, v48
	v_addc_co_u32_e32 v21, vcc, v24, v21, vcc
	v_fma_f32 v51, -v32, v49, v18
	v_fmac_f32_e32 v13, v31, v49
	global_load_dwordx2 v[31:32], v[20:21], off
	v_add_u32_e32 v9, -8, v7
	v_fmac_f32_e32 v19, v29, v48
	v_fma_f32 v8, -v30, v49, v19
	v_lshlrev_b64 v[18:19], 3, v[9:10]
	v_fmac_f32_e32 v14, v30, v48
	v_add_u32_e32 v9, 2, v45
	v_fmac_f32_e32 v14, v29, v49
	v_lshlrev_b64 v[29:30], 3, v[9:10]
	v_add_co_u32_e32 v46, vcc, s12, v18
	v_addc_co_u32_e32 v47, vcc, v23, v19, vcc
	v_add_co_u32_e32 v29, vcc, s14, v29
	v_addc_co_u32_e32 v30, vcc, v24, v30, vcc
	global_load_dwordx4 v[18:21], v[46:47], off
	v_add_u32_e32 v9, -4, v7
	v_lshlrev_b64 v[48:49], 3, v[9:10]
	v_add_u32_e32 v9, 3, v45
	v_add_u32_e32 v7, 0x140, v7
	s_waitcnt vmcnt(1)
	v_fmac_f32_e32 v12, v41, v31
	v_fmac_f32_e32 v15, v42, v31
	v_fma_f32 v12, -v42, v32, v12
	v_fmac_f32_e32 v15, v41, v32
	global_load_dwordx2 v[41:42], v[29:30], off
	v_fmac_f32_e32 v50, v43, v31
	v_fmac_f32_e32 v17, v44, v31
	;; [unrolled: 1-line block ×6, first 2 shown]
	v_fma_f32 v50, -v44, v32, v50
	v_fmac_f32_e32 v17, v43, v32
	v_fma_f32 v52, -v26, v32, v8
	v_fmac_f32_e32 v14, v25, v32
	;; [unrolled: 2-line block ×3, first 2 shown]
	v_lshlrev_b64 v[31:32], 3, v[9:10]
	v_add_co_u32_e32 v43, vcc, s12, v48
	v_add_u32_e32 v9, 4, v45
	v_addc_co_u32_e32 v44, vcc, v23, v49, vcc
	global_load_dwordx4 v[25:28], v[46:47], off offset:16
	v_lshlrev_b64 v[8:9], 3, v[9:10]
	v_add_co_u32_e32 v45, vcc, s14, v31
	s_waitcnt vmcnt(1)
	v_fmac_f32_e32 v12, v18, v41
	v_fmac_f32_e32 v15, v19, v41
	;; [unrolled: 1-line block ×4, first 2 shown]
	v_fma_f32 v12, -v19, v42, v12
	v_fmac_f32_e32 v15, v18, v42
	v_fma_f32 v53, -v21, v42, v50
	v_fmac_f32_e32 v17, v20, v42
	global_load_dwordx4 v[18:21], v[43:44], off
	v_addc_co_u32_e32 v46, vcc, v24, v32, vcc
	v_add_co_u32_e32 v8, vcc, s14, v8
	v_addc_co_u32_e32 v9, vcc, v24, v9, vcc
	global_load_dwordx4 v[29:32], v[43:44], off offset:16
	global_load_dwordx2 v[47:48], v[45:46], off
	global_load_dwordx2 v[49:50], v[8:9], off
	v_cmp_ge_i32_e32 vcc, v11, v16
	s_or_b64 s[8:9], vcc, s[8:9]
	s_waitcnt vmcnt(4)
	v_fmac_f32_e32 v52, v25, v41
	v_fmac_f32_e32 v14, v26, v41
	v_fmac_f32_e32 v51, v27, v41
	v_fmac_f32_e32 v13, v28, v41
	v_fma_f32 v8, -v26, v42, v52
	v_fmac_f32_e32 v14, v25, v42
	v_fma_f32 v9, -v28, v42, v51
	v_fmac_f32_e32 v13, v27, v42
	s_waitcnt vmcnt(1)
	v_fmac_f32_e32 v12, v18, v47
	v_fmac_f32_e32 v15, v19, v47
	;; [unrolled: 1-line block ×8, first 2 shown]
	v_fma_f32 v12, -v19, v48, v12
	v_fmac_f32_e32 v15, v18, v48
	v_fma_f32 v18, -v21, v48, v53
	v_fmac_f32_e32 v17, v20, v48
	;; [unrolled: 2-line block ×4, first 2 shown]
	s_waitcnt vmcnt(0)
	v_fmac_f32_e32 v12, v33, v49
	v_fmac_f32_e32 v15, v34, v49
	;; [unrolled: 1-line block ×8, first 2 shown]
	v_fma_f32 v20, -v34, v50, v12
	v_fmac_f32_e32 v15, v33, v50
	v_fma_f32 v21, -v36, v50, v18
	v_fmac_f32_e32 v17, v35, v50
	;; [unrolled: 2-line block ×4, first 2 shown]
	s_andn2_b64 exec, exec, s[8:9]
	s_cbranch_execnz .LBB91_7
; %bb.8:
	s_or_b64 exec, exec, s[8:9]
.LBB91_9:
	s_or_b64 exec, exec, s[6:7]
	s_cbranch_execz .LBB91_11
	s_branch .LBB91_16
.LBB91_10:
                                        ; implicit-def: $vgpr15
                                        ; implicit-def: $vgpr20
                                        ; implicit-def: $vgpr18
                                        ; implicit-def: $vgpr13
                                        ; implicit-def: $vgpr19
                                        ; implicit-def: $vgpr14
                                        ; implicit-def: $vgpr21
                                        ; implicit-def: $vgpr17
.LBB91_11:
	v_mov_b32_e32 v15, 0
	v_mov_b32_e32 v20, 0
	;; [unrolled: 1-line block ×8, first 2 shown]
	s_and_saveexec_b64 s[6:7], s[0:1]
	s_cbranch_execz .LBB91_15
; %bb.12:
	v_mad_u64_u32 v[8:9], s[0:1], v6, 20, 19
	v_mov_b32_e32 v11, 0
	s_mov_b64 s[0:1], 0
	v_mov_b32_e32 v12, s11
	v_mov_b32_e32 v22, s13
	;; [unrolled: 1-line block ×11, first 2 shown]
.LBB91_13:                              ; =>This Inner Loop Header: Depth=1
	v_ashrrev_i32_e32 v7, 31, v6
	v_lshlrev_b64 v[30:31], 2, v[6:7]
	v_subrev_u32_e32 v10, 19, v8
	v_add_co_u32_e32 v30, vcc, s10, v30
	v_addc_co_u32_e32 v31, vcc, v12, v31, vcc
	global_load_dword v7, v[30:31], off
	v_lshlrev_b64 v[32:33], 3, v[10:11]
	v_add_u32_e32 v24, -14, v8
	v_mov_b32_e32 v25, v11
	v_lshlrev_b64 v[24:25], 3, v[24:25]
	v_add_co_u32_e32 v32, vcc, s12, v32
	v_add_u32_e32 v26, -9, v8
	v_mov_b32_e32 v27, v11
	v_addc_co_u32_e32 v33, vcc, v22, v33, vcc
	v_lshlrev_b64 v[26:27], 3, v[26:27]
	v_add_co_u32_e32 v24, vcc, s12, v24
	v_add_u32_e32 v28, -4, v8
	v_mov_b32_e32 v29, v11
	v_addc_co_u32_e32 v25, vcc, v22, v25, vcc
	v_lshlrev_b64 v[28:29], 3, v[28:29]
	v_add_co_u32_e32 v26, vcc, s12, v26
	v_mov_b32_e32 v9, v11
	v_addc_co_u32_e32 v27, vcc, v22, v27, vcc
	v_lshlrev_b64 v[9:10], 3, v[8:9]
	v_add_co_u32_e32 v28, vcc, s12, v28
	v_addc_co_u32_e32 v29, vcc, v22, v29, vcc
	v_add_co_u32_e32 v34, vcc, s12, v9
	v_addc_co_u32_e32 v35, vcc, v22, v10, vcc
	v_mov_b32_e32 v10, v11
	v_add_u32_e32 v6, 16, v6
	s_waitcnt vmcnt(0)
	v_subrev_u32_e32 v7, s2, v7
	v_lshl_add_u32 v9, v7, 2, v7
	v_lshlrev_b64 v[30:31], 3, v[9:10]
	v_add_u32_e32 v10, 1, v9
	v_add_co_u32_e32 v30, vcc, s14, v30
	v_addc_co_u32_e32 v31, vcc, v23, v31, vcc
	global_load_dwordx2 v[38:39], v[24:25], off
	global_load_dwordx2 v[40:41], v[26:27], off
	;; [unrolled: 1-line block ×4, first 2 shown]
	v_lshlrev_b64 v[36:37], 3, v[10:11]
	global_load_dwordx4 v[24:27], v[32:33], off
	global_load_dwordx4 v[28:31], v[32:33], off offset:16
	v_add_co_u32_e32 v36, vcc, s14, v36
	v_addc_co_u32_e32 v37, vcc, v23, v37, vcc
	v_add_u32_e32 v10, -13, v8
	s_waitcnt vmcnt(2)
	v_fmac_f32_e32 v19, v40, v44
	v_fmac_f32_e32 v14, v41, v44
	;; [unrolled: 1-line block ×3, first 2 shown]
	v_fma_f32 v41, -v41, v45, v19
	v_fmac_f32_e32 v14, v40, v45
	v_fma_f32 v40, -v43, v45, v18
	global_load_dwordx2 v[18:19], v[36:37], off
	s_waitcnt vmcnt(2)
	v_fmac_f32_e32 v20, v24, v44
	v_fma_f32 v20, -v25, v45, v20
	v_fmac_f32_e32 v21, v38, v44
	v_fma_f32 v7, -v39, v45, v21
	v_fmac_f32_e32 v15, v25, v44
	v_fmac_f32_e32 v15, v24, v45
	;; [unrolled: 1-line block ×6, first 2 shown]
	s_waitcnt vmcnt(0)
	v_fmac_f32_e32 v20, v26, v18
	v_fma_f32 v46, -v27, v19, v20
	v_lshlrev_b64 v[20:21], 3, v[10:11]
	v_add_u32_e32 v10, -8, v8
	v_add_co_u32_e32 v20, vcc, s12, v20
	v_lshlrev_b64 v[24:25], 3, v[10:11]
	v_fmac_f32_e32 v15, v27, v18
	v_addc_co_u32_e32 v21, vcc, v22, v21, vcc
	v_add_u32_e32 v10, -3, v8
	v_fmac_f32_e32 v15, v26, v19
	v_add_co_u32_e32 v24, vcc, s12, v24
	v_lshlrev_b64 v[26:27], 3, v[10:11]
	v_addc_co_u32_e32 v25, vcc, v22, v25, vcc
	v_add_co_u32_e32 v26, vcc, s12, v26
	v_addc_co_u32_e32 v27, vcc, v22, v27, vcc
	global_load_dwordx2 v[32:33], v[20:21], off
	global_load_dwordx2 v[36:37], v[24:25], off
	;; [unrolled: 1-line block ×3, first 2 shown]
	v_add_u32_e32 v10, 2, v9
	v_lshlrev_b64 v[20:21], 3, v[10:11]
	v_add_u32_e32 v10, -12, v8
	v_add_co_u32_e32 v20, vcc, s14, v20
	v_addc_co_u32_e32 v21, vcc, v23, v21, vcc
	s_waitcnt vmcnt(2)
	v_fmac_f32_e32 v7, v32, v18
	v_fmac_f32_e32 v17, v33, v18
	s_waitcnt vmcnt(1)
	v_fmac_f32_e32 v41, v36, v18
	v_fmac_f32_e32 v14, v37, v18
	;; [unrolled: 3-line block ×3, first 2 shown]
	v_fma_f32 v7, -v33, v19, v7
	v_fmac_f32_e32 v17, v32, v19
	v_fma_f32 v47, -v37, v19, v41
	v_fmac_f32_e32 v14, v36, v19
	;; [unrolled: 2-line block ×3, first 2 shown]
	v_lshlrev_b64 v[18:19], 3, v[10:11]
	v_add_u32_e32 v10, -7, v8
	v_add_co_u32_e32 v18, vcc, s12, v18
	v_lshlrev_b64 v[24:25], 3, v[10:11]
	v_addc_co_u32_e32 v19, vcc, v22, v19, vcc
	v_add_u32_e32 v10, -2, v8
	v_add_co_u32_e32 v24, vcc, s12, v24
	v_lshlrev_b64 v[26:27], 3, v[10:11]
	v_addc_co_u32_e32 v25, vcc, v22, v25, vcc
	v_add_u32_e32 v10, 3, v9
	v_add_co_u32_e32 v26, vcc, s12, v26
	v_lshlrev_b64 v[32:33], 3, v[10:11]
	v_addc_co_u32_e32 v27, vcc, v22, v27, vcc
	v_add_co_u32_e32 v32, vcc, s14, v32
	v_addc_co_u32_e32 v33, vcc, v23, v33, vcc
	global_load_dwordx2 v[38:39], v[20:21], off
	global_load_dwordx2 v[40:41], v[18:19], off
	;; [unrolled: 1-line block ×4, first 2 shown]
	v_add_u32_e32 v10, -11, v8
	global_load_dwordx2 v[20:21], v[32:33], off
	v_lshlrev_b64 v[36:37], 3, v[10:11]
	v_add_u32_e32 v10, -6, v8
	v_add_co_u32_e32 v36, vcc, s12, v36
	v_lshlrev_b64 v[18:19], 3, v[10:11]
	v_addc_co_u32_e32 v37, vcc, v22, v37, vcc
	v_add_u32_e32 v10, -1, v8
	v_add_co_u32_e32 v18, vcc, s12, v18
	v_addc_co_u32_e32 v19, vcc, v22, v19, vcc
	s_waitcnt vmcnt(4)
	v_fmac_f32_e32 v46, v28, v38
	v_fma_f32 v24, -v29, v39, v46
	s_waitcnt vmcnt(3)
	v_fmac_f32_e32 v7, v40, v38
	s_waitcnt vmcnt(1)
	v_fmac_f32_e32 v13, v45, v38
	v_fmac_f32_e32 v48, v44, v38
	s_waitcnt vmcnt(0)
	v_fmac_f32_e32 v24, v30, v20
	v_fmac_f32_e32 v13, v44, v39
	v_fma_f32 v44, -v31, v21, v24
	v_lshlrev_b64 v[24:25], 3, v[10:11]
	v_add_u32_e32 v10, -15, v8
	v_lshlrev_b64 v[26:27], 3, v[10:11]
	v_add_co_u32_e32 v24, vcc, s12, v24
	v_addc_co_u32_e32 v25, vcc, v22, v25, vcc
	v_fmac_f32_e32 v17, v41, v38
	v_fmac_f32_e32 v47, v42, v38
	;; [unrolled: 1-line block ×4, first 2 shown]
	v_add_co_u32_e32 v26, vcc, s12, v26
	v_fma_f32 v7, -v41, v39, v7
	v_fmac_f32_e32 v17, v40, v39
	v_fma_f32 v47, -v43, v39, v47
	v_fmac_f32_e32 v14, v42, v39
	;; [unrolled: 2-line block ×3, first 2 shown]
	v_addc_co_u32_e32 v27, vcc, v22, v27, vcc
	global_load_dwordx2 v[32:33], v[36:37], off
	global_load_dwordx2 v[38:39], v[18:19], off
	;; [unrolled: 1-line block ×4, first 2 shown]
	v_add_u32_e32 v10, 4, v9
	v_lshlrev_b64 v[9:10], 3, v[10:11]
	v_fmac_f32_e32 v15, v31, v20
	v_add_co_u32_e32 v28, vcc, s14, v9
	v_addc_co_u32_e32 v29, vcc, v23, v10, vcc
	v_add_u32_e32 v10, -10, v8
	v_lshlrev_b64 v[9:10], 3, v[10:11]
	v_fmac_f32_e32 v15, v30, v21
	v_add_co_u32_e32 v30, vcc, s12, v9
	v_addc_co_u32_e32 v31, vcc, v22, v10, vcc
	v_add_u32_e32 v10, -5, v8
	v_lshlrev_b64 v[9:10], 3, v[10:11]
	v_add_u32_e32 v8, 0x140, v8
	v_add_co_u32_e32 v9, vcc, s12, v9
	v_addc_co_u32_e32 v10, vcc, v22, v10, vcc
	v_cmp_ge_i32_e32 vcc, v6, v16
	s_or_b64 s[0:1], vcc, s[0:1]
	s_waitcnt vmcnt(3)
	v_fmac_f32_e32 v7, v32, v20
	v_fmac_f32_e32 v17, v33, v20
	v_fma_f32 v7, -v33, v21, v7
	v_fmac_f32_e32 v17, v32, v21
	global_load_dwordx2 v[24:25], v[28:29], off
	global_load_dwordx2 v[18:19], v[30:31], off
	global_load_dwordx2 v[26:27], v[9:10], off
	global_load_dwordx2 v[32:33], v[34:35], off
	s_waitcnt vmcnt(6)
	v_fmac_f32_e32 v47, v38, v20
	v_fmac_f32_e32 v14, v39, v20
	s_waitcnt vmcnt(5)
	v_fmac_f32_e32 v45, v40, v20
	v_fmac_f32_e32 v13, v41, v20
	v_fma_f32 v36, -v39, v21, v47
	v_fmac_f32_e32 v14, v38, v21
	v_fma_f32 v9, -v41, v21, v45
	v_fmac_f32_e32 v13, v40, v21
	s_waitcnt vmcnt(3)
	v_fmac_f32_e32 v44, v42, v24
	v_fmac_f32_e32 v15, v43, v24
	s_waitcnt vmcnt(2)
	v_fmac_f32_e32 v7, v18, v24
	;; [unrolled: 3-line block ×4, first 2 shown]
	v_fmac_f32_e32 v13, v33, v24
	v_fma_f32 v20, -v43, v25, v44
	v_fmac_f32_e32 v15, v42, v25
	v_fma_f32 v21, -v19, v25, v7
	;; [unrolled: 2-line block ×4, first 2 shown]
	v_fmac_f32_e32 v13, v32, v25
	s_andn2_b64 exec, exec, s[0:1]
	s_cbranch_execnz .LBB91_13
; %bb.14:
	s_or_b64 exec, exec, s[0:1]
.LBB91_15:
	s_or_b64 exec, exec, s[6:7]
.LBB91_16:
	v_mov_b32_dpp v10, v21 row_shr:1 row_mask:0xf bank_mask:0xf
	v_add_f32_e32 v10, v21, v10
	v_mov_b32_dpp v6, v20 row_shr:1 row_mask:0xf bank_mask:0xf
	v_mov_b32_dpp v8, v15 row_shr:1 row_mask:0xf bank_mask:0xf
	v_mov_b32_dpp v11, v10 row_shr:2 row_mask:0xf bank_mask:0xf
	v_add_f32_e32 v10, v10, v11
	v_add_f32_e32 v6, v20, v6
	v_add_f32_e32 v8, v15, v8
	v_mov_b32_dpp v11, v10 row_shr:4 row_mask:0xf bank_mask:0xe
	v_add_f32_e32 v11, v10, v11
	v_mov_b32_dpp v10, v17 row_shr:1 row_mask:0xf bank_mask:0xf
	v_add_f32_e32 v10, v17, v10
	v_mov_b32_dpp v7, v6 row_shr:2 row_mask:0xf bank_mask:0xf
	v_mov_b32_dpp v9, v8 row_shr:2 row_mask:0xf bank_mask:0xf
	v_mov_b32_dpp v12, v10 row_shr:2 row_mask:0xf bank_mask:0xf
	v_add_f32_e32 v10, v10, v12
	v_add_f32_e32 v6, v6, v7
	v_add_f32_e32 v8, v8, v9
	v_mov_b32_dpp v12, v10 row_shr:4 row_mask:0xf bank_mask:0xe
	v_add_f32_e32 v16, v10, v12
	;; [unrolled: 10-line block ×3, first 2 shown]
	v_mov_b32_dpp v10, v14 row_shr:1 row_mask:0xf bank_mask:0xf
	v_add_f32_e32 v10, v14, v10
	v_mov_b32_dpp v7, v6 row_shr:8 row_mask:0xf bank_mask:0xc
	v_mov_b32_dpp v9, v8 row_shr:8 row_mask:0xf bank_mask:0xc
	;; [unrolled: 1-line block ×3, first 2 shown]
	v_add_f32_e32 v10, v10, v12
	v_mov_b32_dpp v15, v11 row_shr:8 row_mask:0xf bank_mask:0xc
	v_mov_b32_dpp v17, v16 row_shr:8 row_mask:0xf bank_mask:0xc
	;; [unrolled: 1-line block ×3, first 2 shown]
	v_add_f32_e32 v14, v10, v12
	v_mov_b32_dpp v10, v18 row_shr:1 row_mask:0xf bank_mask:0xf
	v_add_f32_e32 v10, v18, v10
	v_mov_b32_dpp v20, v19 row_shr:8 row_mask:0xf bank_mask:0xc
	v_mov_b32_dpp v21, v14 row_shr:8 row_mask:0xf bank_mask:0xc
	;; [unrolled: 1-line block ×3, first 2 shown]
	v_add_f32_e32 v10, v10, v12
	v_cmp_eq_u32_e32 vcc, 15, v0
	s_nop 0
	v_mov_b32_dpp v12, v10 row_shr:4 row_mask:0xf bank_mask:0xe
	v_add_f32_e32 v18, v10, v12
	v_mov_b32_dpp v10, v13 row_shr:1 row_mask:0xf bank_mask:0xf
	v_add_f32_e32 v10, v13, v10
	v_mov_b32_dpp v22, v18 row_shr:8 row_mask:0xf bank_mask:0xc
	s_nop 0
	v_mov_b32_dpp v12, v10 row_shr:2 row_mask:0xf bank_mask:0xf
	v_add_f32_e32 v10, v10, v12
	s_nop 1
	v_mov_b32_dpp v12, v10 row_shr:4 row_mask:0xf bank_mask:0xe
	v_add_f32_e32 v13, v10, v12
	s_nop 1
	v_mov_b32_dpp v23, v13 row_shr:8 row_mask:0xf bank_mask:0xc
	s_and_b64 exec, exec, vcc
	s_cbranch_execz .LBB91_21
; %bb.17:
	s_load_dwordx2 s[2:3], s[4:5], 0x38
	v_cmp_eq_f32_e32 vcc, 0, v3
	v_cmp_eq_f32_e64 s[0:1], 0, v4
	v_add_f32_e32 v10, v6, v7
	v_add_f32_e32 v12, v8, v9
	;; [unrolled: 1-line block ×8, first 2 shown]
	s_and_b64 s[0:1], vcc, s[0:1]
	s_and_saveexec_b64 s[4:5], s[0:1]
	s_xor_b64 s[0:1], exec, s[4:5]
	s_cbranch_execz .LBB91_19
; %bb.18:
	v_lshlrev_b32_e32 v3, 2, v5
	v_ashrrev_i32_e32 v4, 31, v3
	v_lshlrev_b64 v[3:4], 3, v[3:4]
	s_waitcnt lgkmcnt(0)
	v_mov_b32_e32 v5, s3
	v_add_co_u32_e32 v17, vcc, s2, v3
	v_addc_co_u32_e32 v18, vcc, v5, v4, vcc
	v_mul_f32_e64 v3, v9, -v2
	v_mul_f32_e32 v4, v1, v9
	v_mul_f32_e64 v13, v12, -v2
	v_mul_f32_e32 v14, v1, v12
	v_mul_f32_e64 v15, v11, -v2
	v_mul_f32_e32 v16, v1, v11
	v_fmac_f32_e32 v3, v1, v6
	v_fmac_f32_e32 v4, v2, v6
	v_mul_f32_e64 v5, v7, -v2
	v_mul_f32_e32 v6, v1, v7
	v_fmac_f32_e32 v13, v1, v10
	v_fmac_f32_e32 v14, v2, v10
	;; [unrolled: 1-line block ×6, first 2 shown]
	global_store_dwordx4 v[17:18], v[13:16], off
	global_store_dwordx4 v[17:18], v[3:6], off offset:16
                                        ; implicit-def: $vgpr5
                                        ; implicit-def: $vgpr10
                                        ; implicit-def: $vgpr12
                                        ; implicit-def: $vgpr8
                                        ; implicit-def: $vgpr11
                                        ; implicit-def: $vgpr6
                                        ; implicit-def: $vgpr9
                                        ; implicit-def: $vgpr0
                                        ; implicit-def: $vgpr7
                                        ; implicit-def: $vgpr1_vgpr2
                                        ; implicit-def: $vgpr3_vgpr4
.LBB91_19:
	s_andn2_saveexec_b64 s[0:1], s[0:1]
	s_cbranch_execz .LBB91_21
; %bb.20:
	v_lshlrev_b32_e32 v13, 2, v5
	v_ashrrev_i32_e32 v14, 31, v13
	v_lshlrev_b64 v[13:14], 3, v[13:14]
	s_waitcnt lgkmcnt(0)
	v_mov_b32_e32 v5, s3
	v_add_co_u32_e32 v25, vcc, s2, v13
	v_addc_co_u32_e32 v26, vcc, v5, v14, vcc
	global_load_dwordx4 v[13:16], v[25:26], off
	global_load_dwordx4 v[17:20], v[25:26], off offset:16
	v_mul_f32_e64 v5, v12, -v2
	v_mul_f32_e32 v22, v1, v12
	v_mul_f32_e64 v12, v11, -v2
	v_mul_f32_e32 v24, v1, v11
	;; [unrolled: 2-line block ×4, first 2 shown]
	v_fmac_f32_e32 v5, v1, v10
	v_fmac_f32_e32 v22, v2, v10
	;; [unrolled: 1-line block ×8, first 2 shown]
	s_waitcnt vmcnt(1)
	v_fmac_f32_e32 v5, v3, v13
	v_fmac_f32_e32 v22, v4, v13
	;; [unrolled: 1-line block ×4, first 2 shown]
	s_waitcnt vmcnt(0)
	v_fmac_f32_e32 v27, v3, v17
	v_fmac_f32_e32 v9, v4, v17
	;; [unrolled: 1-line block ×4, first 2 shown]
	v_fma_f32 v21, -v4, v14, v5
	v_fmac_f32_e32 v22, v3, v14
	v_fma_f32 v23, -v4, v16, v12
	v_fmac_f32_e32 v24, v3, v16
	;; [unrolled: 2-line block ×4, first 2 shown]
	global_store_dwordx4 v[25:26], v[21:24], off
	global_store_dwordx4 v[25:26], v[8:11], off offset:16
.LBB91_21:
	s_endpgm
	.section	.rodata,"a",@progbits
	.p2align	6, 0x0
	.amdhsa_kernel _ZN9rocsparseL19gebsrmvn_4xn_kernelILj128ELj5ELj16E21rocsparse_complex_numIfEEEvi20rocsparse_direction_NS_24const_host_device_scalarIT2_EEPKiS8_PKS5_SA_S6_PS5_21rocsparse_index_base_b
		.amdhsa_group_segment_fixed_size 0
		.amdhsa_private_segment_fixed_size 0
		.amdhsa_kernarg_size 72
		.amdhsa_user_sgpr_count 6
		.amdhsa_user_sgpr_private_segment_buffer 1
		.amdhsa_user_sgpr_dispatch_ptr 0
		.amdhsa_user_sgpr_queue_ptr 0
		.amdhsa_user_sgpr_kernarg_segment_ptr 1
		.amdhsa_user_sgpr_dispatch_id 0
		.amdhsa_user_sgpr_flat_scratch_init 0
		.amdhsa_user_sgpr_private_segment_size 0
		.amdhsa_uses_dynamic_stack 0
		.amdhsa_system_sgpr_private_segment_wavefront_offset 0
		.amdhsa_system_sgpr_workgroup_id_x 1
		.amdhsa_system_sgpr_workgroup_id_y 0
		.amdhsa_system_sgpr_workgroup_id_z 0
		.amdhsa_system_sgpr_workgroup_info 0
		.amdhsa_system_vgpr_workitem_id 0
		.amdhsa_next_free_vgpr 54
		.amdhsa_next_free_sgpr 16
		.amdhsa_reserve_vcc 1
		.amdhsa_reserve_flat_scratch 0
		.amdhsa_float_round_mode_32 0
		.amdhsa_float_round_mode_16_64 0
		.amdhsa_float_denorm_mode_32 3
		.amdhsa_float_denorm_mode_16_64 3
		.amdhsa_dx10_clamp 1
		.amdhsa_ieee_mode 1
		.amdhsa_fp16_overflow 0
		.amdhsa_exception_fp_ieee_invalid_op 0
		.amdhsa_exception_fp_denorm_src 0
		.amdhsa_exception_fp_ieee_div_zero 0
		.amdhsa_exception_fp_ieee_overflow 0
		.amdhsa_exception_fp_ieee_underflow 0
		.amdhsa_exception_fp_ieee_inexact 0
		.amdhsa_exception_int_div_zero 0
	.end_amdhsa_kernel
	.section	.text._ZN9rocsparseL19gebsrmvn_4xn_kernelILj128ELj5ELj16E21rocsparse_complex_numIfEEEvi20rocsparse_direction_NS_24const_host_device_scalarIT2_EEPKiS8_PKS5_SA_S6_PS5_21rocsparse_index_base_b,"axG",@progbits,_ZN9rocsparseL19gebsrmvn_4xn_kernelILj128ELj5ELj16E21rocsparse_complex_numIfEEEvi20rocsparse_direction_NS_24const_host_device_scalarIT2_EEPKiS8_PKS5_SA_S6_PS5_21rocsparse_index_base_b,comdat
.Lfunc_end91:
	.size	_ZN9rocsparseL19gebsrmvn_4xn_kernelILj128ELj5ELj16E21rocsparse_complex_numIfEEEvi20rocsparse_direction_NS_24const_host_device_scalarIT2_EEPKiS8_PKS5_SA_S6_PS5_21rocsparse_index_base_b, .Lfunc_end91-_ZN9rocsparseL19gebsrmvn_4xn_kernelILj128ELj5ELj16E21rocsparse_complex_numIfEEEvi20rocsparse_direction_NS_24const_host_device_scalarIT2_EEPKiS8_PKS5_SA_S6_PS5_21rocsparse_index_base_b
                                        ; -- End function
	.set _ZN9rocsparseL19gebsrmvn_4xn_kernelILj128ELj5ELj16E21rocsparse_complex_numIfEEEvi20rocsparse_direction_NS_24const_host_device_scalarIT2_EEPKiS8_PKS5_SA_S6_PS5_21rocsparse_index_base_b.num_vgpr, 54
	.set _ZN9rocsparseL19gebsrmvn_4xn_kernelILj128ELj5ELj16E21rocsparse_complex_numIfEEEvi20rocsparse_direction_NS_24const_host_device_scalarIT2_EEPKiS8_PKS5_SA_S6_PS5_21rocsparse_index_base_b.num_agpr, 0
	.set _ZN9rocsparseL19gebsrmvn_4xn_kernelILj128ELj5ELj16E21rocsparse_complex_numIfEEEvi20rocsparse_direction_NS_24const_host_device_scalarIT2_EEPKiS8_PKS5_SA_S6_PS5_21rocsparse_index_base_b.numbered_sgpr, 16
	.set _ZN9rocsparseL19gebsrmvn_4xn_kernelILj128ELj5ELj16E21rocsparse_complex_numIfEEEvi20rocsparse_direction_NS_24const_host_device_scalarIT2_EEPKiS8_PKS5_SA_S6_PS5_21rocsparse_index_base_b.num_named_barrier, 0
	.set _ZN9rocsparseL19gebsrmvn_4xn_kernelILj128ELj5ELj16E21rocsparse_complex_numIfEEEvi20rocsparse_direction_NS_24const_host_device_scalarIT2_EEPKiS8_PKS5_SA_S6_PS5_21rocsparse_index_base_b.private_seg_size, 0
	.set _ZN9rocsparseL19gebsrmvn_4xn_kernelILj128ELj5ELj16E21rocsparse_complex_numIfEEEvi20rocsparse_direction_NS_24const_host_device_scalarIT2_EEPKiS8_PKS5_SA_S6_PS5_21rocsparse_index_base_b.uses_vcc, 1
	.set _ZN9rocsparseL19gebsrmvn_4xn_kernelILj128ELj5ELj16E21rocsparse_complex_numIfEEEvi20rocsparse_direction_NS_24const_host_device_scalarIT2_EEPKiS8_PKS5_SA_S6_PS5_21rocsparse_index_base_b.uses_flat_scratch, 0
	.set _ZN9rocsparseL19gebsrmvn_4xn_kernelILj128ELj5ELj16E21rocsparse_complex_numIfEEEvi20rocsparse_direction_NS_24const_host_device_scalarIT2_EEPKiS8_PKS5_SA_S6_PS5_21rocsparse_index_base_b.has_dyn_sized_stack, 0
	.set _ZN9rocsparseL19gebsrmvn_4xn_kernelILj128ELj5ELj16E21rocsparse_complex_numIfEEEvi20rocsparse_direction_NS_24const_host_device_scalarIT2_EEPKiS8_PKS5_SA_S6_PS5_21rocsparse_index_base_b.has_recursion, 0
	.set _ZN9rocsparseL19gebsrmvn_4xn_kernelILj128ELj5ELj16E21rocsparse_complex_numIfEEEvi20rocsparse_direction_NS_24const_host_device_scalarIT2_EEPKiS8_PKS5_SA_S6_PS5_21rocsparse_index_base_b.has_indirect_call, 0
	.section	.AMDGPU.csdata,"",@progbits
; Kernel info:
; codeLenInByte = 3312
; TotalNumSgprs: 20
; NumVgprs: 54
; ScratchSize: 0
; MemoryBound: 0
; FloatMode: 240
; IeeeMode: 1
; LDSByteSize: 0 bytes/workgroup (compile time only)
; SGPRBlocks: 2
; VGPRBlocks: 13
; NumSGPRsForWavesPerEU: 20
; NumVGPRsForWavesPerEU: 54
; Occupancy: 4
; WaveLimiterHint : 1
; COMPUTE_PGM_RSRC2:SCRATCH_EN: 0
; COMPUTE_PGM_RSRC2:USER_SGPR: 6
; COMPUTE_PGM_RSRC2:TRAP_HANDLER: 0
; COMPUTE_PGM_RSRC2:TGID_X_EN: 1
; COMPUTE_PGM_RSRC2:TGID_Y_EN: 0
; COMPUTE_PGM_RSRC2:TGID_Z_EN: 0
; COMPUTE_PGM_RSRC2:TIDIG_COMP_CNT: 0
	.section	.text._ZN9rocsparseL19gebsrmvn_4xn_kernelILj128ELj5ELj32E21rocsparse_complex_numIfEEEvi20rocsparse_direction_NS_24const_host_device_scalarIT2_EEPKiS8_PKS5_SA_S6_PS5_21rocsparse_index_base_b,"axG",@progbits,_ZN9rocsparseL19gebsrmvn_4xn_kernelILj128ELj5ELj32E21rocsparse_complex_numIfEEEvi20rocsparse_direction_NS_24const_host_device_scalarIT2_EEPKiS8_PKS5_SA_S6_PS5_21rocsparse_index_base_b,comdat
	.globl	_ZN9rocsparseL19gebsrmvn_4xn_kernelILj128ELj5ELj32E21rocsparse_complex_numIfEEEvi20rocsparse_direction_NS_24const_host_device_scalarIT2_EEPKiS8_PKS5_SA_S6_PS5_21rocsparse_index_base_b ; -- Begin function _ZN9rocsparseL19gebsrmvn_4xn_kernelILj128ELj5ELj32E21rocsparse_complex_numIfEEEvi20rocsparse_direction_NS_24const_host_device_scalarIT2_EEPKiS8_PKS5_SA_S6_PS5_21rocsparse_index_base_b
	.p2align	8
	.type	_ZN9rocsparseL19gebsrmvn_4xn_kernelILj128ELj5ELj32E21rocsparse_complex_numIfEEEvi20rocsparse_direction_NS_24const_host_device_scalarIT2_EEPKiS8_PKS5_SA_S6_PS5_21rocsparse_index_base_b,@function
_ZN9rocsparseL19gebsrmvn_4xn_kernelILj128ELj5ELj32E21rocsparse_complex_numIfEEEvi20rocsparse_direction_NS_24const_host_device_scalarIT2_EEPKiS8_PKS5_SA_S6_PS5_21rocsparse_index_base_b: ; @_ZN9rocsparseL19gebsrmvn_4xn_kernelILj128ELj5ELj32E21rocsparse_complex_numIfEEEvi20rocsparse_direction_NS_24const_host_device_scalarIT2_EEPKiS8_PKS5_SA_S6_PS5_21rocsparse_index_base_b
; %bb.0:
	s_load_dwordx2 s[0:1], s[4:5], 0x8
	s_load_dwordx2 s[8:9], s[4:5], 0x30
	;; [unrolled: 1-line block ×3, first 2 shown]
	s_add_u32 s7, s4, 8
	s_addc_u32 s10, s5, 0
	s_add_u32 s11, s4, 48
	s_addc_u32 s12, s5, 0
	s_waitcnt lgkmcnt(0)
	s_bitcmp1_b32 s3, 0
	s_cselect_b32 s1, s10, s1
	s_cselect_b32 s0, s7, s0
	v_mov_b32_e32 v1, s0
	v_mov_b32_e32 v2, s1
	flat_load_dwordx2 v[1:2], v[1:2]
	s_cselect_b32 s0, s12, s9
	s_cselect_b32 s1, s11, s8
	v_mov_b32_e32 v3, s1
	v_mov_b32_e32 v4, s0
	flat_load_dwordx2 v[3:4], v[3:4]
	s_waitcnt vmcnt(0) lgkmcnt(0)
	v_cmp_eq_f32_e32 vcc, 0, v1
	v_cmp_eq_f32_e64 s[0:1], 0, v2
	s_and_b64 s[10:11], vcc, s[0:1]
	s_mov_b64 s[0:1], -1
	s_and_saveexec_b64 s[8:9], s[10:11]
; %bb.1:
	v_cmp_neq_f32_e32 vcc, 1.0, v3
	v_cmp_neq_f32_e64 s[0:1], 0, v4
	s_or_b64 s[0:1], vcc, s[0:1]
	s_orn2_b64 s[0:1], s[0:1], exec
; %bb.2:
	s_or_b64 exec, exec, s[8:9]
	s_and_saveexec_b64 s[8:9], s[0:1]
	s_cbranch_execz .LBB92_21
; %bb.3:
	s_load_dwordx2 s[0:1], s[4:5], 0x0
	v_lshrrev_b32_e32 v5, 5, v0
	v_lshl_or_b32 v5, s6, 2, v5
	s_waitcnt lgkmcnt(0)
	v_cmp_gt_i32_e32 vcc, s0, v5
	s_and_b64 exec, exec, vcc
	s_cbranch_execz .LBB92_21
; %bb.4:
	s_load_dwordx8 s[8:15], s[4:5], 0x10
	v_ashrrev_i32_e32 v6, 31, v5
	v_lshlrev_b64 v[6:7], 2, v[5:6]
	v_and_b32_e32 v0, 31, v0
	s_cmp_lg_u32 s1, 0
	s_waitcnt lgkmcnt(0)
	v_mov_b32_e32 v8, s9
	v_add_co_u32_e32 v6, vcc, s8, v6
	v_addc_co_u32_e32 v7, vcc, v8, v7, vcc
	global_load_dwordx2 v[6:7], v[6:7], off
	s_waitcnt vmcnt(0)
	v_subrev_u32_e32 v6, s2, v6
	v_subrev_u32_e32 v16, s2, v7
	v_add_u32_e32 v6, v6, v0
	v_cmp_lt_i32_e64 s[0:1], v6, v16
	s_cbranch_scc0 .LBB92_10
; %bb.5:
	v_mov_b32_e32 v15, 0
	v_mov_b32_e32 v20, 0
	;; [unrolled: 1-line block ×8, first 2 shown]
	s_and_saveexec_b64 s[6:7], s[0:1]
	s_cbranch_execz .LBB92_9
; %bb.6:
	v_mad_u64_u32 v[7:8], s[8:9], v6, 20, 16
	v_mov_b32_e32 v10, 0
	s_mov_b64 s[8:9], 0
	v_mov_b32_e32 v22, s11
	v_mov_b32_e32 v23, s13
	;; [unrolled: 1-line block ×12, first 2 shown]
.LBB92_7:                               ; =>This Inner Loop Header: Depth=1
	v_ashrrev_i32_e32 v12, 31, v11
	v_lshlrev_b64 v[25:26], 2, v[11:12]
	v_add_u32_e32 v9, -16, v7
	v_lshlrev_b64 v[27:28], 3, v[9:10]
	v_add_co_u32_e32 v33, vcc, s10, v25
	v_mov_b32_e32 v8, v10
	v_addc_co_u32_e32 v34, vcc, v22, v26, vcc
	v_lshlrev_b64 v[29:30], 3, v[7:8]
	v_add_co_u32_e32 v35, vcc, s12, v27
	v_addc_co_u32_e32 v36, vcc, v23, v28, vcc
	v_add_co_u32_e32 v41, vcc, s12, v29
	v_addc_co_u32_e32 v42, vcc, v23, v30, vcc
	global_load_dword v12, v[33:34], off
	global_load_dwordx4 v[25:28], v[35:36], off
	global_load_dwordx4 v[29:32], v[35:36], off offset:16
	v_add_u32_e32 v9, -12, v7
	v_lshlrev_b64 v[8:9], 3, v[9:10]
	v_mov_b32_e32 v46, v10
	v_add_co_u32_e32 v8, vcc, s12, v8
	global_load_dwordx4 v[33:36], v[41:42], off
	global_load_dwordx4 v[37:40], v[41:42], off offset:16
	v_addc_co_u32_e32 v9, vcc, v23, v9, vcc
	v_add_u32_e32 v11, 32, v11
	s_waitcnt vmcnt(4)
	v_subrev_u32_e32 v12, s2, v12
	v_lshl_add_u32 v45, v12, 2, v12
	v_lshlrev_b64 v[41:42], 3, v[45:46]
	v_add_co_u32_e32 v46, vcc, s14, v41
	v_addc_co_u32_e32 v47, vcc, v24, v42, vcc
	global_load_dwordx4 v[41:44], v[8:9], off
	global_load_dwordx2 v[48:49], v[46:47], off
	s_waitcnt vmcnt(0)
	v_fmac_f32_e32 v20, v25, v48
	v_fmac_f32_e32 v15, v26, v48
	;; [unrolled: 1-line block ×4, first 2 shown]
	v_fma_f32 v12, -v26, v49, v20
	v_fmac_f32_e32 v15, v25, v49
	v_fma_f32 v50, -v28, v49, v21
	v_fmac_f32_e32 v17, v27, v49
	global_load_dwordx4 v[25:28], v[8:9], off offset:16
	v_add_u32_e32 v9, 1, v45
	v_lshlrev_b64 v[20:21], 3, v[9:10]
	v_fmac_f32_e32 v18, v31, v48
	v_add_co_u32_e32 v20, vcc, s14, v20
	v_fmac_f32_e32 v13, v32, v48
	v_addc_co_u32_e32 v21, vcc, v24, v21, vcc
	v_fma_f32 v51, -v32, v49, v18
	v_fmac_f32_e32 v13, v31, v49
	global_load_dwordx2 v[31:32], v[20:21], off
	v_add_u32_e32 v9, -8, v7
	v_fmac_f32_e32 v19, v29, v48
	v_fma_f32 v8, -v30, v49, v19
	v_lshlrev_b64 v[18:19], 3, v[9:10]
	v_fmac_f32_e32 v14, v30, v48
	v_add_u32_e32 v9, 2, v45
	v_fmac_f32_e32 v14, v29, v49
	v_lshlrev_b64 v[29:30], 3, v[9:10]
	v_add_co_u32_e32 v46, vcc, s12, v18
	v_addc_co_u32_e32 v47, vcc, v23, v19, vcc
	v_add_co_u32_e32 v29, vcc, s14, v29
	v_addc_co_u32_e32 v30, vcc, v24, v30, vcc
	global_load_dwordx4 v[18:21], v[46:47], off
	v_add_u32_e32 v9, -4, v7
	v_lshlrev_b64 v[48:49], 3, v[9:10]
	v_add_u32_e32 v9, 3, v45
	v_add_u32_e32 v7, 0x280, v7
	s_waitcnt vmcnt(1)
	v_fmac_f32_e32 v12, v41, v31
	v_fmac_f32_e32 v15, v42, v31
	v_fma_f32 v12, -v42, v32, v12
	v_fmac_f32_e32 v15, v41, v32
	global_load_dwordx2 v[41:42], v[29:30], off
	v_fmac_f32_e32 v50, v43, v31
	v_fmac_f32_e32 v17, v44, v31
	;; [unrolled: 1-line block ×6, first 2 shown]
	v_fma_f32 v50, -v44, v32, v50
	v_fmac_f32_e32 v17, v43, v32
	v_fma_f32 v52, -v26, v32, v8
	v_fmac_f32_e32 v14, v25, v32
	;; [unrolled: 2-line block ×3, first 2 shown]
	v_lshlrev_b64 v[31:32], 3, v[9:10]
	v_add_co_u32_e32 v43, vcc, s12, v48
	v_add_u32_e32 v9, 4, v45
	v_addc_co_u32_e32 v44, vcc, v23, v49, vcc
	global_load_dwordx4 v[25:28], v[46:47], off offset:16
	v_lshlrev_b64 v[8:9], 3, v[9:10]
	v_add_co_u32_e32 v45, vcc, s14, v31
	s_waitcnt vmcnt(1)
	v_fmac_f32_e32 v12, v18, v41
	v_fmac_f32_e32 v15, v19, v41
	v_fmac_f32_e32 v50, v20, v41
	v_fmac_f32_e32 v17, v21, v41
	v_fma_f32 v12, -v19, v42, v12
	v_fmac_f32_e32 v15, v18, v42
	v_fma_f32 v53, -v21, v42, v50
	v_fmac_f32_e32 v17, v20, v42
	global_load_dwordx4 v[18:21], v[43:44], off
	v_addc_co_u32_e32 v46, vcc, v24, v32, vcc
	v_add_co_u32_e32 v8, vcc, s14, v8
	v_addc_co_u32_e32 v9, vcc, v24, v9, vcc
	global_load_dwordx4 v[29:32], v[43:44], off offset:16
	global_load_dwordx2 v[47:48], v[45:46], off
	global_load_dwordx2 v[49:50], v[8:9], off
	v_cmp_ge_i32_e32 vcc, v11, v16
	s_or_b64 s[8:9], vcc, s[8:9]
	s_waitcnt vmcnt(4)
	v_fmac_f32_e32 v52, v25, v41
	v_fmac_f32_e32 v14, v26, v41
	;; [unrolled: 1-line block ×4, first 2 shown]
	v_fma_f32 v8, -v26, v42, v52
	v_fmac_f32_e32 v14, v25, v42
	v_fma_f32 v9, -v28, v42, v51
	v_fmac_f32_e32 v13, v27, v42
	s_waitcnt vmcnt(1)
	v_fmac_f32_e32 v12, v18, v47
	v_fmac_f32_e32 v15, v19, v47
	;; [unrolled: 1-line block ×8, first 2 shown]
	v_fma_f32 v12, -v19, v48, v12
	v_fmac_f32_e32 v15, v18, v48
	v_fma_f32 v18, -v21, v48, v53
	v_fmac_f32_e32 v17, v20, v48
	;; [unrolled: 2-line block ×4, first 2 shown]
	s_waitcnt vmcnt(0)
	v_fmac_f32_e32 v12, v33, v49
	v_fmac_f32_e32 v15, v34, v49
	;; [unrolled: 1-line block ×8, first 2 shown]
	v_fma_f32 v20, -v34, v50, v12
	v_fmac_f32_e32 v15, v33, v50
	v_fma_f32 v21, -v36, v50, v18
	v_fmac_f32_e32 v17, v35, v50
	v_fma_f32 v19, -v38, v50, v8
	v_fmac_f32_e32 v14, v37, v50
	v_fma_f32 v18, -v40, v50, v9
	v_fmac_f32_e32 v13, v39, v50
	s_andn2_b64 exec, exec, s[8:9]
	s_cbranch_execnz .LBB92_7
; %bb.8:
	s_or_b64 exec, exec, s[8:9]
.LBB92_9:
	s_or_b64 exec, exec, s[6:7]
	s_cbranch_execz .LBB92_11
	s_branch .LBB92_16
.LBB92_10:
                                        ; implicit-def: $vgpr15
                                        ; implicit-def: $vgpr20
                                        ; implicit-def: $vgpr18
                                        ; implicit-def: $vgpr13
                                        ; implicit-def: $vgpr19
                                        ; implicit-def: $vgpr14
                                        ; implicit-def: $vgpr21
                                        ; implicit-def: $vgpr17
.LBB92_11:
	v_mov_b32_e32 v15, 0
	v_mov_b32_e32 v20, 0
	;; [unrolled: 1-line block ×8, first 2 shown]
	s_and_saveexec_b64 s[6:7], s[0:1]
	s_cbranch_execz .LBB92_15
; %bb.12:
	v_mad_u64_u32 v[8:9], s[0:1], v6, 20, 19
	v_mov_b32_e32 v11, 0
	s_mov_b64 s[0:1], 0
	v_mov_b32_e32 v12, s11
	v_mov_b32_e32 v22, s13
	;; [unrolled: 1-line block ×11, first 2 shown]
.LBB92_13:                              ; =>This Inner Loop Header: Depth=1
	v_ashrrev_i32_e32 v7, 31, v6
	v_lshlrev_b64 v[30:31], 2, v[6:7]
	v_subrev_u32_e32 v10, 19, v8
	v_add_co_u32_e32 v30, vcc, s10, v30
	v_addc_co_u32_e32 v31, vcc, v12, v31, vcc
	global_load_dword v7, v[30:31], off
	v_lshlrev_b64 v[32:33], 3, v[10:11]
	v_add_u32_e32 v24, -14, v8
	v_mov_b32_e32 v25, v11
	v_lshlrev_b64 v[24:25], 3, v[24:25]
	v_add_co_u32_e32 v32, vcc, s12, v32
	v_add_u32_e32 v26, -9, v8
	v_mov_b32_e32 v27, v11
	v_addc_co_u32_e32 v33, vcc, v22, v33, vcc
	v_lshlrev_b64 v[26:27], 3, v[26:27]
	v_add_co_u32_e32 v24, vcc, s12, v24
	v_add_u32_e32 v28, -4, v8
	v_mov_b32_e32 v29, v11
	v_addc_co_u32_e32 v25, vcc, v22, v25, vcc
	v_lshlrev_b64 v[28:29], 3, v[28:29]
	v_add_co_u32_e32 v26, vcc, s12, v26
	v_mov_b32_e32 v9, v11
	v_addc_co_u32_e32 v27, vcc, v22, v27, vcc
	v_lshlrev_b64 v[9:10], 3, v[8:9]
	v_add_co_u32_e32 v28, vcc, s12, v28
	v_addc_co_u32_e32 v29, vcc, v22, v29, vcc
	v_add_co_u32_e32 v34, vcc, s12, v9
	v_addc_co_u32_e32 v35, vcc, v22, v10, vcc
	v_mov_b32_e32 v10, v11
	v_add_u32_e32 v6, 32, v6
	s_waitcnt vmcnt(0)
	v_subrev_u32_e32 v7, s2, v7
	v_lshl_add_u32 v9, v7, 2, v7
	v_lshlrev_b64 v[30:31], 3, v[9:10]
	v_add_u32_e32 v10, 1, v9
	v_add_co_u32_e32 v30, vcc, s14, v30
	v_addc_co_u32_e32 v31, vcc, v23, v31, vcc
	global_load_dwordx2 v[38:39], v[24:25], off
	global_load_dwordx2 v[40:41], v[26:27], off
	;; [unrolled: 1-line block ×4, first 2 shown]
	v_lshlrev_b64 v[36:37], 3, v[10:11]
	global_load_dwordx4 v[24:27], v[32:33], off
	global_load_dwordx4 v[28:31], v[32:33], off offset:16
	v_add_co_u32_e32 v36, vcc, s14, v36
	v_addc_co_u32_e32 v37, vcc, v23, v37, vcc
	v_add_u32_e32 v10, -13, v8
	s_waitcnt vmcnt(2)
	v_fmac_f32_e32 v19, v40, v44
	v_fmac_f32_e32 v14, v41, v44
	;; [unrolled: 1-line block ×3, first 2 shown]
	v_fma_f32 v41, -v41, v45, v19
	v_fmac_f32_e32 v14, v40, v45
	v_fma_f32 v40, -v43, v45, v18
	global_load_dwordx2 v[18:19], v[36:37], off
	s_waitcnt vmcnt(2)
	v_fmac_f32_e32 v20, v24, v44
	v_fma_f32 v20, -v25, v45, v20
	v_fmac_f32_e32 v21, v38, v44
	v_fma_f32 v7, -v39, v45, v21
	v_fmac_f32_e32 v15, v25, v44
	v_fmac_f32_e32 v15, v24, v45
	;; [unrolled: 1-line block ×6, first 2 shown]
	s_waitcnt vmcnt(0)
	v_fmac_f32_e32 v20, v26, v18
	v_fma_f32 v46, -v27, v19, v20
	v_lshlrev_b64 v[20:21], 3, v[10:11]
	v_add_u32_e32 v10, -8, v8
	v_add_co_u32_e32 v20, vcc, s12, v20
	v_lshlrev_b64 v[24:25], 3, v[10:11]
	v_fmac_f32_e32 v15, v27, v18
	v_addc_co_u32_e32 v21, vcc, v22, v21, vcc
	v_add_u32_e32 v10, -3, v8
	v_fmac_f32_e32 v15, v26, v19
	v_add_co_u32_e32 v24, vcc, s12, v24
	v_lshlrev_b64 v[26:27], 3, v[10:11]
	v_addc_co_u32_e32 v25, vcc, v22, v25, vcc
	v_add_co_u32_e32 v26, vcc, s12, v26
	v_addc_co_u32_e32 v27, vcc, v22, v27, vcc
	global_load_dwordx2 v[32:33], v[20:21], off
	global_load_dwordx2 v[36:37], v[24:25], off
	;; [unrolled: 1-line block ×3, first 2 shown]
	v_add_u32_e32 v10, 2, v9
	v_lshlrev_b64 v[20:21], 3, v[10:11]
	v_add_u32_e32 v10, -12, v8
	v_add_co_u32_e32 v20, vcc, s14, v20
	v_addc_co_u32_e32 v21, vcc, v23, v21, vcc
	s_waitcnt vmcnt(2)
	v_fmac_f32_e32 v7, v32, v18
	v_fmac_f32_e32 v17, v33, v18
	s_waitcnt vmcnt(1)
	v_fmac_f32_e32 v41, v36, v18
	v_fmac_f32_e32 v14, v37, v18
	;; [unrolled: 3-line block ×3, first 2 shown]
	v_fma_f32 v7, -v33, v19, v7
	v_fmac_f32_e32 v17, v32, v19
	v_fma_f32 v47, -v37, v19, v41
	v_fmac_f32_e32 v14, v36, v19
	;; [unrolled: 2-line block ×3, first 2 shown]
	v_lshlrev_b64 v[18:19], 3, v[10:11]
	v_add_u32_e32 v10, -7, v8
	v_add_co_u32_e32 v18, vcc, s12, v18
	v_lshlrev_b64 v[24:25], 3, v[10:11]
	v_addc_co_u32_e32 v19, vcc, v22, v19, vcc
	v_add_u32_e32 v10, -2, v8
	v_add_co_u32_e32 v24, vcc, s12, v24
	v_lshlrev_b64 v[26:27], 3, v[10:11]
	v_addc_co_u32_e32 v25, vcc, v22, v25, vcc
	v_add_u32_e32 v10, 3, v9
	v_add_co_u32_e32 v26, vcc, s12, v26
	v_lshlrev_b64 v[32:33], 3, v[10:11]
	v_addc_co_u32_e32 v27, vcc, v22, v27, vcc
	v_add_co_u32_e32 v32, vcc, s14, v32
	v_addc_co_u32_e32 v33, vcc, v23, v33, vcc
	global_load_dwordx2 v[38:39], v[20:21], off
	global_load_dwordx2 v[40:41], v[18:19], off
	;; [unrolled: 1-line block ×4, first 2 shown]
	v_add_u32_e32 v10, -11, v8
	global_load_dwordx2 v[20:21], v[32:33], off
	v_lshlrev_b64 v[36:37], 3, v[10:11]
	v_add_u32_e32 v10, -6, v8
	v_add_co_u32_e32 v36, vcc, s12, v36
	v_lshlrev_b64 v[18:19], 3, v[10:11]
	v_addc_co_u32_e32 v37, vcc, v22, v37, vcc
	v_add_u32_e32 v10, -1, v8
	v_add_co_u32_e32 v18, vcc, s12, v18
	v_addc_co_u32_e32 v19, vcc, v22, v19, vcc
	s_waitcnt vmcnt(4)
	v_fmac_f32_e32 v46, v28, v38
	v_fma_f32 v24, -v29, v39, v46
	s_waitcnt vmcnt(3)
	v_fmac_f32_e32 v7, v40, v38
	s_waitcnt vmcnt(1)
	v_fmac_f32_e32 v13, v45, v38
	v_fmac_f32_e32 v48, v44, v38
	s_waitcnt vmcnt(0)
	v_fmac_f32_e32 v24, v30, v20
	v_fmac_f32_e32 v13, v44, v39
	v_fma_f32 v44, -v31, v21, v24
	v_lshlrev_b64 v[24:25], 3, v[10:11]
	v_add_u32_e32 v10, -15, v8
	v_lshlrev_b64 v[26:27], 3, v[10:11]
	v_add_co_u32_e32 v24, vcc, s12, v24
	v_addc_co_u32_e32 v25, vcc, v22, v25, vcc
	v_fmac_f32_e32 v17, v41, v38
	v_fmac_f32_e32 v47, v42, v38
	;; [unrolled: 1-line block ×4, first 2 shown]
	v_add_co_u32_e32 v26, vcc, s12, v26
	v_fma_f32 v7, -v41, v39, v7
	v_fmac_f32_e32 v17, v40, v39
	v_fma_f32 v47, -v43, v39, v47
	v_fmac_f32_e32 v14, v42, v39
	;; [unrolled: 2-line block ×3, first 2 shown]
	v_addc_co_u32_e32 v27, vcc, v22, v27, vcc
	global_load_dwordx2 v[32:33], v[36:37], off
	global_load_dwordx2 v[38:39], v[18:19], off
	;; [unrolled: 1-line block ×4, first 2 shown]
	v_add_u32_e32 v10, 4, v9
	v_lshlrev_b64 v[9:10], 3, v[10:11]
	v_fmac_f32_e32 v15, v31, v20
	v_add_co_u32_e32 v28, vcc, s14, v9
	v_addc_co_u32_e32 v29, vcc, v23, v10, vcc
	v_add_u32_e32 v10, -10, v8
	v_lshlrev_b64 v[9:10], 3, v[10:11]
	v_fmac_f32_e32 v15, v30, v21
	v_add_co_u32_e32 v30, vcc, s12, v9
	v_addc_co_u32_e32 v31, vcc, v22, v10, vcc
	v_add_u32_e32 v10, -5, v8
	v_lshlrev_b64 v[9:10], 3, v[10:11]
	v_add_u32_e32 v8, 0x280, v8
	v_add_co_u32_e32 v9, vcc, s12, v9
	v_addc_co_u32_e32 v10, vcc, v22, v10, vcc
	v_cmp_ge_i32_e32 vcc, v6, v16
	s_or_b64 s[0:1], vcc, s[0:1]
	s_waitcnt vmcnt(3)
	v_fmac_f32_e32 v7, v32, v20
	v_fmac_f32_e32 v17, v33, v20
	v_fma_f32 v7, -v33, v21, v7
	v_fmac_f32_e32 v17, v32, v21
	global_load_dwordx2 v[24:25], v[28:29], off
	global_load_dwordx2 v[18:19], v[30:31], off
	global_load_dwordx2 v[26:27], v[9:10], off
	global_load_dwordx2 v[32:33], v[34:35], off
	s_waitcnt vmcnt(6)
	v_fmac_f32_e32 v47, v38, v20
	v_fmac_f32_e32 v14, v39, v20
	s_waitcnt vmcnt(5)
	v_fmac_f32_e32 v45, v40, v20
	v_fmac_f32_e32 v13, v41, v20
	v_fma_f32 v36, -v39, v21, v47
	v_fmac_f32_e32 v14, v38, v21
	v_fma_f32 v9, -v41, v21, v45
	v_fmac_f32_e32 v13, v40, v21
	s_waitcnt vmcnt(3)
	v_fmac_f32_e32 v44, v42, v24
	v_fmac_f32_e32 v15, v43, v24
	s_waitcnt vmcnt(2)
	v_fmac_f32_e32 v7, v18, v24
	;; [unrolled: 3-line block ×4, first 2 shown]
	v_fmac_f32_e32 v13, v33, v24
	v_fma_f32 v20, -v43, v25, v44
	v_fmac_f32_e32 v15, v42, v25
	v_fma_f32 v21, -v19, v25, v7
	;; [unrolled: 2-line block ×4, first 2 shown]
	v_fmac_f32_e32 v13, v32, v25
	s_andn2_b64 exec, exec, s[0:1]
	s_cbranch_execnz .LBB92_13
; %bb.14:
	s_or_b64 exec, exec, s[0:1]
.LBB92_15:
	s_or_b64 exec, exec, s[6:7]
.LBB92_16:
	v_mov_b32_dpp v10, v21 row_shr:1 row_mask:0xf bank_mask:0xf
	v_add_f32_e32 v10, v21, v10
	v_mov_b32_dpp v6, v20 row_shr:1 row_mask:0xf bank_mask:0xf
	v_mov_b32_dpp v8, v15 row_shr:1 row_mask:0xf bank_mask:0xf
	v_mov_b32_dpp v11, v10 row_shr:2 row_mask:0xf bank_mask:0xf
	v_add_f32_e32 v10, v10, v11
	v_add_f32_e32 v6, v20, v6
	;; [unrolled: 1-line block ×3, first 2 shown]
	v_mov_b32_dpp v11, v10 row_shr:4 row_mask:0xf bank_mask:0xe
	v_add_f32_e32 v10, v10, v11
	v_mov_b32_dpp v7, v6 row_shr:2 row_mask:0xf bank_mask:0xf
	v_mov_b32_dpp v9, v8 row_shr:2 row_mask:0xf bank_mask:0xf
	;; [unrolled: 1-line block ×3, first 2 shown]
	v_add_f32_e32 v11, v10, v11
	v_mov_b32_dpp v10, v17 row_shr:1 row_mask:0xf bank_mask:0xf
	v_add_f32_e32 v10, v17, v10
	v_add_f32_e32 v6, v6, v7
	;; [unrolled: 1-line block ×3, first 2 shown]
	v_mov_b32_dpp v12, v10 row_shr:2 row_mask:0xf bank_mask:0xf
	v_add_f32_e32 v10, v10, v12
	v_mov_b32_dpp v7, v6 row_shr:4 row_mask:0xf bank_mask:0xe
	v_mov_b32_dpp v9, v8 row_shr:4 row_mask:0xf bank_mask:0xe
	;; [unrolled: 1-line block ×3, first 2 shown]
	v_add_f32_e32 v10, v10, v12
	v_add_f32_e32 v6, v6, v7
	;; [unrolled: 1-line block ×3, first 2 shown]
	v_mov_b32_dpp v12, v10 row_shr:8 row_mask:0xf bank_mask:0xc
	v_add_f32_e32 v16, v10, v12
	v_mov_b32_dpp v10, v19 row_shr:1 row_mask:0xf bank_mask:0xf
	v_add_f32_e32 v10, v19, v10
	v_mov_b32_dpp v7, v6 row_shr:8 row_mask:0xf bank_mask:0xc
	v_mov_b32_dpp v9, v8 row_shr:8 row_mask:0xf bank_mask:0xc
	;; [unrolled: 1-line block ×3, first 2 shown]
	v_add_f32_e32 v10, v10, v12
	v_add_f32_e32 v6, v6, v7
	;; [unrolled: 1-line block ×3, first 2 shown]
	v_mov_b32_dpp v12, v10 row_shr:4 row_mask:0xf bank_mask:0xe
	v_add_f32_e32 v10, v10, v12
	v_mov_b32_dpp v7, v6 row_bcast:15 row_mask:0xa bank_mask:0xf
	v_mov_b32_dpp v9, v8 row_bcast:15 row_mask:0xa bank_mask:0xf
	v_mov_b32_dpp v12, v10 row_shr:8 row_mask:0xf bank_mask:0xc
	v_add_f32_e32 v19, v10, v12
	v_mov_b32_dpp v10, v14 row_shr:1 row_mask:0xf bank_mask:0xf
	v_add_f32_e32 v10, v14, v10
	v_mov_b32_dpp v15, v11 row_bcast:15 row_mask:0xa bank_mask:0xf
	v_mov_b32_dpp v17, v16 row_bcast:15 row_mask:0xa bank_mask:0xf
	v_mov_b32_dpp v12, v10 row_shr:2 row_mask:0xf bank_mask:0xf
	v_add_f32_e32 v10, v10, v12
	v_mov_b32_dpp v20, v19 row_bcast:15 row_mask:0xa bank_mask:0xf
	v_cmp_eq_u32_e32 vcc, 31, v0
	v_mov_b32_dpp v12, v10 row_shr:4 row_mask:0xf bank_mask:0xe
	v_add_f32_e32 v10, v10, v12
	s_nop 1
	v_mov_b32_dpp v12, v10 row_shr:8 row_mask:0xf bank_mask:0xc
	v_add_f32_e32 v14, v10, v12
	v_mov_b32_dpp v10, v18 row_shr:1 row_mask:0xf bank_mask:0xf
	v_add_f32_e32 v10, v18, v10
	v_mov_b32_dpp v21, v14 row_bcast:15 row_mask:0xa bank_mask:0xf
	s_nop 0
	v_mov_b32_dpp v12, v10 row_shr:2 row_mask:0xf bank_mask:0xf
	v_add_f32_e32 v10, v10, v12
	s_nop 1
	v_mov_b32_dpp v12, v10 row_shr:4 row_mask:0xf bank_mask:0xe
	v_add_f32_e32 v10, v10, v12
	;; [unrolled: 3-line block ×3, first 2 shown]
	v_mov_b32_dpp v10, v13 row_shr:1 row_mask:0xf bank_mask:0xf
	v_add_f32_e32 v10, v13, v10
	v_mov_b32_dpp v22, v18 row_bcast:15 row_mask:0xa bank_mask:0xf
	s_nop 0
	v_mov_b32_dpp v12, v10 row_shr:2 row_mask:0xf bank_mask:0xf
	v_add_f32_e32 v10, v10, v12
	s_nop 1
	v_mov_b32_dpp v12, v10 row_shr:4 row_mask:0xf bank_mask:0xe
	v_add_f32_e32 v10, v10, v12
	;; [unrolled: 3-line block ×3, first 2 shown]
	s_nop 1
	v_mov_b32_dpp v23, v13 row_bcast:15 row_mask:0xa bank_mask:0xf
	s_and_b64 exec, exec, vcc
	s_cbranch_execz .LBB92_21
; %bb.17:
	s_load_dwordx2 s[2:3], s[4:5], 0x38
	v_cmp_eq_f32_e32 vcc, 0, v3
	v_cmp_eq_f32_e64 s[0:1], 0, v4
	v_add_f32_e32 v10, v6, v7
	v_add_f32_e32 v12, v8, v9
	;; [unrolled: 1-line block ×8, first 2 shown]
	s_and_b64 s[0:1], vcc, s[0:1]
	s_and_saveexec_b64 s[4:5], s[0:1]
	s_xor_b64 s[0:1], exec, s[4:5]
	s_cbranch_execz .LBB92_19
; %bb.18:
	v_lshlrev_b32_e32 v3, 2, v5
	v_ashrrev_i32_e32 v4, 31, v3
	v_lshlrev_b64 v[3:4], 3, v[3:4]
	s_waitcnt lgkmcnt(0)
	v_mov_b32_e32 v5, s3
	v_add_co_u32_e32 v17, vcc, s2, v3
	v_addc_co_u32_e32 v18, vcc, v5, v4, vcc
	v_mul_f32_e64 v3, v9, -v2
	v_mul_f32_e32 v4, v1, v9
	v_mul_f32_e64 v13, v12, -v2
	v_mul_f32_e32 v14, v1, v12
	;; [unrolled: 2-line block ×3, first 2 shown]
	v_fmac_f32_e32 v3, v1, v6
	v_fmac_f32_e32 v4, v2, v6
	v_mul_f32_e64 v5, v7, -v2
	v_mul_f32_e32 v6, v1, v7
	v_fmac_f32_e32 v13, v1, v10
	v_fmac_f32_e32 v14, v2, v10
	;; [unrolled: 1-line block ×6, first 2 shown]
	global_store_dwordx4 v[17:18], v[13:16], off
	global_store_dwordx4 v[17:18], v[3:6], off offset:16
                                        ; implicit-def: $vgpr5
                                        ; implicit-def: $vgpr10
                                        ; implicit-def: $vgpr12
                                        ; implicit-def: $vgpr8
                                        ; implicit-def: $vgpr11
                                        ; implicit-def: $vgpr6
                                        ; implicit-def: $vgpr9
                                        ; implicit-def: $vgpr0
                                        ; implicit-def: $vgpr7
                                        ; implicit-def: $vgpr1_vgpr2
                                        ; implicit-def: $vgpr3_vgpr4
.LBB92_19:
	s_andn2_saveexec_b64 s[0:1], s[0:1]
	s_cbranch_execz .LBB92_21
; %bb.20:
	v_lshlrev_b32_e32 v13, 2, v5
	v_ashrrev_i32_e32 v14, 31, v13
	v_lshlrev_b64 v[13:14], 3, v[13:14]
	s_waitcnt lgkmcnt(0)
	v_mov_b32_e32 v5, s3
	v_add_co_u32_e32 v25, vcc, s2, v13
	v_addc_co_u32_e32 v26, vcc, v5, v14, vcc
	global_load_dwordx4 v[13:16], v[25:26], off
	global_load_dwordx4 v[17:20], v[25:26], off offset:16
	v_mul_f32_e64 v5, v12, -v2
	v_mul_f32_e32 v22, v1, v12
	v_mul_f32_e64 v12, v11, -v2
	v_mul_f32_e32 v24, v1, v11
	;; [unrolled: 2-line block ×4, first 2 shown]
	v_fmac_f32_e32 v5, v1, v10
	v_fmac_f32_e32 v22, v2, v10
	;; [unrolled: 1-line block ×8, first 2 shown]
	s_waitcnt vmcnt(1)
	v_fmac_f32_e32 v5, v3, v13
	v_fmac_f32_e32 v22, v4, v13
	;; [unrolled: 1-line block ×4, first 2 shown]
	s_waitcnt vmcnt(0)
	v_fmac_f32_e32 v27, v3, v17
	v_fmac_f32_e32 v9, v4, v17
	;; [unrolled: 1-line block ×4, first 2 shown]
	v_fma_f32 v21, -v4, v14, v5
	v_fmac_f32_e32 v22, v3, v14
	v_fma_f32 v23, -v4, v16, v12
	v_fmac_f32_e32 v24, v3, v16
	;; [unrolled: 2-line block ×4, first 2 shown]
	global_store_dwordx4 v[25:26], v[21:24], off
	global_store_dwordx4 v[25:26], v[8:11], off offset:16
.LBB92_21:
	s_endpgm
	.section	.rodata,"a",@progbits
	.p2align	6, 0x0
	.amdhsa_kernel _ZN9rocsparseL19gebsrmvn_4xn_kernelILj128ELj5ELj32E21rocsparse_complex_numIfEEEvi20rocsparse_direction_NS_24const_host_device_scalarIT2_EEPKiS8_PKS5_SA_S6_PS5_21rocsparse_index_base_b
		.amdhsa_group_segment_fixed_size 0
		.amdhsa_private_segment_fixed_size 0
		.amdhsa_kernarg_size 72
		.amdhsa_user_sgpr_count 6
		.amdhsa_user_sgpr_private_segment_buffer 1
		.amdhsa_user_sgpr_dispatch_ptr 0
		.amdhsa_user_sgpr_queue_ptr 0
		.amdhsa_user_sgpr_kernarg_segment_ptr 1
		.amdhsa_user_sgpr_dispatch_id 0
		.amdhsa_user_sgpr_flat_scratch_init 0
		.amdhsa_user_sgpr_private_segment_size 0
		.amdhsa_uses_dynamic_stack 0
		.amdhsa_system_sgpr_private_segment_wavefront_offset 0
		.amdhsa_system_sgpr_workgroup_id_x 1
		.amdhsa_system_sgpr_workgroup_id_y 0
		.amdhsa_system_sgpr_workgroup_id_z 0
		.amdhsa_system_sgpr_workgroup_info 0
		.amdhsa_system_vgpr_workitem_id 0
		.amdhsa_next_free_vgpr 54
		.amdhsa_next_free_sgpr 16
		.amdhsa_reserve_vcc 1
		.amdhsa_reserve_flat_scratch 0
		.amdhsa_float_round_mode_32 0
		.amdhsa_float_round_mode_16_64 0
		.amdhsa_float_denorm_mode_32 3
		.amdhsa_float_denorm_mode_16_64 3
		.amdhsa_dx10_clamp 1
		.amdhsa_ieee_mode 1
		.amdhsa_fp16_overflow 0
		.amdhsa_exception_fp_ieee_invalid_op 0
		.amdhsa_exception_fp_denorm_src 0
		.amdhsa_exception_fp_ieee_div_zero 0
		.amdhsa_exception_fp_ieee_overflow 0
		.amdhsa_exception_fp_ieee_underflow 0
		.amdhsa_exception_fp_ieee_inexact 0
		.amdhsa_exception_int_div_zero 0
	.end_amdhsa_kernel
	.section	.text._ZN9rocsparseL19gebsrmvn_4xn_kernelILj128ELj5ELj32E21rocsparse_complex_numIfEEEvi20rocsparse_direction_NS_24const_host_device_scalarIT2_EEPKiS8_PKS5_SA_S6_PS5_21rocsparse_index_base_b,"axG",@progbits,_ZN9rocsparseL19gebsrmvn_4xn_kernelILj128ELj5ELj32E21rocsparse_complex_numIfEEEvi20rocsparse_direction_NS_24const_host_device_scalarIT2_EEPKiS8_PKS5_SA_S6_PS5_21rocsparse_index_base_b,comdat
.Lfunc_end92:
	.size	_ZN9rocsparseL19gebsrmvn_4xn_kernelILj128ELj5ELj32E21rocsparse_complex_numIfEEEvi20rocsparse_direction_NS_24const_host_device_scalarIT2_EEPKiS8_PKS5_SA_S6_PS5_21rocsparse_index_base_b, .Lfunc_end92-_ZN9rocsparseL19gebsrmvn_4xn_kernelILj128ELj5ELj32E21rocsparse_complex_numIfEEEvi20rocsparse_direction_NS_24const_host_device_scalarIT2_EEPKiS8_PKS5_SA_S6_PS5_21rocsparse_index_base_b
                                        ; -- End function
	.set _ZN9rocsparseL19gebsrmvn_4xn_kernelILj128ELj5ELj32E21rocsparse_complex_numIfEEEvi20rocsparse_direction_NS_24const_host_device_scalarIT2_EEPKiS8_PKS5_SA_S6_PS5_21rocsparse_index_base_b.num_vgpr, 54
	.set _ZN9rocsparseL19gebsrmvn_4xn_kernelILj128ELj5ELj32E21rocsparse_complex_numIfEEEvi20rocsparse_direction_NS_24const_host_device_scalarIT2_EEPKiS8_PKS5_SA_S6_PS5_21rocsparse_index_base_b.num_agpr, 0
	.set _ZN9rocsparseL19gebsrmvn_4xn_kernelILj128ELj5ELj32E21rocsparse_complex_numIfEEEvi20rocsparse_direction_NS_24const_host_device_scalarIT2_EEPKiS8_PKS5_SA_S6_PS5_21rocsparse_index_base_b.numbered_sgpr, 16
	.set _ZN9rocsparseL19gebsrmvn_4xn_kernelILj128ELj5ELj32E21rocsparse_complex_numIfEEEvi20rocsparse_direction_NS_24const_host_device_scalarIT2_EEPKiS8_PKS5_SA_S6_PS5_21rocsparse_index_base_b.num_named_barrier, 0
	.set _ZN9rocsparseL19gebsrmvn_4xn_kernelILj128ELj5ELj32E21rocsparse_complex_numIfEEEvi20rocsparse_direction_NS_24const_host_device_scalarIT2_EEPKiS8_PKS5_SA_S6_PS5_21rocsparse_index_base_b.private_seg_size, 0
	.set _ZN9rocsparseL19gebsrmvn_4xn_kernelILj128ELj5ELj32E21rocsparse_complex_numIfEEEvi20rocsparse_direction_NS_24const_host_device_scalarIT2_EEPKiS8_PKS5_SA_S6_PS5_21rocsparse_index_base_b.uses_vcc, 1
	.set _ZN9rocsparseL19gebsrmvn_4xn_kernelILj128ELj5ELj32E21rocsparse_complex_numIfEEEvi20rocsparse_direction_NS_24const_host_device_scalarIT2_EEPKiS8_PKS5_SA_S6_PS5_21rocsparse_index_base_b.uses_flat_scratch, 0
	.set _ZN9rocsparseL19gebsrmvn_4xn_kernelILj128ELj5ELj32E21rocsparse_complex_numIfEEEvi20rocsparse_direction_NS_24const_host_device_scalarIT2_EEPKiS8_PKS5_SA_S6_PS5_21rocsparse_index_base_b.has_dyn_sized_stack, 0
	.set _ZN9rocsparseL19gebsrmvn_4xn_kernelILj128ELj5ELj32E21rocsparse_complex_numIfEEEvi20rocsparse_direction_NS_24const_host_device_scalarIT2_EEPKiS8_PKS5_SA_S6_PS5_21rocsparse_index_base_b.has_recursion, 0
	.set _ZN9rocsparseL19gebsrmvn_4xn_kernelILj128ELj5ELj32E21rocsparse_complex_numIfEEEvi20rocsparse_direction_NS_24const_host_device_scalarIT2_EEPKiS8_PKS5_SA_S6_PS5_21rocsparse_index_base_b.has_indirect_call, 0
	.section	.AMDGPU.csdata,"",@progbits
; Kernel info:
; codeLenInByte = 3424
; TotalNumSgprs: 20
; NumVgprs: 54
; ScratchSize: 0
; MemoryBound: 0
; FloatMode: 240
; IeeeMode: 1
; LDSByteSize: 0 bytes/workgroup (compile time only)
; SGPRBlocks: 2
; VGPRBlocks: 13
; NumSGPRsForWavesPerEU: 20
; NumVGPRsForWavesPerEU: 54
; Occupancy: 4
; WaveLimiterHint : 1
; COMPUTE_PGM_RSRC2:SCRATCH_EN: 0
; COMPUTE_PGM_RSRC2:USER_SGPR: 6
; COMPUTE_PGM_RSRC2:TRAP_HANDLER: 0
; COMPUTE_PGM_RSRC2:TGID_X_EN: 1
; COMPUTE_PGM_RSRC2:TGID_Y_EN: 0
; COMPUTE_PGM_RSRC2:TGID_Z_EN: 0
; COMPUTE_PGM_RSRC2:TIDIG_COMP_CNT: 0
	.section	.text._ZN9rocsparseL19gebsrmvn_4xn_kernelILj128ELj5ELj64E21rocsparse_complex_numIfEEEvi20rocsparse_direction_NS_24const_host_device_scalarIT2_EEPKiS8_PKS5_SA_S6_PS5_21rocsparse_index_base_b,"axG",@progbits,_ZN9rocsparseL19gebsrmvn_4xn_kernelILj128ELj5ELj64E21rocsparse_complex_numIfEEEvi20rocsparse_direction_NS_24const_host_device_scalarIT2_EEPKiS8_PKS5_SA_S6_PS5_21rocsparse_index_base_b,comdat
	.globl	_ZN9rocsparseL19gebsrmvn_4xn_kernelILj128ELj5ELj64E21rocsparse_complex_numIfEEEvi20rocsparse_direction_NS_24const_host_device_scalarIT2_EEPKiS8_PKS5_SA_S6_PS5_21rocsparse_index_base_b ; -- Begin function _ZN9rocsparseL19gebsrmvn_4xn_kernelILj128ELj5ELj64E21rocsparse_complex_numIfEEEvi20rocsparse_direction_NS_24const_host_device_scalarIT2_EEPKiS8_PKS5_SA_S6_PS5_21rocsparse_index_base_b
	.p2align	8
	.type	_ZN9rocsparseL19gebsrmvn_4xn_kernelILj128ELj5ELj64E21rocsparse_complex_numIfEEEvi20rocsparse_direction_NS_24const_host_device_scalarIT2_EEPKiS8_PKS5_SA_S6_PS5_21rocsparse_index_base_b,@function
_ZN9rocsparseL19gebsrmvn_4xn_kernelILj128ELj5ELj64E21rocsparse_complex_numIfEEEvi20rocsparse_direction_NS_24const_host_device_scalarIT2_EEPKiS8_PKS5_SA_S6_PS5_21rocsparse_index_base_b: ; @_ZN9rocsparseL19gebsrmvn_4xn_kernelILj128ELj5ELj64E21rocsparse_complex_numIfEEEvi20rocsparse_direction_NS_24const_host_device_scalarIT2_EEPKiS8_PKS5_SA_S6_PS5_21rocsparse_index_base_b
; %bb.0:
	s_load_dwordx2 s[0:1], s[4:5], 0x8
	s_load_dwordx2 s[8:9], s[4:5], 0x30
	;; [unrolled: 1-line block ×3, first 2 shown]
	s_add_u32 s7, s4, 8
	s_addc_u32 s10, s5, 0
	s_add_u32 s11, s4, 48
	s_addc_u32 s12, s5, 0
	s_waitcnt lgkmcnt(0)
	s_bitcmp1_b32 s3, 0
	s_cselect_b32 s1, s10, s1
	s_cselect_b32 s0, s7, s0
	v_mov_b32_e32 v1, s0
	v_mov_b32_e32 v2, s1
	flat_load_dwordx2 v[1:2], v[1:2]
	s_cselect_b32 s0, s12, s9
	s_cselect_b32 s1, s11, s8
	v_mov_b32_e32 v3, s1
	v_mov_b32_e32 v4, s0
	flat_load_dwordx2 v[3:4], v[3:4]
	s_waitcnt vmcnt(0) lgkmcnt(0)
	v_cmp_eq_f32_e32 vcc, 0, v1
	v_cmp_eq_f32_e64 s[0:1], 0, v2
	s_and_b64 s[10:11], vcc, s[0:1]
	s_mov_b64 s[0:1], -1
	s_and_saveexec_b64 s[8:9], s[10:11]
; %bb.1:
	v_cmp_neq_f32_e32 vcc, 1.0, v3
	v_cmp_neq_f32_e64 s[0:1], 0, v4
	s_or_b64 s[0:1], vcc, s[0:1]
	s_orn2_b64 s[0:1], s[0:1], exec
; %bb.2:
	s_or_b64 exec, exec, s[8:9]
	s_and_saveexec_b64 s[8:9], s[0:1]
	s_cbranch_execz .LBB93_21
; %bb.3:
	s_load_dwordx2 s[0:1], s[4:5], 0x0
	v_lshrrev_b32_e32 v5, 6, v0
	v_lshl_or_b32 v5, s6, 1, v5
	s_waitcnt lgkmcnt(0)
	v_cmp_gt_i32_e32 vcc, s0, v5
	s_and_b64 exec, exec, vcc
	s_cbranch_execz .LBB93_21
; %bb.4:
	s_load_dwordx8 s[8:15], s[4:5], 0x10
	v_ashrrev_i32_e32 v6, 31, v5
	v_lshlrev_b64 v[6:7], 2, v[5:6]
	v_and_b32_e32 v0, 63, v0
	s_cmp_lg_u32 s1, 0
	s_waitcnt lgkmcnt(0)
	v_mov_b32_e32 v8, s9
	v_add_co_u32_e32 v6, vcc, s8, v6
	v_addc_co_u32_e32 v7, vcc, v8, v7, vcc
	global_load_dwordx2 v[6:7], v[6:7], off
	s_waitcnt vmcnt(0)
	v_subrev_u32_e32 v6, s2, v6
	v_subrev_u32_e32 v17, s2, v7
	v_add_u32_e32 v6, v6, v0
	v_cmp_lt_i32_e64 s[0:1], v6, v17
	s_cbranch_scc0 .LBB93_10
; %bb.5:
	v_mov_b32_e32 v15, 0
	v_mov_b32_e32 v20, 0
	;; [unrolled: 1-line block ×8, first 2 shown]
	s_and_saveexec_b64 s[6:7], s[0:1]
	s_cbranch_execz .LBB93_9
; %bb.6:
	v_mad_u64_u32 v[7:8], s[8:9], v6, 20, 16
	v_mov_b32_e32 v10, 0
	s_mov_b64 s[8:9], 0
	v_mov_b32_e32 v22, s11
	v_mov_b32_e32 v23, s13
	;; [unrolled: 1-line block ×12, first 2 shown]
.LBB93_7:                               ; =>This Inner Loop Header: Depth=1
	v_ashrrev_i32_e32 v12, 31, v11
	v_lshlrev_b64 v[25:26], 2, v[11:12]
	v_add_u32_e32 v9, -16, v7
	v_lshlrev_b64 v[27:28], 3, v[9:10]
	v_add_co_u32_e32 v33, vcc, s10, v25
	v_mov_b32_e32 v8, v10
	v_addc_co_u32_e32 v34, vcc, v22, v26, vcc
	v_lshlrev_b64 v[29:30], 3, v[7:8]
	v_add_co_u32_e32 v35, vcc, s12, v27
	v_addc_co_u32_e32 v36, vcc, v23, v28, vcc
	v_add_co_u32_e32 v41, vcc, s12, v29
	v_addc_co_u32_e32 v42, vcc, v23, v30, vcc
	global_load_dword v12, v[33:34], off
	global_load_dwordx4 v[25:28], v[35:36], off
	global_load_dwordx4 v[29:32], v[35:36], off offset:16
	v_add_u32_e32 v9, -12, v7
	v_lshlrev_b64 v[8:9], 3, v[9:10]
	v_mov_b32_e32 v46, v10
	v_add_co_u32_e32 v8, vcc, s12, v8
	global_load_dwordx4 v[33:36], v[41:42], off
	global_load_dwordx4 v[37:40], v[41:42], off offset:16
	v_addc_co_u32_e32 v9, vcc, v23, v9, vcc
	v_add_u32_e32 v11, 64, v11
	s_waitcnt vmcnt(4)
	v_subrev_u32_e32 v12, s2, v12
	v_lshl_add_u32 v45, v12, 2, v12
	v_lshlrev_b64 v[41:42], 3, v[45:46]
	v_add_co_u32_e32 v46, vcc, s14, v41
	v_addc_co_u32_e32 v47, vcc, v24, v42, vcc
	global_load_dwordx4 v[41:44], v[8:9], off
	global_load_dwordx2 v[48:49], v[46:47], off
	s_waitcnt vmcnt(0)
	v_fmac_f32_e32 v20, v25, v48
	v_fmac_f32_e32 v15, v26, v48
	;; [unrolled: 1-line block ×4, first 2 shown]
	v_fma_f32 v12, -v26, v49, v20
	v_fmac_f32_e32 v15, v25, v49
	v_fma_f32 v50, -v28, v49, v21
	v_fmac_f32_e32 v16, v27, v49
	global_load_dwordx4 v[25:28], v[8:9], off offset:16
	v_add_u32_e32 v9, 1, v45
	v_lshlrev_b64 v[20:21], 3, v[9:10]
	v_fmac_f32_e32 v18, v31, v48
	v_add_co_u32_e32 v20, vcc, s14, v20
	v_fmac_f32_e32 v13, v32, v48
	v_addc_co_u32_e32 v21, vcc, v24, v21, vcc
	v_fma_f32 v51, -v32, v49, v18
	v_fmac_f32_e32 v13, v31, v49
	global_load_dwordx2 v[31:32], v[20:21], off
	v_add_u32_e32 v9, -8, v7
	v_fmac_f32_e32 v19, v29, v48
	v_fma_f32 v8, -v30, v49, v19
	v_lshlrev_b64 v[18:19], 3, v[9:10]
	v_fmac_f32_e32 v14, v30, v48
	v_add_u32_e32 v9, 2, v45
	v_fmac_f32_e32 v14, v29, v49
	v_lshlrev_b64 v[29:30], 3, v[9:10]
	v_add_co_u32_e32 v46, vcc, s12, v18
	v_addc_co_u32_e32 v47, vcc, v23, v19, vcc
	v_add_co_u32_e32 v29, vcc, s14, v29
	v_addc_co_u32_e32 v30, vcc, v24, v30, vcc
	global_load_dwordx4 v[18:21], v[46:47], off
	v_add_u32_e32 v9, -4, v7
	v_lshlrev_b64 v[48:49], 3, v[9:10]
	v_add_u32_e32 v9, 3, v45
	v_add_u32_e32 v7, 0x500, v7
	s_waitcnt vmcnt(1)
	v_fmac_f32_e32 v12, v41, v31
	v_fmac_f32_e32 v15, v42, v31
	v_fma_f32 v12, -v42, v32, v12
	v_fmac_f32_e32 v15, v41, v32
	global_load_dwordx2 v[41:42], v[29:30], off
	v_fmac_f32_e32 v50, v43, v31
	v_fmac_f32_e32 v16, v44, v31
	;; [unrolled: 1-line block ×6, first 2 shown]
	v_fma_f32 v50, -v44, v32, v50
	v_fmac_f32_e32 v16, v43, v32
	v_fma_f32 v52, -v26, v32, v8
	v_fmac_f32_e32 v14, v25, v32
	;; [unrolled: 2-line block ×3, first 2 shown]
	v_lshlrev_b64 v[31:32], 3, v[9:10]
	v_add_co_u32_e32 v43, vcc, s12, v48
	v_add_u32_e32 v9, 4, v45
	v_addc_co_u32_e32 v44, vcc, v23, v49, vcc
	global_load_dwordx4 v[25:28], v[46:47], off offset:16
	v_lshlrev_b64 v[8:9], 3, v[9:10]
	v_add_co_u32_e32 v45, vcc, s14, v31
	s_waitcnt vmcnt(1)
	v_fmac_f32_e32 v12, v18, v41
	v_fmac_f32_e32 v15, v19, v41
	;; [unrolled: 1-line block ×4, first 2 shown]
	v_fma_f32 v12, -v19, v42, v12
	v_fmac_f32_e32 v15, v18, v42
	v_fma_f32 v53, -v21, v42, v50
	v_fmac_f32_e32 v16, v20, v42
	global_load_dwordx4 v[18:21], v[43:44], off
	v_addc_co_u32_e32 v46, vcc, v24, v32, vcc
	v_add_co_u32_e32 v8, vcc, s14, v8
	v_addc_co_u32_e32 v9, vcc, v24, v9, vcc
	global_load_dwordx4 v[29:32], v[43:44], off offset:16
	global_load_dwordx2 v[47:48], v[45:46], off
	global_load_dwordx2 v[49:50], v[8:9], off
	v_cmp_ge_i32_e32 vcc, v11, v17
	s_or_b64 s[8:9], vcc, s[8:9]
	s_waitcnt vmcnt(4)
	v_fmac_f32_e32 v52, v25, v41
	v_fmac_f32_e32 v14, v26, v41
	;; [unrolled: 1-line block ×4, first 2 shown]
	v_fma_f32 v8, -v26, v42, v52
	v_fmac_f32_e32 v14, v25, v42
	v_fma_f32 v9, -v28, v42, v51
	v_fmac_f32_e32 v13, v27, v42
	s_waitcnt vmcnt(1)
	v_fmac_f32_e32 v12, v18, v47
	v_fmac_f32_e32 v15, v19, v47
	;; [unrolled: 1-line block ×8, first 2 shown]
	v_fma_f32 v12, -v19, v48, v12
	v_fmac_f32_e32 v15, v18, v48
	v_fma_f32 v18, -v21, v48, v53
	v_fmac_f32_e32 v16, v20, v48
	;; [unrolled: 2-line block ×4, first 2 shown]
	s_waitcnt vmcnt(0)
	v_fmac_f32_e32 v12, v33, v49
	v_fmac_f32_e32 v15, v34, v49
	v_fmac_f32_e32 v18, v35, v49
	v_fmac_f32_e32 v16, v36, v49
	v_fmac_f32_e32 v8, v37, v49
	v_fmac_f32_e32 v14, v38, v49
	v_fmac_f32_e32 v9, v39, v49
	v_fmac_f32_e32 v13, v40, v49
	v_fma_f32 v20, -v34, v50, v12
	v_fmac_f32_e32 v15, v33, v50
	v_fma_f32 v21, -v36, v50, v18
	v_fmac_f32_e32 v16, v35, v50
	;; [unrolled: 2-line block ×4, first 2 shown]
	s_andn2_b64 exec, exec, s[8:9]
	s_cbranch_execnz .LBB93_7
; %bb.8:
	s_or_b64 exec, exec, s[8:9]
.LBB93_9:
	s_or_b64 exec, exec, s[6:7]
	s_cbranch_execz .LBB93_11
	s_branch .LBB93_16
.LBB93_10:
                                        ; implicit-def: $vgpr15
                                        ; implicit-def: $vgpr20
                                        ; implicit-def: $vgpr18
                                        ; implicit-def: $vgpr13
                                        ; implicit-def: $vgpr19
                                        ; implicit-def: $vgpr14
                                        ; implicit-def: $vgpr21
                                        ; implicit-def: $vgpr16
.LBB93_11:
	v_mov_b32_e32 v15, 0
	v_mov_b32_e32 v20, 0
	;; [unrolled: 1-line block ×8, first 2 shown]
	s_and_saveexec_b64 s[6:7], s[0:1]
	s_cbranch_execz .LBB93_15
; %bb.12:
	v_mad_u64_u32 v[8:9], s[0:1], v6, 20, 19
	v_mov_b32_e32 v11, 0
	s_mov_b64 s[0:1], 0
	v_mov_b32_e32 v12, s11
	v_mov_b32_e32 v22, s13
	v_mov_b32_e32 v23, s15
	v_mov_b32_e32 v15, 0
	v_mov_b32_e32 v20, 0
	v_mov_b32_e32 v18, 0
	v_mov_b32_e32 v13, 0
	v_mov_b32_e32 v19, 0
	v_mov_b32_e32 v14, 0
	v_mov_b32_e32 v21, 0
	v_mov_b32_e32 v16, 0
.LBB93_13:                              ; =>This Inner Loop Header: Depth=1
	v_ashrrev_i32_e32 v7, 31, v6
	v_lshlrev_b64 v[30:31], 2, v[6:7]
	v_subrev_u32_e32 v10, 19, v8
	v_add_co_u32_e32 v30, vcc, s10, v30
	v_addc_co_u32_e32 v31, vcc, v12, v31, vcc
	global_load_dword v7, v[30:31], off
	v_lshlrev_b64 v[32:33], 3, v[10:11]
	v_add_u32_e32 v24, -14, v8
	v_mov_b32_e32 v25, v11
	v_lshlrev_b64 v[24:25], 3, v[24:25]
	v_add_co_u32_e32 v32, vcc, s12, v32
	v_add_u32_e32 v26, -9, v8
	v_mov_b32_e32 v27, v11
	v_addc_co_u32_e32 v33, vcc, v22, v33, vcc
	v_lshlrev_b64 v[26:27], 3, v[26:27]
	v_add_co_u32_e32 v24, vcc, s12, v24
	v_add_u32_e32 v28, -4, v8
	v_mov_b32_e32 v29, v11
	v_addc_co_u32_e32 v25, vcc, v22, v25, vcc
	v_lshlrev_b64 v[28:29], 3, v[28:29]
	v_add_co_u32_e32 v26, vcc, s12, v26
	v_mov_b32_e32 v9, v11
	v_addc_co_u32_e32 v27, vcc, v22, v27, vcc
	v_lshlrev_b64 v[9:10], 3, v[8:9]
	v_add_co_u32_e32 v28, vcc, s12, v28
	v_addc_co_u32_e32 v29, vcc, v22, v29, vcc
	v_add_co_u32_e32 v34, vcc, s12, v9
	v_addc_co_u32_e32 v35, vcc, v22, v10, vcc
	v_mov_b32_e32 v10, v11
	v_add_u32_e32 v6, 64, v6
	s_waitcnt vmcnt(0)
	v_subrev_u32_e32 v7, s2, v7
	v_lshl_add_u32 v9, v7, 2, v7
	v_lshlrev_b64 v[30:31], 3, v[9:10]
	v_add_u32_e32 v10, 1, v9
	v_add_co_u32_e32 v30, vcc, s14, v30
	v_addc_co_u32_e32 v31, vcc, v23, v31, vcc
	global_load_dwordx2 v[38:39], v[24:25], off
	global_load_dwordx2 v[40:41], v[26:27], off
	;; [unrolled: 1-line block ×4, first 2 shown]
	v_lshlrev_b64 v[36:37], 3, v[10:11]
	global_load_dwordx4 v[24:27], v[32:33], off
	global_load_dwordx4 v[28:31], v[32:33], off offset:16
	v_add_co_u32_e32 v36, vcc, s14, v36
	v_addc_co_u32_e32 v37, vcc, v23, v37, vcc
	v_add_u32_e32 v10, -13, v8
	s_waitcnt vmcnt(2)
	v_fmac_f32_e32 v19, v40, v44
	v_fmac_f32_e32 v14, v41, v44
	;; [unrolled: 1-line block ×3, first 2 shown]
	v_fma_f32 v41, -v41, v45, v19
	v_fmac_f32_e32 v14, v40, v45
	v_fma_f32 v40, -v43, v45, v18
	global_load_dwordx2 v[18:19], v[36:37], off
	s_waitcnt vmcnt(2)
	v_fmac_f32_e32 v20, v24, v44
	v_fma_f32 v20, -v25, v45, v20
	v_fmac_f32_e32 v21, v38, v44
	v_fma_f32 v7, -v39, v45, v21
	v_fmac_f32_e32 v15, v25, v44
	v_fmac_f32_e32 v15, v24, v45
	;; [unrolled: 1-line block ×6, first 2 shown]
	s_waitcnt vmcnt(0)
	v_fmac_f32_e32 v20, v26, v18
	v_fma_f32 v46, -v27, v19, v20
	v_lshlrev_b64 v[20:21], 3, v[10:11]
	v_add_u32_e32 v10, -8, v8
	v_add_co_u32_e32 v20, vcc, s12, v20
	v_lshlrev_b64 v[24:25], 3, v[10:11]
	v_fmac_f32_e32 v15, v27, v18
	v_addc_co_u32_e32 v21, vcc, v22, v21, vcc
	v_add_u32_e32 v10, -3, v8
	v_fmac_f32_e32 v15, v26, v19
	v_add_co_u32_e32 v24, vcc, s12, v24
	v_lshlrev_b64 v[26:27], 3, v[10:11]
	v_addc_co_u32_e32 v25, vcc, v22, v25, vcc
	v_add_co_u32_e32 v26, vcc, s12, v26
	v_addc_co_u32_e32 v27, vcc, v22, v27, vcc
	global_load_dwordx2 v[32:33], v[20:21], off
	global_load_dwordx2 v[36:37], v[24:25], off
	;; [unrolled: 1-line block ×3, first 2 shown]
	v_add_u32_e32 v10, 2, v9
	v_lshlrev_b64 v[20:21], 3, v[10:11]
	v_add_u32_e32 v10, -12, v8
	v_add_co_u32_e32 v20, vcc, s14, v20
	v_addc_co_u32_e32 v21, vcc, v23, v21, vcc
	s_waitcnt vmcnt(2)
	v_fmac_f32_e32 v7, v32, v18
	v_fmac_f32_e32 v16, v33, v18
	s_waitcnt vmcnt(1)
	v_fmac_f32_e32 v41, v36, v18
	v_fmac_f32_e32 v14, v37, v18
	;; [unrolled: 3-line block ×3, first 2 shown]
	v_fma_f32 v7, -v33, v19, v7
	v_fmac_f32_e32 v16, v32, v19
	v_fma_f32 v47, -v37, v19, v41
	v_fmac_f32_e32 v14, v36, v19
	v_fma_f32 v48, -v39, v19, v40
	v_fmac_f32_e32 v13, v38, v19
	v_lshlrev_b64 v[18:19], 3, v[10:11]
	v_add_u32_e32 v10, -7, v8
	v_add_co_u32_e32 v18, vcc, s12, v18
	v_lshlrev_b64 v[24:25], 3, v[10:11]
	v_addc_co_u32_e32 v19, vcc, v22, v19, vcc
	v_add_u32_e32 v10, -2, v8
	v_add_co_u32_e32 v24, vcc, s12, v24
	v_lshlrev_b64 v[26:27], 3, v[10:11]
	v_addc_co_u32_e32 v25, vcc, v22, v25, vcc
	v_add_u32_e32 v10, 3, v9
	v_add_co_u32_e32 v26, vcc, s12, v26
	v_lshlrev_b64 v[32:33], 3, v[10:11]
	v_addc_co_u32_e32 v27, vcc, v22, v27, vcc
	v_add_co_u32_e32 v32, vcc, s14, v32
	v_addc_co_u32_e32 v33, vcc, v23, v33, vcc
	global_load_dwordx2 v[38:39], v[20:21], off
	global_load_dwordx2 v[40:41], v[18:19], off
	;; [unrolled: 1-line block ×4, first 2 shown]
	v_add_u32_e32 v10, -11, v8
	global_load_dwordx2 v[20:21], v[32:33], off
	v_lshlrev_b64 v[36:37], 3, v[10:11]
	v_add_u32_e32 v10, -6, v8
	v_add_co_u32_e32 v36, vcc, s12, v36
	v_lshlrev_b64 v[18:19], 3, v[10:11]
	v_addc_co_u32_e32 v37, vcc, v22, v37, vcc
	v_add_u32_e32 v10, -1, v8
	v_add_co_u32_e32 v18, vcc, s12, v18
	v_addc_co_u32_e32 v19, vcc, v22, v19, vcc
	s_waitcnt vmcnt(4)
	v_fmac_f32_e32 v46, v28, v38
	v_fma_f32 v24, -v29, v39, v46
	s_waitcnt vmcnt(3)
	v_fmac_f32_e32 v7, v40, v38
	s_waitcnt vmcnt(1)
	v_fmac_f32_e32 v13, v45, v38
	v_fmac_f32_e32 v48, v44, v38
	s_waitcnt vmcnt(0)
	v_fmac_f32_e32 v24, v30, v20
	v_fmac_f32_e32 v13, v44, v39
	v_fma_f32 v44, -v31, v21, v24
	v_lshlrev_b64 v[24:25], 3, v[10:11]
	v_add_u32_e32 v10, -15, v8
	v_lshlrev_b64 v[26:27], 3, v[10:11]
	v_add_co_u32_e32 v24, vcc, s12, v24
	v_addc_co_u32_e32 v25, vcc, v22, v25, vcc
	v_fmac_f32_e32 v16, v41, v38
	v_fmac_f32_e32 v47, v42, v38
	;; [unrolled: 1-line block ×4, first 2 shown]
	v_add_co_u32_e32 v26, vcc, s12, v26
	v_fma_f32 v7, -v41, v39, v7
	v_fmac_f32_e32 v16, v40, v39
	v_fma_f32 v47, -v43, v39, v47
	v_fmac_f32_e32 v14, v42, v39
	;; [unrolled: 2-line block ×3, first 2 shown]
	v_addc_co_u32_e32 v27, vcc, v22, v27, vcc
	global_load_dwordx2 v[32:33], v[36:37], off
	global_load_dwordx2 v[38:39], v[18:19], off
	;; [unrolled: 1-line block ×4, first 2 shown]
	v_add_u32_e32 v10, 4, v9
	v_lshlrev_b64 v[9:10], 3, v[10:11]
	v_fmac_f32_e32 v15, v31, v20
	v_add_co_u32_e32 v28, vcc, s14, v9
	v_addc_co_u32_e32 v29, vcc, v23, v10, vcc
	v_add_u32_e32 v10, -10, v8
	v_lshlrev_b64 v[9:10], 3, v[10:11]
	v_fmac_f32_e32 v15, v30, v21
	v_add_co_u32_e32 v30, vcc, s12, v9
	v_addc_co_u32_e32 v31, vcc, v22, v10, vcc
	v_add_u32_e32 v10, -5, v8
	v_lshlrev_b64 v[9:10], 3, v[10:11]
	v_add_u32_e32 v8, 0x500, v8
	v_add_co_u32_e32 v9, vcc, s12, v9
	v_addc_co_u32_e32 v10, vcc, v22, v10, vcc
	v_cmp_ge_i32_e32 vcc, v6, v17
	s_or_b64 s[0:1], vcc, s[0:1]
	s_waitcnt vmcnt(3)
	v_fmac_f32_e32 v7, v32, v20
	v_fmac_f32_e32 v16, v33, v20
	v_fma_f32 v7, -v33, v21, v7
	v_fmac_f32_e32 v16, v32, v21
	global_load_dwordx2 v[24:25], v[28:29], off
	global_load_dwordx2 v[18:19], v[30:31], off
	;; [unrolled: 1-line block ×4, first 2 shown]
	s_waitcnt vmcnt(6)
	v_fmac_f32_e32 v47, v38, v20
	v_fmac_f32_e32 v14, v39, v20
	s_waitcnt vmcnt(5)
	v_fmac_f32_e32 v45, v40, v20
	v_fmac_f32_e32 v13, v41, v20
	v_fma_f32 v36, -v39, v21, v47
	v_fmac_f32_e32 v14, v38, v21
	v_fma_f32 v9, -v41, v21, v45
	v_fmac_f32_e32 v13, v40, v21
	s_waitcnt vmcnt(3)
	v_fmac_f32_e32 v44, v42, v24
	v_fmac_f32_e32 v15, v43, v24
	s_waitcnt vmcnt(2)
	v_fmac_f32_e32 v7, v18, v24
	;; [unrolled: 3-line block ×4, first 2 shown]
	v_fmac_f32_e32 v13, v33, v24
	v_fma_f32 v20, -v43, v25, v44
	v_fmac_f32_e32 v15, v42, v25
	v_fma_f32 v21, -v19, v25, v7
	;; [unrolled: 2-line block ×4, first 2 shown]
	v_fmac_f32_e32 v13, v32, v25
	s_andn2_b64 exec, exec, s[0:1]
	s_cbranch_execnz .LBB93_13
; %bb.14:
	s_or_b64 exec, exec, s[0:1]
.LBB93_15:
	s_or_b64 exec, exec, s[6:7]
.LBB93_16:
	v_mov_b32_dpp v10, v21 row_shr:1 row_mask:0xf bank_mask:0xf
	v_add_f32_e32 v10, v21, v10
	v_mov_b32_dpp v6, v20 row_shr:1 row_mask:0xf bank_mask:0xf
	v_mov_b32_dpp v8, v15 row_shr:1 row_mask:0xf bank_mask:0xf
	;; [unrolled: 1-line block ×3, first 2 shown]
	v_add_f32_e32 v10, v10, v11
	v_add_f32_e32 v6, v20, v6
	;; [unrolled: 1-line block ×3, first 2 shown]
	v_mov_b32_dpp v11, v10 row_shr:4 row_mask:0xf bank_mask:0xe
	v_add_f32_e32 v10, v10, v11
	v_mov_b32_dpp v7, v6 row_shr:2 row_mask:0xf bank_mask:0xf
	v_mov_b32_dpp v9, v8 row_shr:2 row_mask:0xf bank_mask:0xf
	;; [unrolled: 1-line block ×3, first 2 shown]
	v_add_f32_e32 v10, v10, v11
	v_add_f32_e32 v6, v6, v7
	;; [unrolled: 1-line block ×3, first 2 shown]
	v_mov_b32_dpp v11, v10 row_bcast:15 row_mask:0xa bank_mask:0xf
	v_add_f32_e32 v11, v10, v11
	v_mov_b32_dpp v10, v16 row_shr:1 row_mask:0xf bank_mask:0xf
	v_add_f32_e32 v10, v16, v10
	v_mov_b32_dpp v7, v6 row_shr:4 row_mask:0xf bank_mask:0xe
	v_mov_b32_dpp v9, v8 row_shr:4 row_mask:0xf bank_mask:0xe
	;; [unrolled: 1-line block ×3, first 2 shown]
	v_add_f32_e32 v10, v10, v12
	v_add_f32_e32 v6, v6, v7
	;; [unrolled: 1-line block ×3, first 2 shown]
	v_mov_b32_dpp v12, v10 row_shr:4 row_mask:0xf bank_mask:0xe
	v_add_f32_e32 v10, v10, v12
	v_mov_b32_dpp v7, v6 row_shr:8 row_mask:0xf bank_mask:0xc
	v_mov_b32_dpp v9, v8 row_shr:8 row_mask:0xf bank_mask:0xc
	;; [unrolled: 1-line block ×3, first 2 shown]
	v_add_f32_e32 v10, v10, v12
	v_add_f32_e32 v6, v6, v7
	;; [unrolled: 1-line block ×3, first 2 shown]
	v_mov_b32_dpp v12, v10 row_bcast:15 row_mask:0xa bank_mask:0xf
	v_add_f32_e32 v16, v10, v12
	v_mov_b32_dpp v10, v19 row_shr:1 row_mask:0xf bank_mask:0xf
	v_add_f32_e32 v10, v19, v10
	v_mov_b32_dpp v7, v6 row_bcast:15 row_mask:0xa bank_mask:0xf
	v_mov_b32_dpp v9, v8 row_bcast:15 row_mask:0xa bank_mask:0xf
	v_mov_b32_dpp v12, v10 row_shr:2 row_mask:0xf bank_mask:0xf
	v_add_f32_e32 v10, v10, v12
	v_add_f32_e32 v6, v6, v7
	;; [unrolled: 1-line block ×3, first 2 shown]
	v_mov_b32_dpp v12, v10 row_shr:4 row_mask:0xf bank_mask:0xe
	v_add_f32_e32 v10, v10, v12
	v_mov_b32_dpp v7, v6 row_bcast:31 row_mask:0xc bank_mask:0xf
	v_mov_b32_dpp v9, v8 row_bcast:31 row_mask:0xc bank_mask:0xf
	v_mov_b32_dpp v12, v10 row_shr:8 row_mask:0xf bank_mask:0xc
	v_add_f32_e32 v10, v10, v12
	v_mov_b32_dpp v15, v11 row_bcast:31 row_mask:0xc bank_mask:0xf
	v_mov_b32_dpp v17, v16 row_bcast:31 row_mask:0xc bank_mask:0xf
	;; [unrolled: 1-line block ×3, first 2 shown]
	v_add_f32_e32 v19, v10, v12
	v_mov_b32_dpp v10, v14 row_shr:1 row_mask:0xf bank_mask:0xf
	v_add_f32_e32 v10, v14, v10
	v_mov_b32_dpp v20, v19 row_bcast:31 row_mask:0xc bank_mask:0xf
	v_cmp_eq_u32_e32 vcc, 63, v0
	v_mov_b32_dpp v12, v10 row_shr:2 row_mask:0xf bank_mask:0xf
	v_add_f32_e32 v10, v10, v12
	s_nop 1
	v_mov_b32_dpp v12, v10 row_shr:4 row_mask:0xf bank_mask:0xe
	v_add_f32_e32 v10, v10, v12
	s_nop 1
	v_mov_b32_dpp v12, v10 row_shr:8 row_mask:0xf bank_mask:0xc
	v_add_f32_e32 v10, v10, v12
	s_nop 1
	v_mov_b32_dpp v12, v10 row_bcast:15 row_mask:0xa bank_mask:0xf
	v_add_f32_e32 v14, v10, v12
	v_mov_b32_dpp v10, v18 row_shr:1 row_mask:0xf bank_mask:0xf
	v_add_f32_e32 v10, v18, v10
	v_mov_b32_dpp v21, v14 row_bcast:31 row_mask:0xc bank_mask:0xf
	s_nop 0
	v_mov_b32_dpp v12, v10 row_shr:2 row_mask:0xf bank_mask:0xf
	v_add_f32_e32 v10, v10, v12
	s_nop 1
	v_mov_b32_dpp v12, v10 row_shr:4 row_mask:0xf bank_mask:0xe
	v_add_f32_e32 v10, v10, v12
	;; [unrolled: 3-line block ×3, first 2 shown]
	s_nop 1
	v_mov_b32_dpp v12, v10 row_bcast:15 row_mask:0xa bank_mask:0xf
	v_add_f32_e32 v18, v10, v12
	v_mov_b32_dpp v10, v13 row_shr:1 row_mask:0xf bank_mask:0xf
	v_add_f32_e32 v10, v13, v10
	v_mov_b32_dpp v22, v18 row_bcast:31 row_mask:0xc bank_mask:0xf
	s_nop 0
	v_mov_b32_dpp v12, v10 row_shr:2 row_mask:0xf bank_mask:0xf
	v_add_f32_e32 v10, v10, v12
	s_nop 1
	v_mov_b32_dpp v12, v10 row_shr:4 row_mask:0xf bank_mask:0xe
	v_add_f32_e32 v10, v10, v12
	s_nop 1
	v_mov_b32_dpp v12, v10 row_shr:8 row_mask:0xf bank_mask:0xc
	v_add_f32_e32 v10, v10, v12
	s_nop 1
	v_mov_b32_dpp v12, v10 row_bcast:15 row_mask:0xa bank_mask:0xf
	v_add_f32_e32 v13, v10, v12
	s_nop 1
	v_mov_b32_dpp v23, v13 row_bcast:31 row_mask:0xc bank_mask:0xf
	s_and_b64 exec, exec, vcc
	s_cbranch_execz .LBB93_21
; %bb.17:
	s_load_dwordx2 s[2:3], s[4:5], 0x38
	v_cmp_eq_f32_e32 vcc, 0, v3
	v_cmp_eq_f32_e64 s[0:1], 0, v4
	v_add_f32_e32 v10, v6, v7
	v_add_f32_e32 v12, v8, v9
	;; [unrolled: 1-line block ×8, first 2 shown]
	s_and_b64 s[0:1], vcc, s[0:1]
	s_and_saveexec_b64 s[4:5], s[0:1]
	s_xor_b64 s[0:1], exec, s[4:5]
	s_cbranch_execz .LBB93_19
; %bb.18:
	v_lshlrev_b32_e32 v3, 2, v5
	v_ashrrev_i32_e32 v4, 31, v3
	v_lshlrev_b64 v[3:4], 3, v[3:4]
	s_waitcnt lgkmcnt(0)
	v_mov_b32_e32 v5, s3
	v_add_co_u32_e32 v17, vcc, s2, v3
	v_addc_co_u32_e32 v18, vcc, v5, v4, vcc
	v_mul_f32_e64 v3, v9, -v2
	v_mul_f32_e32 v4, v1, v9
	v_mul_f32_e64 v13, v12, -v2
	v_mul_f32_e32 v14, v1, v12
	;; [unrolled: 2-line block ×3, first 2 shown]
	v_fmac_f32_e32 v3, v1, v6
	v_fmac_f32_e32 v4, v2, v6
	v_mul_f32_e64 v5, v7, -v2
	v_mul_f32_e32 v6, v1, v7
	v_fmac_f32_e32 v13, v1, v10
	v_fmac_f32_e32 v14, v2, v10
	;; [unrolled: 1-line block ×6, first 2 shown]
	global_store_dwordx4 v[17:18], v[13:16], off
	global_store_dwordx4 v[17:18], v[3:6], off offset:16
                                        ; implicit-def: $vgpr5
                                        ; implicit-def: $vgpr10
                                        ; implicit-def: $vgpr12
                                        ; implicit-def: $vgpr8
                                        ; implicit-def: $vgpr11
                                        ; implicit-def: $vgpr6
                                        ; implicit-def: $vgpr9
                                        ; implicit-def: $vgpr0
                                        ; implicit-def: $vgpr7
                                        ; implicit-def: $vgpr1_vgpr2
                                        ; implicit-def: $vgpr3_vgpr4
.LBB93_19:
	s_andn2_saveexec_b64 s[0:1], s[0:1]
	s_cbranch_execz .LBB93_21
; %bb.20:
	v_lshlrev_b32_e32 v13, 2, v5
	v_ashrrev_i32_e32 v14, 31, v13
	v_lshlrev_b64 v[13:14], 3, v[13:14]
	s_waitcnt lgkmcnt(0)
	v_mov_b32_e32 v5, s3
	v_add_co_u32_e32 v25, vcc, s2, v13
	v_addc_co_u32_e32 v26, vcc, v5, v14, vcc
	global_load_dwordx4 v[13:16], v[25:26], off
	global_load_dwordx4 v[17:20], v[25:26], off offset:16
	v_mul_f32_e64 v5, v12, -v2
	v_mul_f32_e32 v22, v1, v12
	v_mul_f32_e64 v12, v11, -v2
	v_mul_f32_e32 v24, v1, v11
	;; [unrolled: 2-line block ×4, first 2 shown]
	v_fmac_f32_e32 v5, v1, v10
	v_fmac_f32_e32 v22, v2, v10
	;; [unrolled: 1-line block ×8, first 2 shown]
	s_waitcnt vmcnt(1)
	v_fmac_f32_e32 v5, v3, v13
	v_fmac_f32_e32 v22, v4, v13
	;; [unrolled: 1-line block ×4, first 2 shown]
	s_waitcnt vmcnt(0)
	v_fmac_f32_e32 v27, v3, v17
	v_fmac_f32_e32 v9, v4, v17
	;; [unrolled: 1-line block ×4, first 2 shown]
	v_fma_f32 v21, -v4, v14, v5
	v_fmac_f32_e32 v22, v3, v14
	v_fma_f32 v23, -v4, v16, v12
	v_fmac_f32_e32 v24, v3, v16
	;; [unrolled: 2-line block ×4, first 2 shown]
	global_store_dwordx4 v[25:26], v[21:24], off
	global_store_dwordx4 v[25:26], v[8:11], off offset:16
.LBB93_21:
	s_endpgm
	.section	.rodata,"a",@progbits
	.p2align	6, 0x0
	.amdhsa_kernel _ZN9rocsparseL19gebsrmvn_4xn_kernelILj128ELj5ELj64E21rocsparse_complex_numIfEEEvi20rocsparse_direction_NS_24const_host_device_scalarIT2_EEPKiS8_PKS5_SA_S6_PS5_21rocsparse_index_base_b
		.amdhsa_group_segment_fixed_size 0
		.amdhsa_private_segment_fixed_size 0
		.amdhsa_kernarg_size 72
		.amdhsa_user_sgpr_count 6
		.amdhsa_user_sgpr_private_segment_buffer 1
		.amdhsa_user_sgpr_dispatch_ptr 0
		.amdhsa_user_sgpr_queue_ptr 0
		.amdhsa_user_sgpr_kernarg_segment_ptr 1
		.amdhsa_user_sgpr_dispatch_id 0
		.amdhsa_user_sgpr_flat_scratch_init 0
		.amdhsa_user_sgpr_private_segment_size 0
		.amdhsa_uses_dynamic_stack 0
		.amdhsa_system_sgpr_private_segment_wavefront_offset 0
		.amdhsa_system_sgpr_workgroup_id_x 1
		.amdhsa_system_sgpr_workgroup_id_y 0
		.amdhsa_system_sgpr_workgroup_id_z 0
		.amdhsa_system_sgpr_workgroup_info 0
		.amdhsa_system_vgpr_workitem_id 0
		.amdhsa_next_free_vgpr 54
		.amdhsa_next_free_sgpr 16
		.amdhsa_reserve_vcc 1
		.amdhsa_reserve_flat_scratch 0
		.amdhsa_float_round_mode_32 0
		.amdhsa_float_round_mode_16_64 0
		.amdhsa_float_denorm_mode_32 3
		.amdhsa_float_denorm_mode_16_64 3
		.amdhsa_dx10_clamp 1
		.amdhsa_ieee_mode 1
		.amdhsa_fp16_overflow 0
		.amdhsa_exception_fp_ieee_invalid_op 0
		.amdhsa_exception_fp_denorm_src 0
		.amdhsa_exception_fp_ieee_div_zero 0
		.amdhsa_exception_fp_ieee_overflow 0
		.amdhsa_exception_fp_ieee_underflow 0
		.amdhsa_exception_fp_ieee_inexact 0
		.amdhsa_exception_int_div_zero 0
	.end_amdhsa_kernel
	.section	.text._ZN9rocsparseL19gebsrmvn_4xn_kernelILj128ELj5ELj64E21rocsparse_complex_numIfEEEvi20rocsparse_direction_NS_24const_host_device_scalarIT2_EEPKiS8_PKS5_SA_S6_PS5_21rocsparse_index_base_b,"axG",@progbits,_ZN9rocsparseL19gebsrmvn_4xn_kernelILj128ELj5ELj64E21rocsparse_complex_numIfEEEvi20rocsparse_direction_NS_24const_host_device_scalarIT2_EEPKiS8_PKS5_SA_S6_PS5_21rocsparse_index_base_b,comdat
.Lfunc_end93:
	.size	_ZN9rocsparseL19gebsrmvn_4xn_kernelILj128ELj5ELj64E21rocsparse_complex_numIfEEEvi20rocsparse_direction_NS_24const_host_device_scalarIT2_EEPKiS8_PKS5_SA_S6_PS5_21rocsparse_index_base_b, .Lfunc_end93-_ZN9rocsparseL19gebsrmvn_4xn_kernelILj128ELj5ELj64E21rocsparse_complex_numIfEEEvi20rocsparse_direction_NS_24const_host_device_scalarIT2_EEPKiS8_PKS5_SA_S6_PS5_21rocsparse_index_base_b
                                        ; -- End function
	.set _ZN9rocsparseL19gebsrmvn_4xn_kernelILj128ELj5ELj64E21rocsparse_complex_numIfEEEvi20rocsparse_direction_NS_24const_host_device_scalarIT2_EEPKiS8_PKS5_SA_S6_PS5_21rocsparse_index_base_b.num_vgpr, 54
	.set _ZN9rocsparseL19gebsrmvn_4xn_kernelILj128ELj5ELj64E21rocsparse_complex_numIfEEEvi20rocsparse_direction_NS_24const_host_device_scalarIT2_EEPKiS8_PKS5_SA_S6_PS5_21rocsparse_index_base_b.num_agpr, 0
	.set _ZN9rocsparseL19gebsrmvn_4xn_kernelILj128ELj5ELj64E21rocsparse_complex_numIfEEEvi20rocsparse_direction_NS_24const_host_device_scalarIT2_EEPKiS8_PKS5_SA_S6_PS5_21rocsparse_index_base_b.numbered_sgpr, 16
	.set _ZN9rocsparseL19gebsrmvn_4xn_kernelILj128ELj5ELj64E21rocsparse_complex_numIfEEEvi20rocsparse_direction_NS_24const_host_device_scalarIT2_EEPKiS8_PKS5_SA_S6_PS5_21rocsparse_index_base_b.num_named_barrier, 0
	.set _ZN9rocsparseL19gebsrmvn_4xn_kernelILj128ELj5ELj64E21rocsparse_complex_numIfEEEvi20rocsparse_direction_NS_24const_host_device_scalarIT2_EEPKiS8_PKS5_SA_S6_PS5_21rocsparse_index_base_b.private_seg_size, 0
	.set _ZN9rocsparseL19gebsrmvn_4xn_kernelILj128ELj5ELj64E21rocsparse_complex_numIfEEEvi20rocsparse_direction_NS_24const_host_device_scalarIT2_EEPKiS8_PKS5_SA_S6_PS5_21rocsparse_index_base_b.uses_vcc, 1
	.set _ZN9rocsparseL19gebsrmvn_4xn_kernelILj128ELj5ELj64E21rocsparse_complex_numIfEEEvi20rocsparse_direction_NS_24const_host_device_scalarIT2_EEPKiS8_PKS5_SA_S6_PS5_21rocsparse_index_base_b.uses_flat_scratch, 0
	.set _ZN9rocsparseL19gebsrmvn_4xn_kernelILj128ELj5ELj64E21rocsparse_complex_numIfEEEvi20rocsparse_direction_NS_24const_host_device_scalarIT2_EEPKiS8_PKS5_SA_S6_PS5_21rocsparse_index_base_b.has_dyn_sized_stack, 0
	.set _ZN9rocsparseL19gebsrmvn_4xn_kernelILj128ELj5ELj64E21rocsparse_complex_numIfEEEvi20rocsparse_direction_NS_24const_host_device_scalarIT2_EEPKiS8_PKS5_SA_S6_PS5_21rocsparse_index_base_b.has_recursion, 0
	.set _ZN9rocsparseL19gebsrmvn_4xn_kernelILj128ELj5ELj64E21rocsparse_complex_numIfEEEvi20rocsparse_direction_NS_24const_host_device_scalarIT2_EEPKiS8_PKS5_SA_S6_PS5_21rocsparse_index_base_b.has_indirect_call, 0
	.section	.AMDGPU.csdata,"",@progbits
; Kernel info:
; codeLenInByte = 3536
; TotalNumSgprs: 20
; NumVgprs: 54
; ScratchSize: 0
; MemoryBound: 0
; FloatMode: 240
; IeeeMode: 1
; LDSByteSize: 0 bytes/workgroup (compile time only)
; SGPRBlocks: 2
; VGPRBlocks: 13
; NumSGPRsForWavesPerEU: 20
; NumVGPRsForWavesPerEU: 54
; Occupancy: 4
; WaveLimiterHint : 1
; COMPUTE_PGM_RSRC2:SCRATCH_EN: 0
; COMPUTE_PGM_RSRC2:USER_SGPR: 6
; COMPUTE_PGM_RSRC2:TRAP_HANDLER: 0
; COMPUTE_PGM_RSRC2:TGID_X_EN: 1
; COMPUTE_PGM_RSRC2:TGID_Y_EN: 0
; COMPUTE_PGM_RSRC2:TGID_Z_EN: 0
; COMPUTE_PGM_RSRC2:TIDIG_COMP_CNT: 0
	.section	.text._ZN9rocsparseL19gebsrmvn_4xn_kernelILj128ELj6ELj4E21rocsparse_complex_numIfEEEvi20rocsparse_direction_NS_24const_host_device_scalarIT2_EEPKiS8_PKS5_SA_S6_PS5_21rocsparse_index_base_b,"axG",@progbits,_ZN9rocsparseL19gebsrmvn_4xn_kernelILj128ELj6ELj4E21rocsparse_complex_numIfEEEvi20rocsparse_direction_NS_24const_host_device_scalarIT2_EEPKiS8_PKS5_SA_S6_PS5_21rocsparse_index_base_b,comdat
	.globl	_ZN9rocsparseL19gebsrmvn_4xn_kernelILj128ELj6ELj4E21rocsparse_complex_numIfEEEvi20rocsparse_direction_NS_24const_host_device_scalarIT2_EEPKiS8_PKS5_SA_S6_PS5_21rocsparse_index_base_b ; -- Begin function _ZN9rocsparseL19gebsrmvn_4xn_kernelILj128ELj6ELj4E21rocsparse_complex_numIfEEEvi20rocsparse_direction_NS_24const_host_device_scalarIT2_EEPKiS8_PKS5_SA_S6_PS5_21rocsparse_index_base_b
	.p2align	8
	.type	_ZN9rocsparseL19gebsrmvn_4xn_kernelILj128ELj6ELj4E21rocsparse_complex_numIfEEEvi20rocsparse_direction_NS_24const_host_device_scalarIT2_EEPKiS8_PKS5_SA_S6_PS5_21rocsparse_index_base_b,@function
_ZN9rocsparseL19gebsrmvn_4xn_kernelILj128ELj6ELj4E21rocsparse_complex_numIfEEEvi20rocsparse_direction_NS_24const_host_device_scalarIT2_EEPKiS8_PKS5_SA_S6_PS5_21rocsparse_index_base_b: ; @_ZN9rocsparseL19gebsrmvn_4xn_kernelILj128ELj6ELj4E21rocsparse_complex_numIfEEEvi20rocsparse_direction_NS_24const_host_device_scalarIT2_EEPKiS8_PKS5_SA_S6_PS5_21rocsparse_index_base_b
; %bb.0:
	s_load_dwordx2 s[0:1], s[4:5], 0x8
	s_load_dwordx2 s[2:3], s[4:5], 0x30
	;; [unrolled: 1-line block ×3, first 2 shown]
	s_add_u32 s7, s4, 8
	s_addc_u32 s8, s5, 0
	s_add_u32 s9, s4, 48
	s_addc_u32 s10, s5, 0
	s_waitcnt lgkmcnt(0)
	s_bitcmp1_b32 s17, 0
	s_cselect_b32 s1, s8, s1
	s_cselect_b32 s0, s7, s0
	v_mov_b32_e32 v1, s0
	v_mov_b32_e32 v2, s1
	flat_load_dwordx2 v[1:2], v[1:2]
	s_cselect_b32 s0, s10, s3
	s_cselect_b32 s1, s9, s2
	v_mov_b32_e32 v3, s1
	v_mov_b32_e32 v4, s0
	flat_load_dwordx2 v[3:4], v[3:4]
	s_waitcnt vmcnt(0) lgkmcnt(0)
	v_cmp_eq_f32_e32 vcc, 0, v1
	v_cmp_eq_f32_e64 s[0:1], 0, v2
	s_and_b64 s[8:9], vcc, s[0:1]
	s_mov_b64 s[0:1], -1
	s_and_saveexec_b64 s[2:3], s[8:9]
; %bb.1:
	v_cmp_neq_f32_e32 vcc, 1.0, v3
	v_cmp_neq_f32_e64 s[0:1], 0, v4
	s_or_b64 s[0:1], vcc, s[0:1]
	s_orn2_b64 s[0:1], s[0:1], exec
; %bb.2:
	s_or_b64 exec, exec, s[2:3]
	s_and_saveexec_b64 s[2:3], s[0:1]
	s_cbranch_execz .LBB94_21
; %bb.3:
	s_load_dwordx2 s[0:1], s[4:5], 0x0
	v_lshrrev_b32_e32 v5, 2, v0
	v_lshl_or_b32 v5, s6, 5, v5
	s_waitcnt lgkmcnt(0)
	v_cmp_gt_i32_e32 vcc, s0, v5
	s_and_b64 exec, exec, vcc
	s_cbranch_execz .LBB94_21
; %bb.4:
	s_load_dwordx8 s[8:15], s[4:5], 0x10
	v_ashrrev_i32_e32 v6, 31, v5
	v_lshlrev_b64 v[6:7], 2, v[5:6]
	v_and_b32_e32 v0, 3, v0
	s_cmp_lg_u32 s1, 0
	s_waitcnt lgkmcnt(0)
	v_mov_b32_e32 v8, s9
	v_add_co_u32_e32 v6, vcc, s8, v6
	v_addc_co_u32_e32 v7, vcc, v8, v7, vcc
	global_load_dwordx2 v[6:7], v[6:7], off
	s_waitcnt vmcnt(0)
	v_subrev_u32_e32 v6, s16, v6
	v_subrev_u32_e32 v15, s16, v7
	v_add_u32_e32 v6, v6, v0
	v_cmp_lt_i32_e64 s[0:1], v6, v15
	s_cbranch_scc0 .LBB94_10
; %bb.5:
	v_mov_b32_e32 v14, 0
	v_mov_b32_e32 v20, 0
	;; [unrolled: 1-line block ×8, first 2 shown]
	s_and_saveexec_b64 s[8:9], s[0:1]
	s_cbranch_execz .LBB94_9
; %bb.6:
	v_mad_u64_u32 v[7:8], s[2:3], v6, 24, 20
	v_mov_b32_e32 v10, 0
	s_mov_b64 s[18:19], 0
	v_mov_b32_e32 v22, s11
	v_mov_b32_e32 v23, s13
	;; [unrolled: 1-line block ×12, first 2 shown]
.LBB94_7:                               ; =>This Inner Loop Header: Depth=1
	v_ashrrev_i32_e32 v12, 31, v11
	v_subrev_u32_e32 v9, 20, v7
	v_mov_b32_e32 v8, v10
	v_lshlrev_b64 v[25:26], 2, v[11:12]
	v_lshlrev_b64 v[27:28], 3, v[9:10]
	;; [unrolled: 1-line block ×3, first 2 shown]
	v_add_u32_e32 v9, -12, v7
	v_lshlrev_b64 v[8:9], 3, v[9:10]
	v_add_co_u32_e32 v31, vcc, s10, v25
	v_add_co_u32_e64 v33, s[2:3], s12, v27
	v_add_co_u32_e64 v39, s[6:7], s12, v29
	v_addc_co_u32_e32 v32, vcc, v22, v26, vcc
	v_addc_co_u32_e64 v34, vcc, v23, v28, s[2:3]
	v_addc_co_u32_e64 v40, vcc, v23, v30, s[6:7]
	v_add_co_u32_e32 v41, vcc, s12, v8
	global_load_dword v8, v[31:32], off
	global_load_dwordx4 v[25:28], v[33:34], off
	v_mov_b32_e32 v38, v10
	v_addc_co_u32_e32 v42, vcc, v23, v9, vcc
	v_add_u32_e32 v11, 4, v11
	s_waitcnt vmcnt(1)
	v_subrev_u32_e32 v8, s16, v8
	v_mul_lo_u32 v37, v8, 6
	v_lshlrev_b64 v[29:30], 3, v[37:38]
	v_add_u32_e32 v9, 2, v37
	v_add_co_u32_e64 v29, s[2:3], s14, v29
	v_addc_co_u32_e64 v30, s[2:3], v24, v30, s[2:3]
	global_load_dwordx4 v[29:32], v[29:30], off
	s_waitcnt vmcnt(0)
	v_fmac_f32_e32 v20, v25, v29
	v_fmac_f32_e32 v14, v26, v29
	;; [unrolled: 1-line block ×4, first 2 shown]
	v_fma_f32 v8, -v26, v30, v20
	v_fmac_f32_e32 v14, v25, v30
	v_fma_f32 v12, -v28, v30, v21
	v_fmac_f32_e32 v17, v27, v30
	global_load_dwordx4 v[25:28], v[33:34], off offset:16
	s_waitcnt vmcnt(0)
	v_fmac_f32_e32 v19, v25, v29
	v_fmac_f32_e32 v16, v26, v29
	;; [unrolled: 1-line block ×4, first 2 shown]
	v_fma_f32 v29, -v26, v30, v19
	v_fmac_f32_e32 v16, v25, v30
	v_fma_f32 v38, -v28, v30, v18
	v_fmac_f32_e32 v13, v27, v30
	global_load_dwordx4 v[18:21], v[33:34], off offset:32
	global_load_dwordx4 v[25:28], v[33:34], off offset:48
	s_waitcnt vmcnt(1)
	v_fmac_f32_e32 v8, v18, v31
	s_waitcnt vmcnt(0)
	v_fmac_f32_e32 v29, v25, v31
	v_fmac_f32_e32 v16, v26, v31
	v_fma_f32 v43, -v26, v32, v29
	v_fmac_f32_e32 v16, v25, v32
	v_lshlrev_b64 v[25:26], 3, v[9:10]
	v_fmac_f32_e32 v14, v19, v31
	v_add_co_u32_e32 v25, vcc, s14, v25
	v_fmac_f32_e32 v12, v20, v31
	v_fmac_f32_e32 v17, v21, v31
	;; [unrolled: 1-line block ×4, first 2 shown]
	v_addc_co_u32_e32 v26, vcc, v24, v26, vcc
	v_fma_f32 v8, -v19, v32, v8
	v_fmac_f32_e32 v14, v18, v32
	v_fma_f32 v12, -v21, v32, v12
	v_fmac_f32_e32 v17, v20, v32
	;; [unrolled: 2-line block ×3, first 2 shown]
	global_load_dwordx4 v[18:21], v[41:42], off
	v_add_u32_e32 v9, -8, v7
	global_load_dwordx4 v[25:28], v[25:26], off
	s_waitcnt vmcnt(0)
	v_fmac_f32_e32 v8, v18, v25
	v_fmac_f32_e32 v14, v19, v25
	v_fma_f32 v8, -v19, v26, v8
	v_fmac_f32_e32 v14, v18, v26
	v_lshlrev_b64 v[18:19], 3, v[9:10]
	v_fmac_f32_e32 v12, v20, v25
	v_fmac_f32_e32 v17, v21, v25
	v_add_co_u32_e32 v31, vcc, s12, v18
	v_fma_f32 v12, -v21, v26, v12
	v_fmac_f32_e32 v17, v20, v26
	v_addc_co_u32_e32 v32, vcc, v23, v19, vcc
	global_load_dwordx4 v[18:21], v[41:42], off offset:16
	v_add_u32_e32 v9, -4, v7
	global_load_dwordx4 v[33:36], v[39:40], off
	v_lshlrev_b64 v[29:30], 3, v[9:10]
	v_add_u32_e32 v9, 4, v37
	v_add_co_u32_e32 v29, vcc, s12, v29
	v_addc_co_u32_e32 v30, vcc, v23, v30, vcc
	v_add_u32_e32 v7, 0x60, v7
	s_waitcnt vmcnt(1)
	v_fmac_f32_e32 v43, v18, v25
	v_fmac_f32_e32 v16, v19, v25
	;; [unrolled: 1-line block ×4, first 2 shown]
	v_fma_f32 v25, -v19, v26, v43
	v_fmac_f32_e32 v16, v18, v26
	v_fma_f32 v37, -v21, v26, v38
	v_fmac_f32_e32 v13, v20, v26
	global_load_dwordx4 v[18:21], v[31:32], off
	s_waitcnt vmcnt(0)
	v_fmac_f32_e32 v8, v18, v27
	v_fmac_f32_e32 v14, v19, v27
	;; [unrolled: 1-line block ×4, first 2 shown]
	v_fma_f32 v38, -v19, v28, v8
	v_fmac_f32_e32 v14, v18, v28
	v_fma_f32 v12, -v21, v28, v12
	v_fmac_f32_e32 v17, v20, v28
	global_load_dwordx4 v[18:21], v[31:32], off offset:16
	v_lshlrev_b64 v[8:9], 3, v[9:10]
	v_add_co_u32_e32 v8, vcc, s14, v8
	v_addc_co_u32_e32 v9, vcc, v24, v9, vcc
	v_cmp_ge_i32_e32 vcc, v11, v15
	s_or_b64 s[18:19], vcc, s[18:19]
	s_waitcnt vmcnt(0)
	v_fmac_f32_e32 v25, v18, v27
	v_fmac_f32_e32 v16, v19, v27
	;; [unrolled: 1-line block ×4, first 2 shown]
	v_fma_f32 v41, -v19, v28, v25
	v_fmac_f32_e32 v16, v18, v28
	v_fma_f32 v37, -v21, v28, v37
	v_fmac_f32_e32 v13, v20, v28
	global_load_dwordx4 v[18:21], v[29:30], off offset:16
	global_load_dwordx4 v[25:28], v[29:30], off
	s_nop 0
	global_load_dwordx4 v[29:32], v[8:9], off
	s_waitcnt vmcnt(0)
	v_fmac_f32_e32 v38, v25, v29
	v_fmac_f32_e32 v14, v26, v29
	;; [unrolled: 1-line block ×4, first 2 shown]
	v_fma_f32 v8, -v26, v30, v38
	v_fmac_f32_e32 v14, v25, v30
	v_fma_f32 v9, -v28, v30, v12
	v_fmac_f32_e32 v17, v27, v30
	global_load_dwordx4 v[25:28], v[39:40], off offset:16
	v_fmac_f32_e32 v41, v18, v29
	v_fmac_f32_e32 v16, v19, v29
	;; [unrolled: 1-line block ×4, first 2 shown]
	v_fma_f32 v12, -v19, v30, v41
	v_fmac_f32_e32 v16, v18, v30
	v_fma_f32 v18, -v21, v30, v37
	v_fmac_f32_e32 v13, v20, v30
	v_fmac_f32_e32 v8, v33, v31
	;; [unrolled: 1-line block ×5, first 2 shown]
	v_fma_f32 v20, -v34, v32, v8
	v_fmac_f32_e32 v14, v33, v32
	v_fma_f32 v21, -v36, v32, v9
	v_fmac_f32_e32 v17, v35, v32
	s_waitcnt vmcnt(0)
	v_fmac_f32_e32 v12, v25, v31
	v_fmac_f32_e32 v16, v26, v31
	;; [unrolled: 1-line block ×4, first 2 shown]
	v_fma_f32 v19, -v26, v32, v12
	v_fmac_f32_e32 v16, v25, v32
	v_fma_f32 v18, -v28, v32, v18
	v_fmac_f32_e32 v13, v27, v32
	s_andn2_b64 exec, exec, s[18:19]
	s_cbranch_execnz .LBB94_7
; %bb.8:
	s_or_b64 exec, exec, s[18:19]
.LBB94_9:
	s_or_b64 exec, exec, s[8:9]
	s_cbranch_execz .LBB94_11
	s_branch .LBB94_16
.LBB94_10:
                                        ; implicit-def: $vgpr14
                                        ; implicit-def: $vgpr20
                                        ; implicit-def: $vgpr18
                                        ; implicit-def: $vgpr13
                                        ; implicit-def: $vgpr19
                                        ; implicit-def: $vgpr16
                                        ; implicit-def: $vgpr21
                                        ; implicit-def: $vgpr17
.LBB94_11:
	v_mov_b32_e32 v14, 0
	v_mov_b32_e32 v20, 0
	;; [unrolled: 1-line block ×8, first 2 shown]
	s_and_saveexec_b64 s[2:3], s[0:1]
	s_cbranch_execz .LBB94_15
; %bb.12:
	v_mad_u64_u32 v[8:9], s[0:1], v6, 24, 23
	v_mov_b32_e32 v11, 0
	s_mov_b64 s[0:1], 0
	v_mov_b32_e32 v12, s11
	v_mov_b32_e32 v22, s13
	;; [unrolled: 1-line block ×11, first 2 shown]
.LBB94_13:                              ; =>This Inner Loop Header: Depth=1
	v_ashrrev_i32_e32 v7, 31, v6
	v_lshlrev_b64 v[28:29], 2, v[6:7]
	v_subrev_u32_e32 v10, 23, v8
	v_lshlrev_b64 v[30:31], 3, v[10:11]
	v_add_co_u32_e32 v32, vcc, s10, v28
	v_add_u32_e32 v24, -11, v8
	v_mov_b32_e32 v25, v11
	v_addc_co_u32_e32 v33, vcc, v12, v29, vcc
	v_lshlrev_b64 v[24:25], 3, v[24:25]
	v_add_co_u32_e32 v46, vcc, s12, v30
	v_add_u32_e32 v26, -5, v8
	v_mov_b32_e32 v27, v11
	v_addc_co_u32_e32 v47, vcc, v22, v31, vcc
	v_lshlrev_b64 v[26:27], 3, v[26:27]
	v_add_co_u32_e32 v48, vcc, s12, v24
	v_addc_co_u32_e32 v49, vcc, v22, v25, vcc
	v_add_co_u32_e32 v50, vcc, s12, v26
	v_addc_co_u32_e32 v51, vcc, v22, v27, vcc
	global_load_dword v7, v[32:33], off
	global_load_dwordx4 v[24:27], v[46:47], off
	global_load_dwordx4 v[28:31], v[46:47], off offset:16
	v_mov_b32_e32 v41, v11
	v_mov_b32_e32 v9, v11
	v_lshlrev_b64 v[42:43], 3, v[8:9]
	v_add_u32_e32 v10, -10, v8
	v_lshlrev_b64 v[44:45], 3, v[10:11]
	v_add_u32_e32 v10, -4, v8
	v_add_u32_e32 v6, 4, v6
	s_waitcnt vmcnt(2)
	v_subrev_u32_e32 v7, s16, v7
	v_mul_lo_u32 v40, v7, 6
	v_lshlrev_b64 v[32:33], 3, v[40:41]
	v_add_co_u32_e32 v32, vcc, s14, v32
	v_addc_co_u32_e32 v33, vcc, v23, v33, vcc
	global_load_dwordx4 v[32:35], v[32:33], off
	v_add_co_u32_e32 v41, vcc, s12, v42
	v_addc_co_u32_e32 v42, vcc, v22, v43, vcc
	s_waitcnt vmcnt(0)
	v_fmac_f32_e32 v20, v24, v32
	v_fmac_f32_e32 v14, v25, v32
	v_fma_f32 v7, -v25, v33, v20
	v_fmac_f32_e32 v14, v24, v33
	v_fmac_f32_e32 v7, v26, v34
	;; [unrolled: 1-line block ×3, first 2 shown]
	v_fma_f32 v7, -v27, v35, v7
	v_fmac_f32_e32 v14, v26, v35
	global_load_dwordx4 v[24:27], v[46:47], off offset:48
	global_load_dwordx4 v[36:39], v[46:47], off offset:32
	v_add_co_u32_e32 v20, vcc, s12, v44
	s_waitcnt vmcnt(1)
	v_fmac_f32_e32 v21, v24, v32
	v_fma_f32 v9, -v25, v33, v21
	v_fmac_f32_e32 v9, v26, v34
	v_fma_f32 v61, -v27, v35, v9
	v_lshlrev_b64 v[9:10], 3, v[10:11]
	v_fmac_f32_e32 v17, v25, v32
	v_addc_co_u32_e32 v21, vcc, v22, v45, vcc
	v_fmac_f32_e32 v17, v24, v33
	v_add_co_u32_e32 v24, vcc, s12, v9
	v_addc_co_u32_e32 v25, vcc, v22, v10, vcc
	v_add_u32_e32 v10, 2, v40
	v_lshlrev_b64 v[9:10], 3, v[10:11]
	v_fmac_f32_e32 v17, v27, v34
	v_fmac_f32_e32 v17, v26, v35
	v_add_co_u32_e32 v26, vcc, s14, v9
	v_addc_co_u32_e32 v27, vcc, v23, v10, vcc
	v_add_u32_e32 v10, -15, v8
	v_lshlrev_b64 v[9:10], 3, v[10:11]
	v_add_co_u32_e32 v43, vcc, s12, v9
	v_addc_co_u32_e32 v44, vcc, v22, v10, vcc
	v_add_u32_e32 v10, -9, v8
	v_lshlrev_b64 v[9:10], 3, v[10:11]
	v_add_co_u32_e32 v45, vcc, s12, v9
	v_addc_co_u32_e32 v46, vcc, v22, v10, vcc
	global_load_dwordx2 v[9:10], v[48:49], off
	global_load_dwordx2 v[52:53], v[50:51], off
	;; [unrolled: 1-line block ×4, first 2 shown]
	s_waitcnt vmcnt(3)
	v_fmac_f32_e32 v19, v9, v32
	v_fma_f32 v19, -v10, v33, v19
	v_fmac_f32_e32 v16, v10, v32
	s_waitcnt vmcnt(2)
	v_fmac_f32_e32 v18, v52, v32
	v_add_u32_e32 v10, -3, v8
	s_waitcnt vmcnt(1)
	v_fmac_f32_e32 v19, v54, v34
	v_fmac_f32_e32 v16, v9, v33
	v_fma_f32 v9, -v53, v33, v18
	v_fma_f32 v62, -v55, v35, v19
	v_lshlrev_b64 v[18:19], 3, v[10:11]
	v_add_u32_e32 v10, -14, v8
	v_lshlrev_b64 v[20:21], 3, v[10:11]
	v_add_co_u32_e32 v24, vcc, s12, v18
	v_add_u32_e32 v10, -8, v8
	v_addc_co_u32_e32 v25, vcc, v22, v19, vcc
	v_fmac_f32_e32 v13, v53, v32
	v_lshlrev_b64 v[18:19], 3, v[10:11]
	v_add_co_u32_e32 v32, vcc, s12, v20
	v_fmac_f32_e32 v13, v52, v33
	v_addc_co_u32_e32 v33, vcc, v22, v21, vcc
	v_add_co_u32_e32 v47, vcc, s12, v18
	v_addc_co_u32_e32 v48, vcc, v22, v19, vcc
	global_load_dwordx4 v[18:21], v[26:27], off
	v_fmac_f32_e32 v16, v55, v34
	s_waitcnt vmcnt(1)
	v_fmac_f32_e32 v9, v56, v34
	v_fmac_f32_e32 v13, v57, v34
	v_add_u32_e32 v10, -2, v8
	v_fmac_f32_e32 v16, v54, v35
	v_fma_f32 v63, -v57, v35, v9
	v_fmac_f32_e32 v13, v56, v35
	v_lshlrev_b64 v[34:35], 3, v[10:11]
	v_add_u32_e32 v10, 4, v40
	v_lshlrev_b64 v[26:27], 3, v[10:11]
	v_add_u32_e32 v10, -13, v8
	v_lshlrev_b64 v[9:10], 3, v[10:11]
	s_waitcnt vmcnt(0)
	v_fmac_f32_e32 v14, v29, v18
	v_fmac_f32_e32 v7, v28, v18
	;; [unrolled: 1-line block ×3, first 2 shown]
	v_add_co_u32_e32 v28, vcc, s12, v34
	v_fma_f32 v7, -v29, v19, v7
	v_fmac_f32_e32 v14, v31, v20
	v_addc_co_u32_e32 v29, vcc, v22, v35, vcc
	v_fmac_f32_e32 v7, v30, v20
	v_fmac_f32_e32 v14, v30, v21
	v_add_co_u32_e32 v30, vcc, s14, v26
	v_fma_f32 v7, -v31, v21, v7
	v_addc_co_u32_e32 v31, vcc, v23, v27, vcc
	global_load_dwordx2 v[26:27], v[43:44], off
	global_load_dwordx2 v[55:56], v[45:46], off
	;; [unrolled: 1-line block ×4, first 2 shown]
	v_add_co_u32_e32 v34, vcc, s12, v9
	v_addc_co_u32_e32 v35, vcc, v22, v10, vcc
	v_add_u32_e32 v10, -7, v8
	v_lshlrev_b64 v[9:10], 3, v[10:11]
	v_add_co_u32_e32 v49, vcc, s12, v9
	v_addc_co_u32_e32 v50, vcc, v22, v10, vcc
	v_add_u32_e32 v10, -1, v8
	v_lshlrev_b64 v[9:10], 3, v[10:11]
	;; [unrolled: 4-line block ×4, first 2 shown]
	v_add_u32_e32 v8, 0x60, v8
	v_add_co_u32_e32 v9, vcc, s12, v9
	v_addc_co_u32_e32 v10, vcc, v22, v10, vcc
	v_cmp_ge_i32_e32 vcc, v6, v15
	s_or_b64 s[0:1], vcc, s[0:1]
	s_waitcnt vmcnt(3)
	v_fmac_f32_e32 v61, v26, v18
	v_fmac_f32_e32 v17, v27, v18
	s_waitcnt vmcnt(2)
	v_fmac_f32_e32 v62, v55, v18
	v_fmac_f32_e32 v16, v56, v18
	;; [unrolled: 3-line block ×3, first 2 shown]
	v_fma_f32 v24, -v27, v19, v61
	v_fmac_f32_e32 v17, v26, v19
	v_fma_f32 v25, -v56, v19, v62
	v_fmac_f32_e32 v16, v55, v19
	;; [unrolled: 2-line block ×3, first 2 shown]
	global_load_dwordx2 v[18:19], v[47:48], off
	global_load_dwordx2 v[32:33], v[28:29], off
	s_waitcnt vmcnt(2)
	v_fmac_f32_e32 v24, v59, v20
	v_fma_f32 v57, -v60, v21, v24
	v_fmac_f32_e32 v17, v60, v20
	v_fmac_f32_e32 v17, v59, v21
	s_waitcnt vmcnt(1)
	v_fmac_f32_e32 v25, v18, v20
	v_fmac_f32_e32 v16, v19, v20
	v_fma_f32 v58, -v19, v21, v25
	v_fmac_f32_e32 v16, v18, v21
	global_load_dwordx4 v[24:27], v[30:31], off
	global_load_dwordx2 v[18:19], v[34:35], off
	global_load_dwordx2 v[28:29], v[49:50], off
	;; [unrolled: 1-line block ×6, first 2 shown]
	s_waitcnt vmcnt(7)
	v_fmac_f32_e32 v40, v32, v20
	v_fmac_f32_e32 v13, v33, v20
	v_fma_f32 v9, -v33, v21, v40
	v_fmac_f32_e32 v13, v32, v21
	s_waitcnt vmcnt(6)
	v_fmac_f32_e32 v7, v36, v24
	v_fma_f32 v7, -v37, v25, v7
	v_fmac_f32_e32 v14, v37, v24
	s_waitcnt vmcnt(5)
	v_fmac_f32_e32 v57, v18, v24
	v_fmac_f32_e32 v17, v19, v24
	;; [unrolled: 1-line block ×3, first 2 shown]
	s_waitcnt vmcnt(4)
	v_fmac_f32_e32 v58, v28, v24
	v_fmac_f32_e32 v16, v29, v24
	s_waitcnt vmcnt(3)
	v_fmac_f32_e32 v9, v43, v24
	v_fmac_f32_e32 v13, v44, v24
	;; [unrolled: 1-line block ×3, first 2 shown]
	v_fma_f32 v10, -v19, v25, v57
	v_fmac_f32_e32 v17, v18, v25
	v_fma_f32 v20, -v39, v27, v7
	v_fma_f32 v7, -v29, v25, v58
	v_fmac_f32_e32 v16, v28, v25
	v_fma_f32 v9, -v44, v25, v9
	v_fmac_f32_e32 v13, v43, v25
	v_fmac_f32_e32 v14, v39, v26
	s_waitcnt vmcnt(2)
	v_fmac_f32_e32 v10, v45, v26
	v_fmac_f32_e32 v17, v46, v26
	s_waitcnt vmcnt(1)
	;; [unrolled: 3-line block ×3, first 2 shown]
	v_fmac_f32_e32 v9, v55, v26
	v_fmac_f32_e32 v13, v56, v26
	;; [unrolled: 1-line block ×3, first 2 shown]
	v_fma_f32 v21, -v46, v27, v10
	v_fmac_f32_e32 v17, v45, v27
	v_fma_f32 v19, -v48, v27, v7
	v_fmac_f32_e32 v16, v47, v27
	;; [unrolled: 2-line block ×3, first 2 shown]
	s_andn2_b64 exec, exec, s[0:1]
	s_cbranch_execnz .LBB94_13
; %bb.14:
	s_or_b64 exec, exec, s[0:1]
.LBB94_15:
	s_or_b64 exec, exec, s[2:3]
.LBB94_16:
	v_mov_b32_dpp v10, v21 row_shr:1 row_mask:0xf bank_mask:0xf
	v_add_f32_e32 v11, v21, v10
	v_mov_b32_dpp v6, v20 row_shr:1 row_mask:0xf bank_mask:0xf
	v_mov_b32_dpp v10, v17 row_shr:1 row_mask:0xf bank_mask:0xf
	v_add_f32_e32 v15, v17, v10
	v_mov_b32_dpp v8, v14 row_shr:1 row_mask:0xf bank_mask:0xf
	v_mov_b32_dpp v10, v19 row_shr:1 row_mask:0xf bank_mask:0xf
	v_add_f32_e32 v19, v19, v10
	v_add_f32_e32 v6, v20, v6
	v_mov_b32_dpp v10, v16 row_shr:1 row_mask:0xf bank_mask:0xf
	v_add_f32_e32 v16, v16, v10
	v_add_f32_e32 v8, v14, v8
	v_mov_b32_dpp v10, v18 row_shr:1 row_mask:0xf bank_mask:0xf
	v_add_f32_e32 v18, v18, v10
	v_mov_b32_dpp v7, v6 row_shr:2 row_mask:0xf bank_mask:0xf
	v_mov_b32_dpp v10, v13 row_shr:1 row_mask:0xf bank_mask:0xf
	v_add_f32_e32 v13, v13, v10
	v_mov_b32_dpp v9, v8 row_shr:2 row_mask:0xf bank_mask:0xf
	v_mov_b32_dpp v14, v11 row_shr:2 row_mask:0xf bank_mask:0xf
	;; [unrolled: 1-line block ×7, first 2 shown]
	v_cmp_eq_u32_e32 vcc, 3, v0
	s_and_b64 exec, exec, vcc
	s_cbranch_execz .LBB94_21
; %bb.17:
	s_load_dwordx2 s[2:3], s[4:5], 0x38
	v_cmp_eq_f32_e32 vcc, 0, v3
	v_cmp_eq_f32_e64 s[0:1], 0, v4
	v_add_f32_e32 v10, v6, v7
	v_add_f32_e32 v12, v8, v9
	;; [unrolled: 1-line block ×8, first 2 shown]
	s_and_b64 s[0:1], vcc, s[0:1]
	s_and_saveexec_b64 s[4:5], s[0:1]
	s_xor_b64 s[0:1], exec, s[4:5]
	s_cbranch_execz .LBB94_19
; %bb.18:
	v_lshlrev_b32_e32 v3, 2, v5
	v_ashrrev_i32_e32 v4, 31, v3
	v_lshlrev_b64 v[3:4], 3, v[3:4]
	s_waitcnt lgkmcnt(0)
	v_mov_b32_e32 v5, s3
	v_add_co_u32_e32 v17, vcc, s2, v3
	v_addc_co_u32_e32 v18, vcc, v5, v4, vcc
	v_mul_f32_e64 v3, v9, -v2
	v_mul_f32_e32 v4, v1, v9
	v_mul_f32_e64 v13, v12, -v2
	v_mul_f32_e32 v14, v1, v12
	;; [unrolled: 2-line block ×3, first 2 shown]
	v_fmac_f32_e32 v3, v1, v6
	v_fmac_f32_e32 v4, v2, v6
	v_mul_f32_e64 v5, v7, -v2
	v_mul_f32_e32 v6, v1, v7
	v_fmac_f32_e32 v13, v1, v10
	v_fmac_f32_e32 v14, v2, v10
	;; [unrolled: 1-line block ×6, first 2 shown]
	global_store_dwordx4 v[17:18], v[13:16], off
	global_store_dwordx4 v[17:18], v[3:6], off offset:16
                                        ; implicit-def: $vgpr5
                                        ; implicit-def: $vgpr10
                                        ; implicit-def: $vgpr12
                                        ; implicit-def: $vgpr8
                                        ; implicit-def: $vgpr11
                                        ; implicit-def: $vgpr6
                                        ; implicit-def: $vgpr9
                                        ; implicit-def: $vgpr0
                                        ; implicit-def: $vgpr7
                                        ; implicit-def: $vgpr1_vgpr2
                                        ; implicit-def: $vgpr3_vgpr4
.LBB94_19:
	s_andn2_saveexec_b64 s[0:1], s[0:1]
	s_cbranch_execz .LBB94_21
; %bb.20:
	v_lshlrev_b32_e32 v13, 2, v5
	v_ashrrev_i32_e32 v14, 31, v13
	v_lshlrev_b64 v[13:14], 3, v[13:14]
	s_waitcnt lgkmcnt(0)
	v_mov_b32_e32 v5, s3
	v_add_co_u32_e32 v25, vcc, s2, v13
	v_addc_co_u32_e32 v26, vcc, v5, v14, vcc
	global_load_dwordx4 v[13:16], v[25:26], off
	global_load_dwordx4 v[17:20], v[25:26], off offset:16
	v_mul_f32_e64 v5, v12, -v2
	v_mul_f32_e32 v22, v1, v12
	v_mul_f32_e64 v12, v11, -v2
	v_mul_f32_e32 v24, v1, v11
	;; [unrolled: 2-line block ×4, first 2 shown]
	v_fmac_f32_e32 v5, v1, v10
	v_fmac_f32_e32 v22, v2, v10
	;; [unrolled: 1-line block ×8, first 2 shown]
	s_waitcnt vmcnt(1)
	v_fmac_f32_e32 v5, v3, v13
	v_fmac_f32_e32 v22, v4, v13
	v_fmac_f32_e32 v12, v3, v15
	v_fmac_f32_e32 v24, v4, v15
	s_waitcnt vmcnt(0)
	v_fmac_f32_e32 v27, v3, v17
	v_fmac_f32_e32 v9, v4, v17
	;; [unrolled: 1-line block ×4, first 2 shown]
	v_fma_f32 v21, -v4, v14, v5
	v_fmac_f32_e32 v22, v3, v14
	v_fma_f32 v23, -v4, v16, v12
	v_fmac_f32_e32 v24, v3, v16
	;; [unrolled: 2-line block ×4, first 2 shown]
	global_store_dwordx4 v[25:26], v[21:24], off
	global_store_dwordx4 v[25:26], v[8:11], off offset:16
.LBB94_21:
	s_endpgm
	.section	.rodata,"a",@progbits
	.p2align	6, 0x0
	.amdhsa_kernel _ZN9rocsparseL19gebsrmvn_4xn_kernelILj128ELj6ELj4E21rocsparse_complex_numIfEEEvi20rocsparse_direction_NS_24const_host_device_scalarIT2_EEPKiS8_PKS5_SA_S6_PS5_21rocsparse_index_base_b
		.amdhsa_group_segment_fixed_size 0
		.amdhsa_private_segment_fixed_size 0
		.amdhsa_kernarg_size 72
		.amdhsa_user_sgpr_count 6
		.amdhsa_user_sgpr_private_segment_buffer 1
		.amdhsa_user_sgpr_dispatch_ptr 0
		.amdhsa_user_sgpr_queue_ptr 0
		.amdhsa_user_sgpr_kernarg_segment_ptr 1
		.amdhsa_user_sgpr_dispatch_id 0
		.amdhsa_user_sgpr_flat_scratch_init 0
		.amdhsa_user_sgpr_private_segment_size 0
		.amdhsa_uses_dynamic_stack 0
		.amdhsa_system_sgpr_private_segment_wavefront_offset 0
		.amdhsa_system_sgpr_workgroup_id_x 1
		.amdhsa_system_sgpr_workgroup_id_y 0
		.amdhsa_system_sgpr_workgroup_id_z 0
		.amdhsa_system_sgpr_workgroup_info 0
		.amdhsa_system_vgpr_workitem_id 0
		.amdhsa_next_free_vgpr 64
		.amdhsa_next_free_sgpr 20
		.amdhsa_reserve_vcc 1
		.amdhsa_reserve_flat_scratch 0
		.amdhsa_float_round_mode_32 0
		.amdhsa_float_round_mode_16_64 0
		.amdhsa_float_denorm_mode_32 3
		.amdhsa_float_denorm_mode_16_64 3
		.amdhsa_dx10_clamp 1
		.amdhsa_ieee_mode 1
		.amdhsa_fp16_overflow 0
		.amdhsa_exception_fp_ieee_invalid_op 0
		.amdhsa_exception_fp_denorm_src 0
		.amdhsa_exception_fp_ieee_div_zero 0
		.amdhsa_exception_fp_ieee_overflow 0
		.amdhsa_exception_fp_ieee_underflow 0
		.amdhsa_exception_fp_ieee_inexact 0
		.amdhsa_exception_int_div_zero 0
	.end_amdhsa_kernel
	.section	.text._ZN9rocsparseL19gebsrmvn_4xn_kernelILj128ELj6ELj4E21rocsparse_complex_numIfEEEvi20rocsparse_direction_NS_24const_host_device_scalarIT2_EEPKiS8_PKS5_SA_S6_PS5_21rocsparse_index_base_b,"axG",@progbits,_ZN9rocsparseL19gebsrmvn_4xn_kernelILj128ELj6ELj4E21rocsparse_complex_numIfEEEvi20rocsparse_direction_NS_24const_host_device_scalarIT2_EEPKiS8_PKS5_SA_S6_PS5_21rocsparse_index_base_b,comdat
.Lfunc_end94:
	.size	_ZN9rocsparseL19gebsrmvn_4xn_kernelILj128ELj6ELj4E21rocsparse_complex_numIfEEEvi20rocsparse_direction_NS_24const_host_device_scalarIT2_EEPKiS8_PKS5_SA_S6_PS5_21rocsparse_index_base_b, .Lfunc_end94-_ZN9rocsparseL19gebsrmvn_4xn_kernelILj128ELj6ELj4E21rocsparse_complex_numIfEEEvi20rocsparse_direction_NS_24const_host_device_scalarIT2_EEPKiS8_PKS5_SA_S6_PS5_21rocsparse_index_base_b
                                        ; -- End function
	.set _ZN9rocsparseL19gebsrmvn_4xn_kernelILj128ELj6ELj4E21rocsparse_complex_numIfEEEvi20rocsparse_direction_NS_24const_host_device_scalarIT2_EEPKiS8_PKS5_SA_S6_PS5_21rocsparse_index_base_b.num_vgpr, 64
	.set _ZN9rocsparseL19gebsrmvn_4xn_kernelILj128ELj6ELj4E21rocsparse_complex_numIfEEEvi20rocsparse_direction_NS_24const_host_device_scalarIT2_EEPKiS8_PKS5_SA_S6_PS5_21rocsparse_index_base_b.num_agpr, 0
	.set _ZN9rocsparseL19gebsrmvn_4xn_kernelILj128ELj6ELj4E21rocsparse_complex_numIfEEEvi20rocsparse_direction_NS_24const_host_device_scalarIT2_EEPKiS8_PKS5_SA_S6_PS5_21rocsparse_index_base_b.numbered_sgpr, 20
	.set _ZN9rocsparseL19gebsrmvn_4xn_kernelILj128ELj6ELj4E21rocsparse_complex_numIfEEEvi20rocsparse_direction_NS_24const_host_device_scalarIT2_EEPKiS8_PKS5_SA_S6_PS5_21rocsparse_index_base_b.num_named_barrier, 0
	.set _ZN9rocsparseL19gebsrmvn_4xn_kernelILj128ELj6ELj4E21rocsparse_complex_numIfEEEvi20rocsparse_direction_NS_24const_host_device_scalarIT2_EEPKiS8_PKS5_SA_S6_PS5_21rocsparse_index_base_b.private_seg_size, 0
	.set _ZN9rocsparseL19gebsrmvn_4xn_kernelILj128ELj6ELj4E21rocsparse_complex_numIfEEEvi20rocsparse_direction_NS_24const_host_device_scalarIT2_EEPKiS8_PKS5_SA_S6_PS5_21rocsparse_index_base_b.uses_vcc, 1
	.set _ZN9rocsparseL19gebsrmvn_4xn_kernelILj128ELj6ELj4E21rocsparse_complex_numIfEEEvi20rocsparse_direction_NS_24const_host_device_scalarIT2_EEPKiS8_PKS5_SA_S6_PS5_21rocsparse_index_base_b.uses_flat_scratch, 0
	.set _ZN9rocsparseL19gebsrmvn_4xn_kernelILj128ELj6ELj4E21rocsparse_complex_numIfEEEvi20rocsparse_direction_NS_24const_host_device_scalarIT2_EEPKiS8_PKS5_SA_S6_PS5_21rocsparse_index_base_b.has_dyn_sized_stack, 0
	.set _ZN9rocsparseL19gebsrmvn_4xn_kernelILj128ELj6ELj4E21rocsparse_complex_numIfEEEvi20rocsparse_direction_NS_24const_host_device_scalarIT2_EEPKiS8_PKS5_SA_S6_PS5_21rocsparse_index_base_b.has_recursion, 0
	.set _ZN9rocsparseL19gebsrmvn_4xn_kernelILj128ELj6ELj4E21rocsparse_complex_numIfEEEvi20rocsparse_direction_NS_24const_host_device_scalarIT2_EEPKiS8_PKS5_SA_S6_PS5_21rocsparse_index_base_b.has_indirect_call, 0
	.section	.AMDGPU.csdata,"",@progbits
; Kernel info:
; codeLenInByte = 3236
; TotalNumSgprs: 24
; NumVgprs: 64
; ScratchSize: 0
; MemoryBound: 0
; FloatMode: 240
; IeeeMode: 1
; LDSByteSize: 0 bytes/workgroup (compile time only)
; SGPRBlocks: 2
; VGPRBlocks: 15
; NumSGPRsForWavesPerEU: 24
; NumVGPRsForWavesPerEU: 64
; Occupancy: 4
; WaveLimiterHint : 1
; COMPUTE_PGM_RSRC2:SCRATCH_EN: 0
; COMPUTE_PGM_RSRC2:USER_SGPR: 6
; COMPUTE_PGM_RSRC2:TRAP_HANDLER: 0
; COMPUTE_PGM_RSRC2:TGID_X_EN: 1
; COMPUTE_PGM_RSRC2:TGID_Y_EN: 0
; COMPUTE_PGM_RSRC2:TGID_Z_EN: 0
; COMPUTE_PGM_RSRC2:TIDIG_COMP_CNT: 0
	.section	.text._ZN9rocsparseL19gebsrmvn_4xn_kernelILj128ELj6ELj8E21rocsparse_complex_numIfEEEvi20rocsparse_direction_NS_24const_host_device_scalarIT2_EEPKiS8_PKS5_SA_S6_PS5_21rocsparse_index_base_b,"axG",@progbits,_ZN9rocsparseL19gebsrmvn_4xn_kernelILj128ELj6ELj8E21rocsparse_complex_numIfEEEvi20rocsparse_direction_NS_24const_host_device_scalarIT2_EEPKiS8_PKS5_SA_S6_PS5_21rocsparse_index_base_b,comdat
	.globl	_ZN9rocsparseL19gebsrmvn_4xn_kernelILj128ELj6ELj8E21rocsparse_complex_numIfEEEvi20rocsparse_direction_NS_24const_host_device_scalarIT2_EEPKiS8_PKS5_SA_S6_PS5_21rocsparse_index_base_b ; -- Begin function _ZN9rocsparseL19gebsrmvn_4xn_kernelILj128ELj6ELj8E21rocsparse_complex_numIfEEEvi20rocsparse_direction_NS_24const_host_device_scalarIT2_EEPKiS8_PKS5_SA_S6_PS5_21rocsparse_index_base_b
	.p2align	8
	.type	_ZN9rocsparseL19gebsrmvn_4xn_kernelILj128ELj6ELj8E21rocsparse_complex_numIfEEEvi20rocsparse_direction_NS_24const_host_device_scalarIT2_EEPKiS8_PKS5_SA_S6_PS5_21rocsparse_index_base_b,@function
_ZN9rocsparseL19gebsrmvn_4xn_kernelILj128ELj6ELj8E21rocsparse_complex_numIfEEEvi20rocsparse_direction_NS_24const_host_device_scalarIT2_EEPKiS8_PKS5_SA_S6_PS5_21rocsparse_index_base_b: ; @_ZN9rocsparseL19gebsrmvn_4xn_kernelILj128ELj6ELj8E21rocsparse_complex_numIfEEEvi20rocsparse_direction_NS_24const_host_device_scalarIT2_EEPKiS8_PKS5_SA_S6_PS5_21rocsparse_index_base_b
; %bb.0:
	s_load_dwordx2 s[0:1], s[4:5], 0x8
	s_load_dwordx2 s[2:3], s[4:5], 0x30
	;; [unrolled: 1-line block ×3, first 2 shown]
	s_add_u32 s7, s4, 8
	s_addc_u32 s8, s5, 0
	s_add_u32 s9, s4, 48
	s_addc_u32 s10, s5, 0
	s_waitcnt lgkmcnt(0)
	s_bitcmp1_b32 s17, 0
	s_cselect_b32 s1, s8, s1
	s_cselect_b32 s0, s7, s0
	v_mov_b32_e32 v1, s0
	v_mov_b32_e32 v2, s1
	flat_load_dwordx2 v[1:2], v[1:2]
	s_cselect_b32 s0, s10, s3
	s_cselect_b32 s1, s9, s2
	v_mov_b32_e32 v3, s1
	v_mov_b32_e32 v4, s0
	flat_load_dwordx2 v[3:4], v[3:4]
	s_waitcnt vmcnt(0) lgkmcnt(0)
	v_cmp_eq_f32_e32 vcc, 0, v1
	v_cmp_eq_f32_e64 s[0:1], 0, v2
	s_and_b64 s[8:9], vcc, s[0:1]
	s_mov_b64 s[0:1], -1
	s_and_saveexec_b64 s[2:3], s[8:9]
; %bb.1:
	v_cmp_neq_f32_e32 vcc, 1.0, v3
	v_cmp_neq_f32_e64 s[0:1], 0, v4
	s_or_b64 s[0:1], vcc, s[0:1]
	s_orn2_b64 s[0:1], s[0:1], exec
; %bb.2:
	s_or_b64 exec, exec, s[2:3]
	s_and_saveexec_b64 s[2:3], s[0:1]
	s_cbranch_execz .LBB95_21
; %bb.3:
	s_load_dwordx2 s[0:1], s[4:5], 0x0
	v_lshrrev_b32_e32 v5, 3, v0
	v_lshl_or_b32 v5, s6, 4, v5
	s_waitcnt lgkmcnt(0)
	v_cmp_gt_i32_e32 vcc, s0, v5
	s_and_b64 exec, exec, vcc
	s_cbranch_execz .LBB95_21
; %bb.4:
	s_load_dwordx8 s[8:15], s[4:5], 0x10
	v_ashrrev_i32_e32 v6, 31, v5
	v_lshlrev_b64 v[6:7], 2, v[5:6]
	v_and_b32_e32 v0, 7, v0
	s_cmp_lg_u32 s1, 0
	s_waitcnt lgkmcnt(0)
	v_mov_b32_e32 v8, s9
	v_add_co_u32_e32 v6, vcc, s8, v6
	v_addc_co_u32_e32 v7, vcc, v8, v7, vcc
	global_load_dwordx2 v[6:7], v[6:7], off
	s_waitcnt vmcnt(0)
	v_subrev_u32_e32 v6, s16, v6
	v_subrev_u32_e32 v16, s16, v7
	v_add_u32_e32 v6, v6, v0
	v_cmp_lt_i32_e64 s[0:1], v6, v16
	s_cbranch_scc0 .LBB95_10
; %bb.5:
	v_mov_b32_e32 v14, 0
	v_mov_b32_e32 v20, 0
	;; [unrolled: 1-line block ×8, first 2 shown]
	s_and_saveexec_b64 s[8:9], s[0:1]
	s_cbranch_execz .LBB95_9
; %bb.6:
	v_mad_u64_u32 v[7:8], s[2:3], v6, 24, 20
	v_mov_b32_e32 v10, 0
	s_mov_b64 s[18:19], 0
	v_mov_b32_e32 v22, s11
	v_mov_b32_e32 v23, s13
	;; [unrolled: 1-line block ×12, first 2 shown]
.LBB95_7:                               ; =>This Inner Loop Header: Depth=1
	v_ashrrev_i32_e32 v12, 31, v11
	v_subrev_u32_e32 v9, 20, v7
	v_mov_b32_e32 v8, v10
	v_lshlrev_b64 v[25:26], 2, v[11:12]
	v_lshlrev_b64 v[27:28], 3, v[9:10]
	;; [unrolled: 1-line block ×3, first 2 shown]
	v_add_u32_e32 v9, -12, v7
	v_lshlrev_b64 v[8:9], 3, v[9:10]
	v_add_co_u32_e32 v31, vcc, s10, v25
	v_add_co_u32_e64 v33, s[2:3], s12, v27
	v_add_co_u32_e64 v39, s[6:7], s12, v29
	v_addc_co_u32_e32 v32, vcc, v22, v26, vcc
	v_addc_co_u32_e64 v34, vcc, v23, v28, s[2:3]
	v_addc_co_u32_e64 v40, vcc, v23, v30, s[6:7]
	v_add_co_u32_e32 v41, vcc, s12, v8
	global_load_dword v8, v[31:32], off
	global_load_dwordx4 v[25:28], v[33:34], off
	v_mov_b32_e32 v38, v10
	v_addc_co_u32_e32 v42, vcc, v23, v9, vcc
	v_add_u32_e32 v11, 8, v11
	s_waitcnt vmcnt(1)
	v_subrev_u32_e32 v8, s16, v8
	v_mul_lo_u32 v37, v8, 6
	v_lshlrev_b64 v[29:30], 3, v[37:38]
	v_add_u32_e32 v9, 2, v37
	v_add_co_u32_e64 v29, s[2:3], s14, v29
	v_addc_co_u32_e64 v30, s[2:3], v24, v30, s[2:3]
	global_load_dwordx4 v[29:32], v[29:30], off
	s_waitcnt vmcnt(0)
	v_fmac_f32_e32 v20, v25, v29
	v_fmac_f32_e32 v14, v26, v29
	;; [unrolled: 1-line block ×4, first 2 shown]
	v_fma_f32 v8, -v26, v30, v20
	v_fmac_f32_e32 v14, v25, v30
	v_fma_f32 v12, -v28, v30, v21
	v_fmac_f32_e32 v17, v27, v30
	global_load_dwordx4 v[25:28], v[33:34], off offset:16
	s_waitcnt vmcnt(0)
	v_fmac_f32_e32 v19, v25, v29
	v_fmac_f32_e32 v15, v26, v29
	;; [unrolled: 1-line block ×4, first 2 shown]
	v_fma_f32 v29, -v26, v30, v19
	v_fmac_f32_e32 v15, v25, v30
	v_fma_f32 v38, -v28, v30, v18
	v_fmac_f32_e32 v13, v27, v30
	global_load_dwordx4 v[18:21], v[33:34], off offset:32
	global_load_dwordx4 v[25:28], v[33:34], off offset:48
	s_waitcnt vmcnt(1)
	v_fmac_f32_e32 v8, v18, v31
	s_waitcnt vmcnt(0)
	v_fmac_f32_e32 v29, v25, v31
	v_fmac_f32_e32 v15, v26, v31
	v_fma_f32 v43, -v26, v32, v29
	v_fmac_f32_e32 v15, v25, v32
	v_lshlrev_b64 v[25:26], 3, v[9:10]
	v_fmac_f32_e32 v14, v19, v31
	v_add_co_u32_e32 v25, vcc, s14, v25
	v_fmac_f32_e32 v12, v20, v31
	v_fmac_f32_e32 v17, v21, v31
	;; [unrolled: 1-line block ×4, first 2 shown]
	v_addc_co_u32_e32 v26, vcc, v24, v26, vcc
	v_fma_f32 v8, -v19, v32, v8
	v_fmac_f32_e32 v14, v18, v32
	v_fma_f32 v12, -v21, v32, v12
	v_fmac_f32_e32 v17, v20, v32
	;; [unrolled: 2-line block ×3, first 2 shown]
	global_load_dwordx4 v[18:21], v[41:42], off
	v_add_u32_e32 v9, -8, v7
	global_load_dwordx4 v[25:28], v[25:26], off
	s_waitcnt vmcnt(0)
	v_fmac_f32_e32 v8, v18, v25
	v_fmac_f32_e32 v14, v19, v25
	v_fma_f32 v8, -v19, v26, v8
	v_fmac_f32_e32 v14, v18, v26
	v_lshlrev_b64 v[18:19], 3, v[9:10]
	v_fmac_f32_e32 v12, v20, v25
	v_fmac_f32_e32 v17, v21, v25
	v_add_co_u32_e32 v31, vcc, s12, v18
	v_fma_f32 v12, -v21, v26, v12
	v_fmac_f32_e32 v17, v20, v26
	v_addc_co_u32_e32 v32, vcc, v23, v19, vcc
	global_load_dwordx4 v[18:21], v[41:42], off offset:16
	v_add_u32_e32 v9, -4, v7
	global_load_dwordx4 v[33:36], v[39:40], off
	v_lshlrev_b64 v[29:30], 3, v[9:10]
	v_add_u32_e32 v9, 4, v37
	v_add_co_u32_e32 v29, vcc, s12, v29
	v_addc_co_u32_e32 v30, vcc, v23, v30, vcc
	v_add_u32_e32 v7, 0xc0, v7
	s_waitcnt vmcnt(1)
	v_fmac_f32_e32 v43, v18, v25
	v_fmac_f32_e32 v15, v19, v25
	;; [unrolled: 1-line block ×4, first 2 shown]
	v_fma_f32 v25, -v19, v26, v43
	v_fmac_f32_e32 v15, v18, v26
	v_fma_f32 v37, -v21, v26, v38
	v_fmac_f32_e32 v13, v20, v26
	global_load_dwordx4 v[18:21], v[31:32], off
	s_waitcnt vmcnt(0)
	v_fmac_f32_e32 v8, v18, v27
	v_fmac_f32_e32 v14, v19, v27
	;; [unrolled: 1-line block ×4, first 2 shown]
	v_fma_f32 v38, -v19, v28, v8
	v_fmac_f32_e32 v14, v18, v28
	v_fma_f32 v12, -v21, v28, v12
	v_fmac_f32_e32 v17, v20, v28
	global_load_dwordx4 v[18:21], v[31:32], off offset:16
	v_lshlrev_b64 v[8:9], 3, v[9:10]
	v_add_co_u32_e32 v8, vcc, s14, v8
	v_addc_co_u32_e32 v9, vcc, v24, v9, vcc
	v_cmp_ge_i32_e32 vcc, v11, v16
	s_or_b64 s[18:19], vcc, s[18:19]
	s_waitcnt vmcnt(0)
	v_fmac_f32_e32 v25, v18, v27
	v_fmac_f32_e32 v15, v19, v27
	;; [unrolled: 1-line block ×4, first 2 shown]
	v_fma_f32 v41, -v19, v28, v25
	v_fmac_f32_e32 v15, v18, v28
	v_fma_f32 v37, -v21, v28, v37
	v_fmac_f32_e32 v13, v20, v28
	global_load_dwordx4 v[18:21], v[29:30], off offset:16
	global_load_dwordx4 v[25:28], v[29:30], off
	s_nop 0
	global_load_dwordx4 v[29:32], v[8:9], off
	s_waitcnt vmcnt(0)
	v_fmac_f32_e32 v38, v25, v29
	v_fmac_f32_e32 v14, v26, v29
	;; [unrolled: 1-line block ×4, first 2 shown]
	v_fma_f32 v8, -v26, v30, v38
	v_fmac_f32_e32 v14, v25, v30
	v_fma_f32 v9, -v28, v30, v12
	v_fmac_f32_e32 v17, v27, v30
	global_load_dwordx4 v[25:28], v[39:40], off offset:16
	v_fmac_f32_e32 v41, v18, v29
	v_fmac_f32_e32 v15, v19, v29
	;; [unrolled: 1-line block ×4, first 2 shown]
	v_fma_f32 v12, -v19, v30, v41
	v_fmac_f32_e32 v15, v18, v30
	v_fma_f32 v18, -v21, v30, v37
	v_fmac_f32_e32 v13, v20, v30
	v_fmac_f32_e32 v8, v33, v31
	;; [unrolled: 1-line block ×5, first 2 shown]
	v_fma_f32 v20, -v34, v32, v8
	v_fmac_f32_e32 v14, v33, v32
	v_fma_f32 v21, -v36, v32, v9
	v_fmac_f32_e32 v17, v35, v32
	s_waitcnt vmcnt(0)
	v_fmac_f32_e32 v12, v25, v31
	v_fmac_f32_e32 v15, v26, v31
	;; [unrolled: 1-line block ×4, first 2 shown]
	v_fma_f32 v19, -v26, v32, v12
	v_fmac_f32_e32 v15, v25, v32
	v_fma_f32 v18, -v28, v32, v18
	v_fmac_f32_e32 v13, v27, v32
	s_andn2_b64 exec, exec, s[18:19]
	s_cbranch_execnz .LBB95_7
; %bb.8:
	s_or_b64 exec, exec, s[18:19]
.LBB95_9:
	s_or_b64 exec, exec, s[8:9]
	s_cbranch_execz .LBB95_11
	s_branch .LBB95_16
.LBB95_10:
                                        ; implicit-def: $vgpr14
                                        ; implicit-def: $vgpr20
                                        ; implicit-def: $vgpr18
                                        ; implicit-def: $vgpr13
                                        ; implicit-def: $vgpr19
                                        ; implicit-def: $vgpr15
                                        ; implicit-def: $vgpr21
                                        ; implicit-def: $vgpr17
.LBB95_11:
	v_mov_b32_e32 v14, 0
	v_mov_b32_e32 v20, 0
	;; [unrolled: 1-line block ×8, first 2 shown]
	s_and_saveexec_b64 s[2:3], s[0:1]
	s_cbranch_execz .LBB95_15
; %bb.12:
	v_mad_u64_u32 v[8:9], s[0:1], v6, 24, 23
	v_mov_b32_e32 v11, 0
	s_mov_b64 s[0:1], 0
	v_mov_b32_e32 v12, s11
	v_mov_b32_e32 v22, s13
	;; [unrolled: 1-line block ×11, first 2 shown]
.LBB95_13:                              ; =>This Inner Loop Header: Depth=1
	v_ashrrev_i32_e32 v7, 31, v6
	v_lshlrev_b64 v[28:29], 2, v[6:7]
	v_subrev_u32_e32 v10, 23, v8
	v_lshlrev_b64 v[30:31], 3, v[10:11]
	v_add_co_u32_e32 v32, vcc, s10, v28
	v_add_u32_e32 v24, -11, v8
	v_mov_b32_e32 v25, v11
	v_addc_co_u32_e32 v33, vcc, v12, v29, vcc
	v_lshlrev_b64 v[24:25], 3, v[24:25]
	v_add_co_u32_e32 v46, vcc, s12, v30
	v_add_u32_e32 v26, -5, v8
	v_mov_b32_e32 v27, v11
	v_addc_co_u32_e32 v47, vcc, v22, v31, vcc
	v_lshlrev_b64 v[26:27], 3, v[26:27]
	v_add_co_u32_e32 v48, vcc, s12, v24
	v_addc_co_u32_e32 v49, vcc, v22, v25, vcc
	v_add_co_u32_e32 v50, vcc, s12, v26
	v_addc_co_u32_e32 v51, vcc, v22, v27, vcc
	global_load_dword v7, v[32:33], off
	global_load_dwordx4 v[24:27], v[46:47], off
	global_load_dwordx4 v[28:31], v[46:47], off offset:16
	v_mov_b32_e32 v41, v11
	v_mov_b32_e32 v9, v11
	v_lshlrev_b64 v[42:43], 3, v[8:9]
	v_add_u32_e32 v10, -10, v8
	v_lshlrev_b64 v[44:45], 3, v[10:11]
	v_add_u32_e32 v10, -4, v8
	v_add_u32_e32 v6, 8, v6
	s_waitcnt vmcnt(2)
	v_subrev_u32_e32 v7, s16, v7
	v_mul_lo_u32 v40, v7, 6
	v_lshlrev_b64 v[32:33], 3, v[40:41]
	v_add_co_u32_e32 v32, vcc, s14, v32
	v_addc_co_u32_e32 v33, vcc, v23, v33, vcc
	global_load_dwordx4 v[32:35], v[32:33], off
	v_add_co_u32_e32 v41, vcc, s12, v42
	v_addc_co_u32_e32 v42, vcc, v22, v43, vcc
	s_waitcnt vmcnt(0)
	v_fmac_f32_e32 v20, v24, v32
	v_fmac_f32_e32 v14, v25, v32
	v_fma_f32 v7, -v25, v33, v20
	v_fmac_f32_e32 v14, v24, v33
	v_fmac_f32_e32 v7, v26, v34
	;; [unrolled: 1-line block ×3, first 2 shown]
	v_fma_f32 v7, -v27, v35, v7
	v_fmac_f32_e32 v14, v26, v35
	global_load_dwordx4 v[24:27], v[46:47], off offset:48
	global_load_dwordx4 v[36:39], v[46:47], off offset:32
	v_add_co_u32_e32 v20, vcc, s12, v44
	s_waitcnt vmcnt(1)
	v_fmac_f32_e32 v21, v24, v32
	v_fma_f32 v9, -v25, v33, v21
	v_fmac_f32_e32 v9, v26, v34
	v_fma_f32 v61, -v27, v35, v9
	v_lshlrev_b64 v[9:10], 3, v[10:11]
	v_fmac_f32_e32 v17, v25, v32
	v_addc_co_u32_e32 v21, vcc, v22, v45, vcc
	v_fmac_f32_e32 v17, v24, v33
	v_add_co_u32_e32 v24, vcc, s12, v9
	v_addc_co_u32_e32 v25, vcc, v22, v10, vcc
	v_add_u32_e32 v10, 2, v40
	v_lshlrev_b64 v[9:10], 3, v[10:11]
	v_fmac_f32_e32 v17, v27, v34
	v_fmac_f32_e32 v17, v26, v35
	v_add_co_u32_e32 v26, vcc, s14, v9
	v_addc_co_u32_e32 v27, vcc, v23, v10, vcc
	v_add_u32_e32 v10, -15, v8
	v_lshlrev_b64 v[9:10], 3, v[10:11]
	v_add_co_u32_e32 v43, vcc, s12, v9
	v_addc_co_u32_e32 v44, vcc, v22, v10, vcc
	v_add_u32_e32 v10, -9, v8
	v_lshlrev_b64 v[9:10], 3, v[10:11]
	v_add_co_u32_e32 v45, vcc, s12, v9
	v_addc_co_u32_e32 v46, vcc, v22, v10, vcc
	global_load_dwordx2 v[9:10], v[48:49], off
	global_load_dwordx2 v[52:53], v[50:51], off
	global_load_dwordx2 v[54:55], v[20:21], off
	global_load_dwordx2 v[56:57], v[24:25], off
	s_waitcnt vmcnt(3)
	v_fmac_f32_e32 v19, v9, v32
	v_fma_f32 v19, -v10, v33, v19
	v_fmac_f32_e32 v15, v10, v32
	s_waitcnt vmcnt(2)
	v_fmac_f32_e32 v18, v52, v32
	v_add_u32_e32 v10, -3, v8
	s_waitcnt vmcnt(1)
	v_fmac_f32_e32 v19, v54, v34
	v_fmac_f32_e32 v15, v9, v33
	v_fma_f32 v9, -v53, v33, v18
	v_fma_f32 v62, -v55, v35, v19
	v_lshlrev_b64 v[18:19], 3, v[10:11]
	v_add_u32_e32 v10, -14, v8
	v_lshlrev_b64 v[20:21], 3, v[10:11]
	v_add_co_u32_e32 v24, vcc, s12, v18
	v_add_u32_e32 v10, -8, v8
	v_addc_co_u32_e32 v25, vcc, v22, v19, vcc
	v_fmac_f32_e32 v13, v53, v32
	v_lshlrev_b64 v[18:19], 3, v[10:11]
	v_add_co_u32_e32 v32, vcc, s12, v20
	v_fmac_f32_e32 v13, v52, v33
	v_addc_co_u32_e32 v33, vcc, v22, v21, vcc
	v_add_co_u32_e32 v47, vcc, s12, v18
	v_addc_co_u32_e32 v48, vcc, v22, v19, vcc
	global_load_dwordx4 v[18:21], v[26:27], off
	v_fmac_f32_e32 v15, v55, v34
	s_waitcnt vmcnt(1)
	v_fmac_f32_e32 v9, v56, v34
	v_fmac_f32_e32 v13, v57, v34
	v_add_u32_e32 v10, -2, v8
	v_fmac_f32_e32 v15, v54, v35
	v_fma_f32 v63, -v57, v35, v9
	v_fmac_f32_e32 v13, v56, v35
	v_lshlrev_b64 v[34:35], 3, v[10:11]
	v_add_u32_e32 v10, 4, v40
	v_lshlrev_b64 v[26:27], 3, v[10:11]
	v_add_u32_e32 v10, -13, v8
	v_lshlrev_b64 v[9:10], 3, v[10:11]
	s_waitcnt vmcnt(0)
	v_fmac_f32_e32 v14, v29, v18
	v_fmac_f32_e32 v7, v28, v18
	;; [unrolled: 1-line block ×3, first 2 shown]
	v_add_co_u32_e32 v28, vcc, s12, v34
	v_fma_f32 v7, -v29, v19, v7
	v_fmac_f32_e32 v14, v31, v20
	v_addc_co_u32_e32 v29, vcc, v22, v35, vcc
	v_fmac_f32_e32 v7, v30, v20
	v_fmac_f32_e32 v14, v30, v21
	v_add_co_u32_e32 v30, vcc, s14, v26
	v_fma_f32 v7, -v31, v21, v7
	v_addc_co_u32_e32 v31, vcc, v23, v27, vcc
	global_load_dwordx2 v[26:27], v[43:44], off
	global_load_dwordx2 v[55:56], v[45:46], off
	;; [unrolled: 1-line block ×4, first 2 shown]
	v_add_co_u32_e32 v34, vcc, s12, v9
	v_addc_co_u32_e32 v35, vcc, v22, v10, vcc
	v_add_u32_e32 v10, -7, v8
	v_lshlrev_b64 v[9:10], 3, v[10:11]
	v_add_co_u32_e32 v49, vcc, s12, v9
	v_addc_co_u32_e32 v50, vcc, v22, v10, vcc
	v_add_u32_e32 v10, -1, v8
	v_lshlrev_b64 v[9:10], 3, v[10:11]
	;; [unrolled: 4-line block ×4, first 2 shown]
	v_add_u32_e32 v8, 0xc0, v8
	v_add_co_u32_e32 v9, vcc, s12, v9
	v_addc_co_u32_e32 v10, vcc, v22, v10, vcc
	v_cmp_ge_i32_e32 vcc, v6, v16
	s_or_b64 s[0:1], vcc, s[0:1]
	s_waitcnt vmcnt(3)
	v_fmac_f32_e32 v61, v26, v18
	v_fmac_f32_e32 v17, v27, v18
	s_waitcnt vmcnt(2)
	v_fmac_f32_e32 v62, v55, v18
	v_fmac_f32_e32 v15, v56, v18
	;; [unrolled: 3-line block ×3, first 2 shown]
	v_fma_f32 v24, -v27, v19, v61
	v_fmac_f32_e32 v17, v26, v19
	v_fma_f32 v25, -v56, v19, v62
	v_fmac_f32_e32 v15, v55, v19
	;; [unrolled: 2-line block ×3, first 2 shown]
	global_load_dwordx2 v[18:19], v[47:48], off
	global_load_dwordx2 v[32:33], v[28:29], off
	s_waitcnt vmcnt(2)
	v_fmac_f32_e32 v24, v59, v20
	v_fma_f32 v57, -v60, v21, v24
	v_fmac_f32_e32 v17, v60, v20
	v_fmac_f32_e32 v17, v59, v21
	s_waitcnt vmcnt(1)
	v_fmac_f32_e32 v25, v18, v20
	v_fmac_f32_e32 v15, v19, v20
	v_fma_f32 v58, -v19, v21, v25
	v_fmac_f32_e32 v15, v18, v21
	global_load_dwordx4 v[24:27], v[30:31], off
	global_load_dwordx2 v[18:19], v[34:35], off
	global_load_dwordx2 v[28:29], v[49:50], off
	;; [unrolled: 1-line block ×6, first 2 shown]
	s_waitcnt vmcnt(7)
	v_fmac_f32_e32 v40, v32, v20
	v_fmac_f32_e32 v13, v33, v20
	v_fma_f32 v9, -v33, v21, v40
	v_fmac_f32_e32 v13, v32, v21
	s_waitcnt vmcnt(6)
	v_fmac_f32_e32 v7, v36, v24
	v_fma_f32 v7, -v37, v25, v7
	v_fmac_f32_e32 v14, v37, v24
	s_waitcnt vmcnt(5)
	v_fmac_f32_e32 v57, v18, v24
	v_fmac_f32_e32 v17, v19, v24
	v_fmac_f32_e32 v7, v38, v26
	s_waitcnt vmcnt(4)
	v_fmac_f32_e32 v58, v28, v24
	v_fmac_f32_e32 v15, v29, v24
	s_waitcnt vmcnt(3)
	v_fmac_f32_e32 v9, v43, v24
	v_fmac_f32_e32 v13, v44, v24
	;; [unrolled: 1-line block ×3, first 2 shown]
	v_fma_f32 v10, -v19, v25, v57
	v_fmac_f32_e32 v17, v18, v25
	v_fma_f32 v20, -v39, v27, v7
	v_fma_f32 v7, -v29, v25, v58
	v_fmac_f32_e32 v15, v28, v25
	v_fma_f32 v9, -v44, v25, v9
	v_fmac_f32_e32 v13, v43, v25
	v_fmac_f32_e32 v14, v39, v26
	s_waitcnt vmcnt(2)
	v_fmac_f32_e32 v10, v45, v26
	v_fmac_f32_e32 v17, v46, v26
	s_waitcnt vmcnt(1)
	;; [unrolled: 3-line block ×3, first 2 shown]
	v_fmac_f32_e32 v9, v55, v26
	v_fmac_f32_e32 v13, v56, v26
	;; [unrolled: 1-line block ×3, first 2 shown]
	v_fma_f32 v21, -v46, v27, v10
	v_fmac_f32_e32 v17, v45, v27
	v_fma_f32 v19, -v48, v27, v7
	v_fmac_f32_e32 v15, v47, v27
	;; [unrolled: 2-line block ×3, first 2 shown]
	s_andn2_b64 exec, exec, s[0:1]
	s_cbranch_execnz .LBB95_13
; %bb.14:
	s_or_b64 exec, exec, s[0:1]
.LBB95_15:
	s_or_b64 exec, exec, s[2:3]
.LBB95_16:
	v_mov_b32_dpp v10, v21 row_shr:1 row_mask:0xf bank_mask:0xf
	v_add_f32_e32 v10, v21, v10
	v_mov_b32_dpp v6, v20 row_shr:1 row_mask:0xf bank_mask:0xf
	v_mov_b32_dpp v8, v14 row_shr:1 row_mask:0xf bank_mask:0xf
	;; [unrolled: 1-line block ×3, first 2 shown]
	v_add_f32_e32 v11, v10, v11
	v_mov_b32_dpp v10, v17 row_shr:1 row_mask:0xf bank_mask:0xf
	v_add_f32_e32 v10, v17, v10
	v_add_f32_e32 v6, v20, v6
	;; [unrolled: 1-line block ×3, first 2 shown]
	v_mov_b32_dpp v12, v10 row_shr:2 row_mask:0xf bank_mask:0xf
	v_add_f32_e32 v16, v10, v12
	v_mov_b32_dpp v10, v19 row_shr:1 row_mask:0xf bank_mask:0xf
	v_add_f32_e32 v10, v19, v10
	v_mov_b32_dpp v7, v6 row_shr:2 row_mask:0xf bank_mask:0xf
	v_mov_b32_dpp v9, v8 row_shr:2 row_mask:0xf bank_mask:0xf
	;; [unrolled: 1-line block ×3, first 2 shown]
	v_add_f32_e32 v19, v10, v12
	v_mov_b32_dpp v10, v15 row_shr:1 row_mask:0xf bank_mask:0xf
	v_add_f32_e32 v10, v15, v10
	v_add_f32_e32 v6, v6, v7
	v_add_f32_e32 v8, v8, v9
	v_mov_b32_dpp v12, v10 row_shr:2 row_mask:0xf bank_mask:0xf
	v_add_f32_e32 v15, v10, v12
	v_mov_b32_dpp v10, v18 row_shr:1 row_mask:0xf bank_mask:0xf
	v_add_f32_e32 v10, v18, v10
	v_mov_b32_dpp v7, v6 row_shr:4 row_mask:0xf bank_mask:0xe
	v_mov_b32_dpp v9, v8 row_shr:4 row_mask:0xf bank_mask:0xe
	;; [unrolled: 1-line block ×3, first 2 shown]
	v_add_f32_e32 v18, v10, v12
	v_mov_b32_dpp v10, v13 row_shr:1 row_mask:0xf bank_mask:0xf
	v_add_f32_e32 v10, v13, v10
	v_mov_b32_dpp v14, v11 row_shr:4 row_mask:0xf bank_mask:0xe
	v_mov_b32_dpp v17, v16 row_shr:4 row_mask:0xf bank_mask:0xe
	;; [unrolled: 1-line block ×3, first 2 shown]
	v_add_f32_e32 v13, v10, v12
	v_mov_b32_dpp v20, v19 row_shr:4 row_mask:0xf bank_mask:0xe
	v_mov_b32_dpp v21, v15 row_shr:4 row_mask:0xf bank_mask:0xe
	v_mov_b32_dpp v22, v18 row_shr:4 row_mask:0xf bank_mask:0xe
	v_mov_b32_dpp v23, v13 row_shr:4 row_mask:0xf bank_mask:0xe
	v_cmp_eq_u32_e32 vcc, 7, v0
	s_and_b64 exec, exec, vcc
	s_cbranch_execz .LBB95_21
; %bb.17:
	s_load_dwordx2 s[2:3], s[4:5], 0x38
	v_cmp_eq_f32_e32 vcc, 0, v3
	v_cmp_eq_f32_e64 s[0:1], 0, v4
	v_add_f32_e32 v10, v6, v7
	v_add_f32_e32 v12, v8, v9
	;; [unrolled: 1-line block ×8, first 2 shown]
	s_and_b64 s[0:1], vcc, s[0:1]
	s_and_saveexec_b64 s[4:5], s[0:1]
	s_xor_b64 s[0:1], exec, s[4:5]
	s_cbranch_execz .LBB95_19
; %bb.18:
	v_lshlrev_b32_e32 v3, 2, v5
	v_ashrrev_i32_e32 v4, 31, v3
	v_lshlrev_b64 v[3:4], 3, v[3:4]
	s_waitcnt lgkmcnt(0)
	v_mov_b32_e32 v5, s3
	v_add_co_u32_e32 v17, vcc, s2, v3
	v_addc_co_u32_e32 v18, vcc, v5, v4, vcc
	v_mul_f32_e64 v3, v9, -v2
	v_mul_f32_e32 v4, v1, v9
	v_mul_f32_e64 v13, v12, -v2
	v_mul_f32_e32 v14, v1, v12
	;; [unrolled: 2-line block ×3, first 2 shown]
	v_fmac_f32_e32 v3, v1, v6
	v_fmac_f32_e32 v4, v2, v6
	v_mul_f32_e64 v5, v7, -v2
	v_mul_f32_e32 v6, v1, v7
	v_fmac_f32_e32 v13, v1, v10
	v_fmac_f32_e32 v14, v2, v10
	;; [unrolled: 1-line block ×6, first 2 shown]
	global_store_dwordx4 v[17:18], v[13:16], off
	global_store_dwordx4 v[17:18], v[3:6], off offset:16
                                        ; implicit-def: $vgpr5
                                        ; implicit-def: $vgpr10
                                        ; implicit-def: $vgpr12
                                        ; implicit-def: $vgpr8
                                        ; implicit-def: $vgpr11
                                        ; implicit-def: $vgpr6
                                        ; implicit-def: $vgpr9
                                        ; implicit-def: $vgpr0
                                        ; implicit-def: $vgpr7
                                        ; implicit-def: $vgpr1_vgpr2
                                        ; implicit-def: $vgpr3_vgpr4
.LBB95_19:
	s_andn2_saveexec_b64 s[0:1], s[0:1]
	s_cbranch_execz .LBB95_21
; %bb.20:
	v_lshlrev_b32_e32 v13, 2, v5
	v_ashrrev_i32_e32 v14, 31, v13
	v_lshlrev_b64 v[13:14], 3, v[13:14]
	s_waitcnt lgkmcnt(0)
	v_mov_b32_e32 v5, s3
	v_add_co_u32_e32 v25, vcc, s2, v13
	v_addc_co_u32_e32 v26, vcc, v5, v14, vcc
	global_load_dwordx4 v[13:16], v[25:26], off
	global_load_dwordx4 v[17:20], v[25:26], off offset:16
	v_mul_f32_e64 v5, v12, -v2
	v_mul_f32_e32 v22, v1, v12
	v_mul_f32_e64 v12, v11, -v2
	v_mul_f32_e32 v24, v1, v11
	;; [unrolled: 2-line block ×4, first 2 shown]
	v_fmac_f32_e32 v5, v1, v10
	v_fmac_f32_e32 v22, v2, v10
	;; [unrolled: 1-line block ×8, first 2 shown]
	s_waitcnt vmcnt(1)
	v_fmac_f32_e32 v5, v3, v13
	v_fmac_f32_e32 v22, v4, v13
	;; [unrolled: 1-line block ×4, first 2 shown]
	s_waitcnt vmcnt(0)
	v_fmac_f32_e32 v27, v3, v17
	v_fmac_f32_e32 v9, v4, v17
	;; [unrolled: 1-line block ×4, first 2 shown]
	v_fma_f32 v21, -v4, v14, v5
	v_fmac_f32_e32 v22, v3, v14
	v_fma_f32 v23, -v4, v16, v12
	v_fmac_f32_e32 v24, v3, v16
	v_fma_f32 v8, -v4, v18, v27
	v_fmac_f32_e32 v9, v3, v18
	v_fma_f32 v10, -v4, v20, v28
	v_fmac_f32_e32 v11, v3, v20
	global_store_dwordx4 v[25:26], v[21:24], off
	global_store_dwordx4 v[25:26], v[8:11], off offset:16
.LBB95_21:
	s_endpgm
	.section	.rodata,"a",@progbits
	.p2align	6, 0x0
	.amdhsa_kernel _ZN9rocsparseL19gebsrmvn_4xn_kernelILj128ELj6ELj8E21rocsparse_complex_numIfEEEvi20rocsparse_direction_NS_24const_host_device_scalarIT2_EEPKiS8_PKS5_SA_S6_PS5_21rocsparse_index_base_b
		.amdhsa_group_segment_fixed_size 0
		.amdhsa_private_segment_fixed_size 0
		.amdhsa_kernarg_size 72
		.amdhsa_user_sgpr_count 6
		.amdhsa_user_sgpr_private_segment_buffer 1
		.amdhsa_user_sgpr_dispatch_ptr 0
		.amdhsa_user_sgpr_queue_ptr 0
		.amdhsa_user_sgpr_kernarg_segment_ptr 1
		.amdhsa_user_sgpr_dispatch_id 0
		.amdhsa_user_sgpr_flat_scratch_init 0
		.amdhsa_user_sgpr_private_segment_size 0
		.amdhsa_uses_dynamic_stack 0
		.amdhsa_system_sgpr_private_segment_wavefront_offset 0
		.amdhsa_system_sgpr_workgroup_id_x 1
		.amdhsa_system_sgpr_workgroup_id_y 0
		.amdhsa_system_sgpr_workgroup_id_z 0
		.amdhsa_system_sgpr_workgroup_info 0
		.amdhsa_system_vgpr_workitem_id 0
		.amdhsa_next_free_vgpr 64
		.amdhsa_next_free_sgpr 20
		.amdhsa_reserve_vcc 1
		.amdhsa_reserve_flat_scratch 0
		.amdhsa_float_round_mode_32 0
		.amdhsa_float_round_mode_16_64 0
		.amdhsa_float_denorm_mode_32 3
		.amdhsa_float_denorm_mode_16_64 3
		.amdhsa_dx10_clamp 1
		.amdhsa_ieee_mode 1
		.amdhsa_fp16_overflow 0
		.amdhsa_exception_fp_ieee_invalid_op 0
		.amdhsa_exception_fp_denorm_src 0
		.amdhsa_exception_fp_ieee_div_zero 0
		.amdhsa_exception_fp_ieee_overflow 0
		.amdhsa_exception_fp_ieee_underflow 0
		.amdhsa_exception_fp_ieee_inexact 0
		.amdhsa_exception_int_div_zero 0
	.end_amdhsa_kernel
	.section	.text._ZN9rocsparseL19gebsrmvn_4xn_kernelILj128ELj6ELj8E21rocsparse_complex_numIfEEEvi20rocsparse_direction_NS_24const_host_device_scalarIT2_EEPKiS8_PKS5_SA_S6_PS5_21rocsparse_index_base_b,"axG",@progbits,_ZN9rocsparseL19gebsrmvn_4xn_kernelILj128ELj6ELj8E21rocsparse_complex_numIfEEEvi20rocsparse_direction_NS_24const_host_device_scalarIT2_EEPKiS8_PKS5_SA_S6_PS5_21rocsparse_index_base_b,comdat
.Lfunc_end95:
	.size	_ZN9rocsparseL19gebsrmvn_4xn_kernelILj128ELj6ELj8E21rocsparse_complex_numIfEEEvi20rocsparse_direction_NS_24const_host_device_scalarIT2_EEPKiS8_PKS5_SA_S6_PS5_21rocsparse_index_base_b, .Lfunc_end95-_ZN9rocsparseL19gebsrmvn_4xn_kernelILj128ELj6ELj8E21rocsparse_complex_numIfEEEvi20rocsparse_direction_NS_24const_host_device_scalarIT2_EEPKiS8_PKS5_SA_S6_PS5_21rocsparse_index_base_b
                                        ; -- End function
	.set _ZN9rocsparseL19gebsrmvn_4xn_kernelILj128ELj6ELj8E21rocsparse_complex_numIfEEEvi20rocsparse_direction_NS_24const_host_device_scalarIT2_EEPKiS8_PKS5_SA_S6_PS5_21rocsparse_index_base_b.num_vgpr, 64
	.set _ZN9rocsparseL19gebsrmvn_4xn_kernelILj128ELj6ELj8E21rocsparse_complex_numIfEEEvi20rocsparse_direction_NS_24const_host_device_scalarIT2_EEPKiS8_PKS5_SA_S6_PS5_21rocsparse_index_base_b.num_agpr, 0
	.set _ZN9rocsparseL19gebsrmvn_4xn_kernelILj128ELj6ELj8E21rocsparse_complex_numIfEEEvi20rocsparse_direction_NS_24const_host_device_scalarIT2_EEPKiS8_PKS5_SA_S6_PS5_21rocsparse_index_base_b.numbered_sgpr, 20
	.set _ZN9rocsparseL19gebsrmvn_4xn_kernelILj128ELj6ELj8E21rocsparse_complex_numIfEEEvi20rocsparse_direction_NS_24const_host_device_scalarIT2_EEPKiS8_PKS5_SA_S6_PS5_21rocsparse_index_base_b.num_named_barrier, 0
	.set _ZN9rocsparseL19gebsrmvn_4xn_kernelILj128ELj6ELj8E21rocsparse_complex_numIfEEEvi20rocsparse_direction_NS_24const_host_device_scalarIT2_EEPKiS8_PKS5_SA_S6_PS5_21rocsparse_index_base_b.private_seg_size, 0
	.set _ZN9rocsparseL19gebsrmvn_4xn_kernelILj128ELj6ELj8E21rocsparse_complex_numIfEEEvi20rocsparse_direction_NS_24const_host_device_scalarIT2_EEPKiS8_PKS5_SA_S6_PS5_21rocsparse_index_base_b.uses_vcc, 1
	.set _ZN9rocsparseL19gebsrmvn_4xn_kernelILj128ELj6ELj8E21rocsparse_complex_numIfEEEvi20rocsparse_direction_NS_24const_host_device_scalarIT2_EEPKiS8_PKS5_SA_S6_PS5_21rocsparse_index_base_b.uses_flat_scratch, 0
	.set _ZN9rocsparseL19gebsrmvn_4xn_kernelILj128ELj6ELj8E21rocsparse_complex_numIfEEEvi20rocsparse_direction_NS_24const_host_device_scalarIT2_EEPKiS8_PKS5_SA_S6_PS5_21rocsparse_index_base_b.has_dyn_sized_stack, 0
	.set _ZN9rocsparseL19gebsrmvn_4xn_kernelILj128ELj6ELj8E21rocsparse_complex_numIfEEEvi20rocsparse_direction_NS_24const_host_device_scalarIT2_EEPKiS8_PKS5_SA_S6_PS5_21rocsparse_index_base_b.has_recursion, 0
	.set _ZN9rocsparseL19gebsrmvn_4xn_kernelILj128ELj6ELj8E21rocsparse_complex_numIfEEEvi20rocsparse_direction_NS_24const_host_device_scalarIT2_EEPKiS8_PKS5_SA_S6_PS5_21rocsparse_index_base_b.has_indirect_call, 0
	.section	.AMDGPU.csdata,"",@progbits
; Kernel info:
; codeLenInByte = 3332
; TotalNumSgprs: 24
; NumVgprs: 64
; ScratchSize: 0
; MemoryBound: 0
; FloatMode: 240
; IeeeMode: 1
; LDSByteSize: 0 bytes/workgroup (compile time only)
; SGPRBlocks: 2
; VGPRBlocks: 15
; NumSGPRsForWavesPerEU: 24
; NumVGPRsForWavesPerEU: 64
; Occupancy: 4
; WaveLimiterHint : 1
; COMPUTE_PGM_RSRC2:SCRATCH_EN: 0
; COMPUTE_PGM_RSRC2:USER_SGPR: 6
; COMPUTE_PGM_RSRC2:TRAP_HANDLER: 0
; COMPUTE_PGM_RSRC2:TGID_X_EN: 1
; COMPUTE_PGM_RSRC2:TGID_Y_EN: 0
; COMPUTE_PGM_RSRC2:TGID_Z_EN: 0
; COMPUTE_PGM_RSRC2:TIDIG_COMP_CNT: 0
	.section	.text._ZN9rocsparseL19gebsrmvn_4xn_kernelILj128ELj6ELj16E21rocsparse_complex_numIfEEEvi20rocsparse_direction_NS_24const_host_device_scalarIT2_EEPKiS8_PKS5_SA_S6_PS5_21rocsparse_index_base_b,"axG",@progbits,_ZN9rocsparseL19gebsrmvn_4xn_kernelILj128ELj6ELj16E21rocsparse_complex_numIfEEEvi20rocsparse_direction_NS_24const_host_device_scalarIT2_EEPKiS8_PKS5_SA_S6_PS5_21rocsparse_index_base_b,comdat
	.globl	_ZN9rocsparseL19gebsrmvn_4xn_kernelILj128ELj6ELj16E21rocsparse_complex_numIfEEEvi20rocsparse_direction_NS_24const_host_device_scalarIT2_EEPKiS8_PKS5_SA_S6_PS5_21rocsparse_index_base_b ; -- Begin function _ZN9rocsparseL19gebsrmvn_4xn_kernelILj128ELj6ELj16E21rocsparse_complex_numIfEEEvi20rocsparse_direction_NS_24const_host_device_scalarIT2_EEPKiS8_PKS5_SA_S6_PS5_21rocsparse_index_base_b
	.p2align	8
	.type	_ZN9rocsparseL19gebsrmvn_4xn_kernelILj128ELj6ELj16E21rocsparse_complex_numIfEEEvi20rocsparse_direction_NS_24const_host_device_scalarIT2_EEPKiS8_PKS5_SA_S6_PS5_21rocsparse_index_base_b,@function
_ZN9rocsparseL19gebsrmvn_4xn_kernelILj128ELj6ELj16E21rocsparse_complex_numIfEEEvi20rocsparse_direction_NS_24const_host_device_scalarIT2_EEPKiS8_PKS5_SA_S6_PS5_21rocsparse_index_base_b: ; @_ZN9rocsparseL19gebsrmvn_4xn_kernelILj128ELj6ELj16E21rocsparse_complex_numIfEEEvi20rocsparse_direction_NS_24const_host_device_scalarIT2_EEPKiS8_PKS5_SA_S6_PS5_21rocsparse_index_base_b
; %bb.0:
	s_load_dwordx2 s[0:1], s[4:5], 0x8
	s_load_dwordx2 s[2:3], s[4:5], 0x30
	;; [unrolled: 1-line block ×3, first 2 shown]
	s_add_u32 s7, s4, 8
	s_addc_u32 s8, s5, 0
	s_add_u32 s9, s4, 48
	s_addc_u32 s10, s5, 0
	s_waitcnt lgkmcnt(0)
	s_bitcmp1_b32 s17, 0
	s_cselect_b32 s1, s8, s1
	s_cselect_b32 s0, s7, s0
	v_mov_b32_e32 v1, s0
	v_mov_b32_e32 v2, s1
	flat_load_dwordx2 v[1:2], v[1:2]
	s_cselect_b32 s0, s10, s3
	s_cselect_b32 s1, s9, s2
	v_mov_b32_e32 v3, s1
	v_mov_b32_e32 v4, s0
	flat_load_dwordx2 v[3:4], v[3:4]
	s_waitcnt vmcnt(0) lgkmcnt(0)
	v_cmp_eq_f32_e32 vcc, 0, v1
	v_cmp_eq_f32_e64 s[0:1], 0, v2
	s_and_b64 s[8:9], vcc, s[0:1]
	s_mov_b64 s[0:1], -1
	s_and_saveexec_b64 s[2:3], s[8:9]
; %bb.1:
	v_cmp_neq_f32_e32 vcc, 1.0, v3
	v_cmp_neq_f32_e64 s[0:1], 0, v4
	s_or_b64 s[0:1], vcc, s[0:1]
	s_orn2_b64 s[0:1], s[0:1], exec
; %bb.2:
	s_or_b64 exec, exec, s[2:3]
	s_and_saveexec_b64 s[2:3], s[0:1]
	s_cbranch_execz .LBB96_21
; %bb.3:
	s_load_dwordx2 s[0:1], s[4:5], 0x0
	v_lshrrev_b32_e32 v5, 4, v0
	v_lshl_or_b32 v5, s6, 3, v5
	s_waitcnt lgkmcnt(0)
	v_cmp_gt_i32_e32 vcc, s0, v5
	s_and_b64 exec, exec, vcc
	s_cbranch_execz .LBB96_21
; %bb.4:
	s_load_dwordx8 s[8:15], s[4:5], 0x10
	v_ashrrev_i32_e32 v6, 31, v5
	v_lshlrev_b64 v[6:7], 2, v[5:6]
	v_and_b32_e32 v0, 15, v0
	s_cmp_lg_u32 s1, 0
	s_waitcnt lgkmcnt(0)
	v_mov_b32_e32 v8, s9
	v_add_co_u32_e32 v6, vcc, s8, v6
	v_addc_co_u32_e32 v7, vcc, v8, v7, vcc
	global_load_dwordx2 v[6:7], v[6:7], off
	s_waitcnt vmcnt(0)
	v_subrev_u32_e32 v6, s16, v6
	v_subrev_u32_e32 v16, s16, v7
	v_add_u32_e32 v6, v6, v0
	v_cmp_lt_i32_e64 s[0:1], v6, v16
	s_cbranch_scc0 .LBB96_10
; %bb.5:
	v_mov_b32_e32 v15, 0
	v_mov_b32_e32 v20, 0
	;; [unrolled: 1-line block ×8, first 2 shown]
	s_and_saveexec_b64 s[8:9], s[0:1]
	s_cbranch_execz .LBB96_9
; %bb.6:
	v_mad_u64_u32 v[7:8], s[2:3], v6, 24, 20
	v_mov_b32_e32 v10, 0
	s_mov_b64 s[18:19], 0
	v_mov_b32_e32 v22, s11
	v_mov_b32_e32 v23, s13
	;; [unrolled: 1-line block ×12, first 2 shown]
.LBB96_7:                               ; =>This Inner Loop Header: Depth=1
	v_ashrrev_i32_e32 v12, 31, v11
	v_subrev_u32_e32 v9, 20, v7
	v_mov_b32_e32 v8, v10
	v_lshlrev_b64 v[25:26], 2, v[11:12]
	v_lshlrev_b64 v[27:28], 3, v[9:10]
	;; [unrolled: 1-line block ×3, first 2 shown]
	v_add_u32_e32 v9, -12, v7
	v_lshlrev_b64 v[8:9], 3, v[9:10]
	v_add_co_u32_e32 v31, vcc, s10, v25
	v_add_co_u32_e64 v33, s[2:3], s12, v27
	v_add_co_u32_e64 v39, s[6:7], s12, v29
	v_addc_co_u32_e32 v32, vcc, v22, v26, vcc
	v_addc_co_u32_e64 v34, vcc, v23, v28, s[2:3]
	v_addc_co_u32_e64 v40, vcc, v23, v30, s[6:7]
	v_add_co_u32_e32 v41, vcc, s12, v8
	global_load_dword v8, v[31:32], off
	global_load_dwordx4 v[25:28], v[33:34], off
	v_mov_b32_e32 v38, v10
	v_addc_co_u32_e32 v42, vcc, v23, v9, vcc
	v_add_u32_e32 v11, 16, v11
	s_waitcnt vmcnt(1)
	v_subrev_u32_e32 v8, s16, v8
	v_mul_lo_u32 v37, v8, 6
	v_lshlrev_b64 v[29:30], 3, v[37:38]
	v_add_u32_e32 v9, 2, v37
	v_add_co_u32_e64 v29, s[2:3], s14, v29
	v_addc_co_u32_e64 v30, s[2:3], v24, v30, s[2:3]
	global_load_dwordx4 v[29:32], v[29:30], off
	s_waitcnt vmcnt(0)
	v_fmac_f32_e32 v20, v25, v29
	v_fmac_f32_e32 v15, v26, v29
	;; [unrolled: 1-line block ×4, first 2 shown]
	v_fma_f32 v8, -v26, v30, v20
	v_fmac_f32_e32 v15, v25, v30
	v_fma_f32 v12, -v28, v30, v21
	v_fmac_f32_e32 v17, v27, v30
	global_load_dwordx4 v[25:28], v[33:34], off offset:16
	s_waitcnt vmcnt(0)
	v_fmac_f32_e32 v19, v25, v29
	v_fmac_f32_e32 v14, v26, v29
	;; [unrolled: 1-line block ×4, first 2 shown]
	v_fma_f32 v29, -v26, v30, v19
	v_fmac_f32_e32 v14, v25, v30
	v_fma_f32 v38, -v28, v30, v18
	v_fmac_f32_e32 v13, v27, v30
	global_load_dwordx4 v[18:21], v[33:34], off offset:32
	global_load_dwordx4 v[25:28], v[33:34], off offset:48
	s_waitcnt vmcnt(1)
	v_fmac_f32_e32 v8, v18, v31
	s_waitcnt vmcnt(0)
	v_fmac_f32_e32 v29, v25, v31
	v_fmac_f32_e32 v14, v26, v31
	v_fma_f32 v43, -v26, v32, v29
	v_fmac_f32_e32 v14, v25, v32
	v_lshlrev_b64 v[25:26], 3, v[9:10]
	v_fmac_f32_e32 v15, v19, v31
	v_add_co_u32_e32 v25, vcc, s14, v25
	v_fmac_f32_e32 v12, v20, v31
	v_fmac_f32_e32 v17, v21, v31
	;; [unrolled: 1-line block ×4, first 2 shown]
	v_addc_co_u32_e32 v26, vcc, v24, v26, vcc
	v_fma_f32 v8, -v19, v32, v8
	v_fmac_f32_e32 v15, v18, v32
	v_fma_f32 v12, -v21, v32, v12
	v_fmac_f32_e32 v17, v20, v32
	;; [unrolled: 2-line block ×3, first 2 shown]
	global_load_dwordx4 v[18:21], v[41:42], off
	v_add_u32_e32 v9, -8, v7
	global_load_dwordx4 v[25:28], v[25:26], off
	s_waitcnt vmcnt(0)
	v_fmac_f32_e32 v8, v18, v25
	v_fmac_f32_e32 v15, v19, v25
	v_fma_f32 v8, -v19, v26, v8
	v_fmac_f32_e32 v15, v18, v26
	v_lshlrev_b64 v[18:19], 3, v[9:10]
	v_fmac_f32_e32 v12, v20, v25
	v_fmac_f32_e32 v17, v21, v25
	v_add_co_u32_e32 v31, vcc, s12, v18
	v_fma_f32 v12, -v21, v26, v12
	v_fmac_f32_e32 v17, v20, v26
	v_addc_co_u32_e32 v32, vcc, v23, v19, vcc
	global_load_dwordx4 v[18:21], v[41:42], off offset:16
	v_add_u32_e32 v9, -4, v7
	global_load_dwordx4 v[33:36], v[39:40], off
	v_lshlrev_b64 v[29:30], 3, v[9:10]
	v_add_u32_e32 v9, 4, v37
	v_add_co_u32_e32 v29, vcc, s12, v29
	v_addc_co_u32_e32 v30, vcc, v23, v30, vcc
	v_add_u32_e32 v7, 0x180, v7
	s_waitcnt vmcnt(1)
	v_fmac_f32_e32 v43, v18, v25
	v_fmac_f32_e32 v14, v19, v25
	;; [unrolled: 1-line block ×4, first 2 shown]
	v_fma_f32 v25, -v19, v26, v43
	v_fmac_f32_e32 v14, v18, v26
	v_fma_f32 v37, -v21, v26, v38
	v_fmac_f32_e32 v13, v20, v26
	global_load_dwordx4 v[18:21], v[31:32], off
	s_waitcnt vmcnt(0)
	v_fmac_f32_e32 v8, v18, v27
	v_fmac_f32_e32 v15, v19, v27
	;; [unrolled: 1-line block ×4, first 2 shown]
	v_fma_f32 v38, -v19, v28, v8
	v_fmac_f32_e32 v15, v18, v28
	v_fma_f32 v12, -v21, v28, v12
	v_fmac_f32_e32 v17, v20, v28
	global_load_dwordx4 v[18:21], v[31:32], off offset:16
	v_lshlrev_b64 v[8:9], 3, v[9:10]
	v_add_co_u32_e32 v8, vcc, s14, v8
	v_addc_co_u32_e32 v9, vcc, v24, v9, vcc
	v_cmp_ge_i32_e32 vcc, v11, v16
	s_or_b64 s[18:19], vcc, s[18:19]
	s_waitcnt vmcnt(0)
	v_fmac_f32_e32 v25, v18, v27
	v_fmac_f32_e32 v14, v19, v27
	;; [unrolled: 1-line block ×4, first 2 shown]
	v_fma_f32 v41, -v19, v28, v25
	v_fmac_f32_e32 v14, v18, v28
	v_fma_f32 v37, -v21, v28, v37
	v_fmac_f32_e32 v13, v20, v28
	global_load_dwordx4 v[18:21], v[29:30], off offset:16
	global_load_dwordx4 v[25:28], v[29:30], off
	s_nop 0
	global_load_dwordx4 v[29:32], v[8:9], off
	s_waitcnt vmcnt(0)
	v_fmac_f32_e32 v38, v25, v29
	v_fmac_f32_e32 v15, v26, v29
	;; [unrolled: 1-line block ×4, first 2 shown]
	v_fma_f32 v8, -v26, v30, v38
	v_fmac_f32_e32 v15, v25, v30
	v_fma_f32 v9, -v28, v30, v12
	v_fmac_f32_e32 v17, v27, v30
	global_load_dwordx4 v[25:28], v[39:40], off offset:16
	v_fmac_f32_e32 v41, v18, v29
	v_fmac_f32_e32 v14, v19, v29
	;; [unrolled: 1-line block ×4, first 2 shown]
	v_fma_f32 v12, -v19, v30, v41
	v_fmac_f32_e32 v14, v18, v30
	v_fma_f32 v18, -v21, v30, v37
	v_fmac_f32_e32 v13, v20, v30
	v_fmac_f32_e32 v8, v33, v31
	;; [unrolled: 1-line block ×5, first 2 shown]
	v_fma_f32 v20, -v34, v32, v8
	v_fmac_f32_e32 v15, v33, v32
	v_fma_f32 v21, -v36, v32, v9
	v_fmac_f32_e32 v17, v35, v32
	s_waitcnt vmcnt(0)
	v_fmac_f32_e32 v12, v25, v31
	v_fmac_f32_e32 v14, v26, v31
	;; [unrolled: 1-line block ×4, first 2 shown]
	v_fma_f32 v19, -v26, v32, v12
	v_fmac_f32_e32 v14, v25, v32
	v_fma_f32 v18, -v28, v32, v18
	v_fmac_f32_e32 v13, v27, v32
	s_andn2_b64 exec, exec, s[18:19]
	s_cbranch_execnz .LBB96_7
; %bb.8:
	s_or_b64 exec, exec, s[18:19]
.LBB96_9:
	s_or_b64 exec, exec, s[8:9]
	s_cbranch_execz .LBB96_11
	s_branch .LBB96_16
.LBB96_10:
                                        ; implicit-def: $vgpr15
                                        ; implicit-def: $vgpr20
                                        ; implicit-def: $vgpr18
                                        ; implicit-def: $vgpr13
                                        ; implicit-def: $vgpr19
                                        ; implicit-def: $vgpr14
                                        ; implicit-def: $vgpr21
                                        ; implicit-def: $vgpr17
.LBB96_11:
	v_mov_b32_e32 v15, 0
	v_mov_b32_e32 v20, 0
	;; [unrolled: 1-line block ×8, first 2 shown]
	s_and_saveexec_b64 s[2:3], s[0:1]
	s_cbranch_execz .LBB96_15
; %bb.12:
	v_mad_u64_u32 v[8:9], s[0:1], v6, 24, 23
	v_mov_b32_e32 v11, 0
	s_mov_b64 s[0:1], 0
	v_mov_b32_e32 v12, s11
	v_mov_b32_e32 v22, s13
	;; [unrolled: 1-line block ×11, first 2 shown]
.LBB96_13:                              ; =>This Inner Loop Header: Depth=1
	v_ashrrev_i32_e32 v7, 31, v6
	v_lshlrev_b64 v[28:29], 2, v[6:7]
	v_subrev_u32_e32 v10, 23, v8
	v_lshlrev_b64 v[30:31], 3, v[10:11]
	v_add_co_u32_e32 v32, vcc, s10, v28
	v_add_u32_e32 v24, -11, v8
	v_mov_b32_e32 v25, v11
	v_addc_co_u32_e32 v33, vcc, v12, v29, vcc
	v_lshlrev_b64 v[24:25], 3, v[24:25]
	v_add_co_u32_e32 v46, vcc, s12, v30
	v_add_u32_e32 v26, -5, v8
	v_mov_b32_e32 v27, v11
	v_addc_co_u32_e32 v47, vcc, v22, v31, vcc
	v_lshlrev_b64 v[26:27], 3, v[26:27]
	v_add_co_u32_e32 v48, vcc, s12, v24
	v_addc_co_u32_e32 v49, vcc, v22, v25, vcc
	v_add_co_u32_e32 v50, vcc, s12, v26
	v_addc_co_u32_e32 v51, vcc, v22, v27, vcc
	global_load_dword v7, v[32:33], off
	global_load_dwordx4 v[24:27], v[46:47], off
	global_load_dwordx4 v[28:31], v[46:47], off offset:16
	v_mov_b32_e32 v41, v11
	v_mov_b32_e32 v9, v11
	v_lshlrev_b64 v[42:43], 3, v[8:9]
	v_add_u32_e32 v10, -10, v8
	v_lshlrev_b64 v[44:45], 3, v[10:11]
	v_add_u32_e32 v10, -4, v8
	v_add_u32_e32 v6, 16, v6
	s_waitcnt vmcnt(2)
	v_subrev_u32_e32 v7, s16, v7
	v_mul_lo_u32 v40, v7, 6
	v_lshlrev_b64 v[32:33], 3, v[40:41]
	v_add_co_u32_e32 v32, vcc, s14, v32
	v_addc_co_u32_e32 v33, vcc, v23, v33, vcc
	global_load_dwordx4 v[32:35], v[32:33], off
	v_add_co_u32_e32 v41, vcc, s12, v42
	v_addc_co_u32_e32 v42, vcc, v22, v43, vcc
	s_waitcnt vmcnt(0)
	v_fmac_f32_e32 v20, v24, v32
	v_fmac_f32_e32 v15, v25, v32
	v_fma_f32 v7, -v25, v33, v20
	v_fmac_f32_e32 v15, v24, v33
	v_fmac_f32_e32 v7, v26, v34
	;; [unrolled: 1-line block ×3, first 2 shown]
	v_fma_f32 v7, -v27, v35, v7
	v_fmac_f32_e32 v15, v26, v35
	global_load_dwordx4 v[24:27], v[46:47], off offset:48
	global_load_dwordx4 v[36:39], v[46:47], off offset:32
	v_add_co_u32_e32 v20, vcc, s12, v44
	s_waitcnt vmcnt(1)
	v_fmac_f32_e32 v21, v24, v32
	v_fma_f32 v9, -v25, v33, v21
	v_fmac_f32_e32 v9, v26, v34
	v_fma_f32 v61, -v27, v35, v9
	v_lshlrev_b64 v[9:10], 3, v[10:11]
	v_fmac_f32_e32 v17, v25, v32
	v_addc_co_u32_e32 v21, vcc, v22, v45, vcc
	v_fmac_f32_e32 v17, v24, v33
	v_add_co_u32_e32 v24, vcc, s12, v9
	v_addc_co_u32_e32 v25, vcc, v22, v10, vcc
	v_add_u32_e32 v10, 2, v40
	v_lshlrev_b64 v[9:10], 3, v[10:11]
	v_fmac_f32_e32 v17, v27, v34
	v_fmac_f32_e32 v17, v26, v35
	v_add_co_u32_e32 v26, vcc, s14, v9
	v_addc_co_u32_e32 v27, vcc, v23, v10, vcc
	v_add_u32_e32 v10, -15, v8
	v_lshlrev_b64 v[9:10], 3, v[10:11]
	v_add_co_u32_e32 v43, vcc, s12, v9
	v_addc_co_u32_e32 v44, vcc, v22, v10, vcc
	v_add_u32_e32 v10, -9, v8
	v_lshlrev_b64 v[9:10], 3, v[10:11]
	v_add_co_u32_e32 v45, vcc, s12, v9
	v_addc_co_u32_e32 v46, vcc, v22, v10, vcc
	global_load_dwordx2 v[9:10], v[48:49], off
	global_load_dwordx2 v[52:53], v[50:51], off
	;; [unrolled: 1-line block ×4, first 2 shown]
	s_waitcnt vmcnt(3)
	v_fmac_f32_e32 v19, v9, v32
	v_fma_f32 v19, -v10, v33, v19
	v_fmac_f32_e32 v14, v10, v32
	s_waitcnt vmcnt(2)
	v_fmac_f32_e32 v18, v52, v32
	v_add_u32_e32 v10, -3, v8
	s_waitcnt vmcnt(1)
	v_fmac_f32_e32 v19, v54, v34
	v_fmac_f32_e32 v14, v9, v33
	v_fma_f32 v9, -v53, v33, v18
	v_fma_f32 v62, -v55, v35, v19
	v_lshlrev_b64 v[18:19], 3, v[10:11]
	v_add_u32_e32 v10, -14, v8
	v_lshlrev_b64 v[20:21], 3, v[10:11]
	v_add_co_u32_e32 v24, vcc, s12, v18
	v_add_u32_e32 v10, -8, v8
	v_addc_co_u32_e32 v25, vcc, v22, v19, vcc
	v_fmac_f32_e32 v13, v53, v32
	v_lshlrev_b64 v[18:19], 3, v[10:11]
	v_add_co_u32_e32 v32, vcc, s12, v20
	v_fmac_f32_e32 v13, v52, v33
	v_addc_co_u32_e32 v33, vcc, v22, v21, vcc
	v_add_co_u32_e32 v47, vcc, s12, v18
	v_addc_co_u32_e32 v48, vcc, v22, v19, vcc
	global_load_dwordx4 v[18:21], v[26:27], off
	v_fmac_f32_e32 v14, v55, v34
	s_waitcnt vmcnt(1)
	v_fmac_f32_e32 v9, v56, v34
	v_fmac_f32_e32 v13, v57, v34
	v_add_u32_e32 v10, -2, v8
	v_fmac_f32_e32 v14, v54, v35
	v_fma_f32 v63, -v57, v35, v9
	v_fmac_f32_e32 v13, v56, v35
	v_lshlrev_b64 v[34:35], 3, v[10:11]
	v_add_u32_e32 v10, 4, v40
	v_lshlrev_b64 v[26:27], 3, v[10:11]
	v_add_u32_e32 v10, -13, v8
	v_lshlrev_b64 v[9:10], 3, v[10:11]
	s_waitcnt vmcnt(0)
	v_fmac_f32_e32 v15, v29, v18
	v_fmac_f32_e32 v7, v28, v18
	v_fmac_f32_e32 v15, v28, v19
	v_add_co_u32_e32 v28, vcc, s12, v34
	v_fma_f32 v7, -v29, v19, v7
	v_fmac_f32_e32 v15, v31, v20
	v_addc_co_u32_e32 v29, vcc, v22, v35, vcc
	v_fmac_f32_e32 v7, v30, v20
	v_fmac_f32_e32 v15, v30, v21
	v_add_co_u32_e32 v30, vcc, s14, v26
	v_fma_f32 v7, -v31, v21, v7
	v_addc_co_u32_e32 v31, vcc, v23, v27, vcc
	global_load_dwordx2 v[26:27], v[43:44], off
	global_load_dwordx2 v[55:56], v[45:46], off
	;; [unrolled: 1-line block ×4, first 2 shown]
	v_add_co_u32_e32 v34, vcc, s12, v9
	v_addc_co_u32_e32 v35, vcc, v22, v10, vcc
	v_add_u32_e32 v10, -7, v8
	v_lshlrev_b64 v[9:10], 3, v[10:11]
	v_add_co_u32_e32 v49, vcc, s12, v9
	v_addc_co_u32_e32 v50, vcc, v22, v10, vcc
	v_add_u32_e32 v10, -1, v8
	v_lshlrev_b64 v[9:10], 3, v[10:11]
	;; [unrolled: 4-line block ×4, first 2 shown]
	v_add_u32_e32 v8, 0x180, v8
	v_add_co_u32_e32 v9, vcc, s12, v9
	v_addc_co_u32_e32 v10, vcc, v22, v10, vcc
	v_cmp_ge_i32_e32 vcc, v6, v16
	s_or_b64 s[0:1], vcc, s[0:1]
	s_waitcnt vmcnt(3)
	v_fmac_f32_e32 v61, v26, v18
	v_fmac_f32_e32 v17, v27, v18
	s_waitcnt vmcnt(2)
	v_fmac_f32_e32 v62, v55, v18
	v_fmac_f32_e32 v14, v56, v18
	;; [unrolled: 3-line block ×3, first 2 shown]
	v_fma_f32 v24, -v27, v19, v61
	v_fmac_f32_e32 v17, v26, v19
	v_fma_f32 v25, -v56, v19, v62
	v_fmac_f32_e32 v14, v55, v19
	;; [unrolled: 2-line block ×3, first 2 shown]
	global_load_dwordx2 v[18:19], v[47:48], off
	global_load_dwordx2 v[32:33], v[28:29], off
	s_waitcnt vmcnt(2)
	v_fmac_f32_e32 v24, v59, v20
	v_fma_f32 v57, -v60, v21, v24
	v_fmac_f32_e32 v17, v60, v20
	v_fmac_f32_e32 v17, v59, v21
	s_waitcnt vmcnt(1)
	v_fmac_f32_e32 v25, v18, v20
	v_fmac_f32_e32 v14, v19, v20
	v_fma_f32 v58, -v19, v21, v25
	v_fmac_f32_e32 v14, v18, v21
	global_load_dwordx4 v[24:27], v[30:31], off
	global_load_dwordx2 v[18:19], v[34:35], off
	global_load_dwordx2 v[28:29], v[49:50], off
	;; [unrolled: 1-line block ×6, first 2 shown]
	s_waitcnt vmcnt(7)
	v_fmac_f32_e32 v40, v32, v20
	v_fmac_f32_e32 v13, v33, v20
	v_fma_f32 v9, -v33, v21, v40
	v_fmac_f32_e32 v13, v32, v21
	s_waitcnt vmcnt(6)
	v_fmac_f32_e32 v7, v36, v24
	v_fma_f32 v7, -v37, v25, v7
	v_fmac_f32_e32 v15, v37, v24
	s_waitcnt vmcnt(5)
	v_fmac_f32_e32 v57, v18, v24
	v_fmac_f32_e32 v17, v19, v24
	;; [unrolled: 1-line block ×3, first 2 shown]
	s_waitcnt vmcnt(4)
	v_fmac_f32_e32 v58, v28, v24
	v_fmac_f32_e32 v14, v29, v24
	s_waitcnt vmcnt(3)
	v_fmac_f32_e32 v9, v43, v24
	v_fmac_f32_e32 v13, v44, v24
	;; [unrolled: 1-line block ×3, first 2 shown]
	v_fma_f32 v10, -v19, v25, v57
	v_fmac_f32_e32 v17, v18, v25
	v_fma_f32 v20, -v39, v27, v7
	v_fma_f32 v7, -v29, v25, v58
	v_fmac_f32_e32 v14, v28, v25
	v_fma_f32 v9, -v44, v25, v9
	v_fmac_f32_e32 v13, v43, v25
	v_fmac_f32_e32 v15, v39, v26
	s_waitcnt vmcnt(2)
	v_fmac_f32_e32 v10, v45, v26
	v_fmac_f32_e32 v17, v46, v26
	s_waitcnt vmcnt(1)
	;; [unrolled: 3-line block ×3, first 2 shown]
	v_fmac_f32_e32 v9, v55, v26
	v_fmac_f32_e32 v13, v56, v26
	;; [unrolled: 1-line block ×3, first 2 shown]
	v_fma_f32 v21, -v46, v27, v10
	v_fmac_f32_e32 v17, v45, v27
	v_fma_f32 v19, -v48, v27, v7
	v_fmac_f32_e32 v14, v47, v27
	;; [unrolled: 2-line block ×3, first 2 shown]
	s_andn2_b64 exec, exec, s[0:1]
	s_cbranch_execnz .LBB96_13
; %bb.14:
	s_or_b64 exec, exec, s[0:1]
.LBB96_15:
	s_or_b64 exec, exec, s[2:3]
.LBB96_16:
	v_mov_b32_dpp v10, v21 row_shr:1 row_mask:0xf bank_mask:0xf
	v_add_f32_e32 v10, v21, v10
	v_mov_b32_dpp v6, v20 row_shr:1 row_mask:0xf bank_mask:0xf
	v_mov_b32_dpp v8, v15 row_shr:1 row_mask:0xf bank_mask:0xf
	v_mov_b32_dpp v11, v10 row_shr:2 row_mask:0xf bank_mask:0xf
	v_add_f32_e32 v10, v10, v11
	v_add_f32_e32 v6, v20, v6
	v_add_f32_e32 v8, v15, v8
	v_mov_b32_dpp v11, v10 row_shr:4 row_mask:0xf bank_mask:0xe
	v_add_f32_e32 v11, v10, v11
	v_mov_b32_dpp v10, v17 row_shr:1 row_mask:0xf bank_mask:0xf
	v_add_f32_e32 v10, v17, v10
	v_mov_b32_dpp v7, v6 row_shr:2 row_mask:0xf bank_mask:0xf
	v_mov_b32_dpp v9, v8 row_shr:2 row_mask:0xf bank_mask:0xf
	v_mov_b32_dpp v12, v10 row_shr:2 row_mask:0xf bank_mask:0xf
	v_add_f32_e32 v10, v10, v12
	v_add_f32_e32 v6, v6, v7
	v_add_f32_e32 v8, v8, v9
	v_mov_b32_dpp v12, v10 row_shr:4 row_mask:0xf bank_mask:0xe
	v_add_f32_e32 v16, v10, v12
	;; [unrolled: 10-line block ×3, first 2 shown]
	v_mov_b32_dpp v10, v14 row_shr:1 row_mask:0xf bank_mask:0xf
	v_add_f32_e32 v10, v14, v10
	v_mov_b32_dpp v7, v6 row_shr:8 row_mask:0xf bank_mask:0xc
	v_mov_b32_dpp v9, v8 row_shr:8 row_mask:0xf bank_mask:0xc
	;; [unrolled: 1-line block ×3, first 2 shown]
	v_add_f32_e32 v10, v10, v12
	v_mov_b32_dpp v15, v11 row_shr:8 row_mask:0xf bank_mask:0xc
	v_mov_b32_dpp v17, v16 row_shr:8 row_mask:0xf bank_mask:0xc
	;; [unrolled: 1-line block ×3, first 2 shown]
	v_add_f32_e32 v14, v10, v12
	v_mov_b32_dpp v10, v18 row_shr:1 row_mask:0xf bank_mask:0xf
	v_add_f32_e32 v10, v18, v10
	v_mov_b32_dpp v20, v19 row_shr:8 row_mask:0xf bank_mask:0xc
	v_mov_b32_dpp v21, v14 row_shr:8 row_mask:0xf bank_mask:0xc
	;; [unrolled: 1-line block ×3, first 2 shown]
	v_add_f32_e32 v10, v10, v12
	v_cmp_eq_u32_e32 vcc, 15, v0
	s_nop 0
	v_mov_b32_dpp v12, v10 row_shr:4 row_mask:0xf bank_mask:0xe
	v_add_f32_e32 v18, v10, v12
	v_mov_b32_dpp v10, v13 row_shr:1 row_mask:0xf bank_mask:0xf
	v_add_f32_e32 v10, v13, v10
	v_mov_b32_dpp v22, v18 row_shr:8 row_mask:0xf bank_mask:0xc
	s_nop 0
	v_mov_b32_dpp v12, v10 row_shr:2 row_mask:0xf bank_mask:0xf
	v_add_f32_e32 v10, v10, v12
	s_nop 1
	v_mov_b32_dpp v12, v10 row_shr:4 row_mask:0xf bank_mask:0xe
	v_add_f32_e32 v13, v10, v12
	s_nop 1
	v_mov_b32_dpp v23, v13 row_shr:8 row_mask:0xf bank_mask:0xc
	s_and_b64 exec, exec, vcc
	s_cbranch_execz .LBB96_21
; %bb.17:
	s_load_dwordx2 s[2:3], s[4:5], 0x38
	v_cmp_eq_f32_e32 vcc, 0, v3
	v_cmp_eq_f32_e64 s[0:1], 0, v4
	v_add_f32_e32 v10, v6, v7
	v_add_f32_e32 v12, v8, v9
	;; [unrolled: 1-line block ×8, first 2 shown]
	s_and_b64 s[0:1], vcc, s[0:1]
	s_and_saveexec_b64 s[4:5], s[0:1]
	s_xor_b64 s[0:1], exec, s[4:5]
	s_cbranch_execz .LBB96_19
; %bb.18:
	v_lshlrev_b32_e32 v3, 2, v5
	v_ashrrev_i32_e32 v4, 31, v3
	v_lshlrev_b64 v[3:4], 3, v[3:4]
	s_waitcnt lgkmcnt(0)
	v_mov_b32_e32 v5, s3
	v_add_co_u32_e32 v17, vcc, s2, v3
	v_addc_co_u32_e32 v18, vcc, v5, v4, vcc
	v_mul_f32_e64 v3, v9, -v2
	v_mul_f32_e32 v4, v1, v9
	v_mul_f32_e64 v13, v12, -v2
	v_mul_f32_e32 v14, v1, v12
	;; [unrolled: 2-line block ×3, first 2 shown]
	v_fmac_f32_e32 v3, v1, v6
	v_fmac_f32_e32 v4, v2, v6
	v_mul_f32_e64 v5, v7, -v2
	v_mul_f32_e32 v6, v1, v7
	v_fmac_f32_e32 v13, v1, v10
	v_fmac_f32_e32 v14, v2, v10
	;; [unrolled: 1-line block ×6, first 2 shown]
	global_store_dwordx4 v[17:18], v[13:16], off
	global_store_dwordx4 v[17:18], v[3:6], off offset:16
                                        ; implicit-def: $vgpr5
                                        ; implicit-def: $vgpr10
                                        ; implicit-def: $vgpr12
                                        ; implicit-def: $vgpr8
                                        ; implicit-def: $vgpr11
                                        ; implicit-def: $vgpr6
                                        ; implicit-def: $vgpr9
                                        ; implicit-def: $vgpr0
                                        ; implicit-def: $vgpr7
                                        ; implicit-def: $vgpr1_vgpr2
                                        ; implicit-def: $vgpr3_vgpr4
.LBB96_19:
	s_andn2_saveexec_b64 s[0:1], s[0:1]
	s_cbranch_execz .LBB96_21
; %bb.20:
	v_lshlrev_b32_e32 v13, 2, v5
	v_ashrrev_i32_e32 v14, 31, v13
	v_lshlrev_b64 v[13:14], 3, v[13:14]
	s_waitcnt lgkmcnt(0)
	v_mov_b32_e32 v5, s3
	v_add_co_u32_e32 v25, vcc, s2, v13
	v_addc_co_u32_e32 v26, vcc, v5, v14, vcc
	global_load_dwordx4 v[13:16], v[25:26], off
	global_load_dwordx4 v[17:20], v[25:26], off offset:16
	v_mul_f32_e64 v5, v12, -v2
	v_mul_f32_e32 v22, v1, v12
	v_mul_f32_e64 v12, v11, -v2
	v_mul_f32_e32 v24, v1, v11
	;; [unrolled: 2-line block ×4, first 2 shown]
	v_fmac_f32_e32 v5, v1, v10
	v_fmac_f32_e32 v22, v2, v10
	;; [unrolled: 1-line block ×8, first 2 shown]
	s_waitcnt vmcnt(1)
	v_fmac_f32_e32 v5, v3, v13
	v_fmac_f32_e32 v22, v4, v13
	;; [unrolled: 1-line block ×4, first 2 shown]
	s_waitcnt vmcnt(0)
	v_fmac_f32_e32 v27, v3, v17
	v_fmac_f32_e32 v9, v4, v17
	;; [unrolled: 1-line block ×4, first 2 shown]
	v_fma_f32 v21, -v4, v14, v5
	v_fmac_f32_e32 v22, v3, v14
	v_fma_f32 v23, -v4, v16, v12
	v_fmac_f32_e32 v24, v3, v16
	;; [unrolled: 2-line block ×4, first 2 shown]
	global_store_dwordx4 v[25:26], v[21:24], off
	global_store_dwordx4 v[25:26], v[8:11], off offset:16
.LBB96_21:
	s_endpgm
	.section	.rodata,"a",@progbits
	.p2align	6, 0x0
	.amdhsa_kernel _ZN9rocsparseL19gebsrmvn_4xn_kernelILj128ELj6ELj16E21rocsparse_complex_numIfEEEvi20rocsparse_direction_NS_24const_host_device_scalarIT2_EEPKiS8_PKS5_SA_S6_PS5_21rocsparse_index_base_b
		.amdhsa_group_segment_fixed_size 0
		.amdhsa_private_segment_fixed_size 0
		.amdhsa_kernarg_size 72
		.amdhsa_user_sgpr_count 6
		.amdhsa_user_sgpr_private_segment_buffer 1
		.amdhsa_user_sgpr_dispatch_ptr 0
		.amdhsa_user_sgpr_queue_ptr 0
		.amdhsa_user_sgpr_kernarg_segment_ptr 1
		.amdhsa_user_sgpr_dispatch_id 0
		.amdhsa_user_sgpr_flat_scratch_init 0
		.amdhsa_user_sgpr_private_segment_size 0
		.amdhsa_uses_dynamic_stack 0
		.amdhsa_system_sgpr_private_segment_wavefront_offset 0
		.amdhsa_system_sgpr_workgroup_id_x 1
		.amdhsa_system_sgpr_workgroup_id_y 0
		.amdhsa_system_sgpr_workgroup_id_z 0
		.amdhsa_system_sgpr_workgroup_info 0
		.amdhsa_system_vgpr_workitem_id 0
		.amdhsa_next_free_vgpr 64
		.amdhsa_next_free_sgpr 20
		.amdhsa_reserve_vcc 1
		.amdhsa_reserve_flat_scratch 0
		.amdhsa_float_round_mode_32 0
		.amdhsa_float_round_mode_16_64 0
		.amdhsa_float_denorm_mode_32 3
		.amdhsa_float_denorm_mode_16_64 3
		.amdhsa_dx10_clamp 1
		.amdhsa_ieee_mode 1
		.amdhsa_fp16_overflow 0
		.amdhsa_exception_fp_ieee_invalid_op 0
		.amdhsa_exception_fp_denorm_src 0
		.amdhsa_exception_fp_ieee_div_zero 0
		.amdhsa_exception_fp_ieee_overflow 0
		.amdhsa_exception_fp_ieee_underflow 0
		.amdhsa_exception_fp_ieee_inexact 0
		.amdhsa_exception_int_div_zero 0
	.end_amdhsa_kernel
	.section	.text._ZN9rocsparseL19gebsrmvn_4xn_kernelILj128ELj6ELj16E21rocsparse_complex_numIfEEEvi20rocsparse_direction_NS_24const_host_device_scalarIT2_EEPKiS8_PKS5_SA_S6_PS5_21rocsparse_index_base_b,"axG",@progbits,_ZN9rocsparseL19gebsrmvn_4xn_kernelILj128ELj6ELj16E21rocsparse_complex_numIfEEEvi20rocsparse_direction_NS_24const_host_device_scalarIT2_EEPKiS8_PKS5_SA_S6_PS5_21rocsparse_index_base_b,comdat
.Lfunc_end96:
	.size	_ZN9rocsparseL19gebsrmvn_4xn_kernelILj128ELj6ELj16E21rocsparse_complex_numIfEEEvi20rocsparse_direction_NS_24const_host_device_scalarIT2_EEPKiS8_PKS5_SA_S6_PS5_21rocsparse_index_base_b, .Lfunc_end96-_ZN9rocsparseL19gebsrmvn_4xn_kernelILj128ELj6ELj16E21rocsparse_complex_numIfEEEvi20rocsparse_direction_NS_24const_host_device_scalarIT2_EEPKiS8_PKS5_SA_S6_PS5_21rocsparse_index_base_b
                                        ; -- End function
	.set _ZN9rocsparseL19gebsrmvn_4xn_kernelILj128ELj6ELj16E21rocsparse_complex_numIfEEEvi20rocsparse_direction_NS_24const_host_device_scalarIT2_EEPKiS8_PKS5_SA_S6_PS5_21rocsparse_index_base_b.num_vgpr, 64
	.set _ZN9rocsparseL19gebsrmvn_4xn_kernelILj128ELj6ELj16E21rocsparse_complex_numIfEEEvi20rocsparse_direction_NS_24const_host_device_scalarIT2_EEPKiS8_PKS5_SA_S6_PS5_21rocsparse_index_base_b.num_agpr, 0
	.set _ZN9rocsparseL19gebsrmvn_4xn_kernelILj128ELj6ELj16E21rocsparse_complex_numIfEEEvi20rocsparse_direction_NS_24const_host_device_scalarIT2_EEPKiS8_PKS5_SA_S6_PS5_21rocsparse_index_base_b.numbered_sgpr, 20
	.set _ZN9rocsparseL19gebsrmvn_4xn_kernelILj128ELj6ELj16E21rocsparse_complex_numIfEEEvi20rocsparse_direction_NS_24const_host_device_scalarIT2_EEPKiS8_PKS5_SA_S6_PS5_21rocsparse_index_base_b.num_named_barrier, 0
	.set _ZN9rocsparseL19gebsrmvn_4xn_kernelILj128ELj6ELj16E21rocsparse_complex_numIfEEEvi20rocsparse_direction_NS_24const_host_device_scalarIT2_EEPKiS8_PKS5_SA_S6_PS5_21rocsparse_index_base_b.private_seg_size, 0
	.set _ZN9rocsparseL19gebsrmvn_4xn_kernelILj128ELj6ELj16E21rocsparse_complex_numIfEEEvi20rocsparse_direction_NS_24const_host_device_scalarIT2_EEPKiS8_PKS5_SA_S6_PS5_21rocsparse_index_base_b.uses_vcc, 1
	.set _ZN9rocsparseL19gebsrmvn_4xn_kernelILj128ELj6ELj16E21rocsparse_complex_numIfEEEvi20rocsparse_direction_NS_24const_host_device_scalarIT2_EEPKiS8_PKS5_SA_S6_PS5_21rocsparse_index_base_b.uses_flat_scratch, 0
	.set _ZN9rocsparseL19gebsrmvn_4xn_kernelILj128ELj6ELj16E21rocsparse_complex_numIfEEEvi20rocsparse_direction_NS_24const_host_device_scalarIT2_EEPKiS8_PKS5_SA_S6_PS5_21rocsparse_index_base_b.has_dyn_sized_stack, 0
	.set _ZN9rocsparseL19gebsrmvn_4xn_kernelILj128ELj6ELj16E21rocsparse_complex_numIfEEEvi20rocsparse_direction_NS_24const_host_device_scalarIT2_EEPKiS8_PKS5_SA_S6_PS5_21rocsparse_index_base_b.has_recursion, 0
	.set _ZN9rocsparseL19gebsrmvn_4xn_kernelILj128ELj6ELj16E21rocsparse_complex_numIfEEEvi20rocsparse_direction_NS_24const_host_device_scalarIT2_EEPKiS8_PKS5_SA_S6_PS5_21rocsparse_index_base_b.has_indirect_call, 0
	.section	.AMDGPU.csdata,"",@progbits
; Kernel info:
; codeLenInByte = 3444
; TotalNumSgprs: 24
; NumVgprs: 64
; ScratchSize: 0
; MemoryBound: 0
; FloatMode: 240
; IeeeMode: 1
; LDSByteSize: 0 bytes/workgroup (compile time only)
; SGPRBlocks: 2
; VGPRBlocks: 15
; NumSGPRsForWavesPerEU: 24
; NumVGPRsForWavesPerEU: 64
; Occupancy: 4
; WaveLimiterHint : 1
; COMPUTE_PGM_RSRC2:SCRATCH_EN: 0
; COMPUTE_PGM_RSRC2:USER_SGPR: 6
; COMPUTE_PGM_RSRC2:TRAP_HANDLER: 0
; COMPUTE_PGM_RSRC2:TGID_X_EN: 1
; COMPUTE_PGM_RSRC2:TGID_Y_EN: 0
; COMPUTE_PGM_RSRC2:TGID_Z_EN: 0
; COMPUTE_PGM_RSRC2:TIDIG_COMP_CNT: 0
	.section	.text._ZN9rocsparseL19gebsrmvn_4xn_kernelILj128ELj6ELj32E21rocsparse_complex_numIfEEEvi20rocsparse_direction_NS_24const_host_device_scalarIT2_EEPKiS8_PKS5_SA_S6_PS5_21rocsparse_index_base_b,"axG",@progbits,_ZN9rocsparseL19gebsrmvn_4xn_kernelILj128ELj6ELj32E21rocsparse_complex_numIfEEEvi20rocsparse_direction_NS_24const_host_device_scalarIT2_EEPKiS8_PKS5_SA_S6_PS5_21rocsparse_index_base_b,comdat
	.globl	_ZN9rocsparseL19gebsrmvn_4xn_kernelILj128ELj6ELj32E21rocsparse_complex_numIfEEEvi20rocsparse_direction_NS_24const_host_device_scalarIT2_EEPKiS8_PKS5_SA_S6_PS5_21rocsparse_index_base_b ; -- Begin function _ZN9rocsparseL19gebsrmvn_4xn_kernelILj128ELj6ELj32E21rocsparse_complex_numIfEEEvi20rocsparse_direction_NS_24const_host_device_scalarIT2_EEPKiS8_PKS5_SA_S6_PS5_21rocsparse_index_base_b
	.p2align	8
	.type	_ZN9rocsparseL19gebsrmvn_4xn_kernelILj128ELj6ELj32E21rocsparse_complex_numIfEEEvi20rocsparse_direction_NS_24const_host_device_scalarIT2_EEPKiS8_PKS5_SA_S6_PS5_21rocsparse_index_base_b,@function
_ZN9rocsparseL19gebsrmvn_4xn_kernelILj128ELj6ELj32E21rocsparse_complex_numIfEEEvi20rocsparse_direction_NS_24const_host_device_scalarIT2_EEPKiS8_PKS5_SA_S6_PS5_21rocsparse_index_base_b: ; @_ZN9rocsparseL19gebsrmvn_4xn_kernelILj128ELj6ELj32E21rocsparse_complex_numIfEEEvi20rocsparse_direction_NS_24const_host_device_scalarIT2_EEPKiS8_PKS5_SA_S6_PS5_21rocsparse_index_base_b
; %bb.0:
	s_load_dwordx2 s[0:1], s[4:5], 0x8
	s_load_dwordx2 s[2:3], s[4:5], 0x30
	;; [unrolled: 1-line block ×3, first 2 shown]
	s_add_u32 s7, s4, 8
	s_addc_u32 s8, s5, 0
	s_add_u32 s9, s4, 48
	s_addc_u32 s10, s5, 0
	s_waitcnt lgkmcnt(0)
	s_bitcmp1_b32 s17, 0
	s_cselect_b32 s1, s8, s1
	s_cselect_b32 s0, s7, s0
	v_mov_b32_e32 v1, s0
	v_mov_b32_e32 v2, s1
	flat_load_dwordx2 v[1:2], v[1:2]
	s_cselect_b32 s0, s10, s3
	s_cselect_b32 s1, s9, s2
	v_mov_b32_e32 v3, s1
	v_mov_b32_e32 v4, s0
	flat_load_dwordx2 v[3:4], v[3:4]
	s_waitcnt vmcnt(0) lgkmcnt(0)
	v_cmp_eq_f32_e32 vcc, 0, v1
	v_cmp_eq_f32_e64 s[0:1], 0, v2
	s_and_b64 s[8:9], vcc, s[0:1]
	s_mov_b64 s[0:1], -1
	s_and_saveexec_b64 s[2:3], s[8:9]
; %bb.1:
	v_cmp_neq_f32_e32 vcc, 1.0, v3
	v_cmp_neq_f32_e64 s[0:1], 0, v4
	s_or_b64 s[0:1], vcc, s[0:1]
	s_orn2_b64 s[0:1], s[0:1], exec
; %bb.2:
	s_or_b64 exec, exec, s[2:3]
	s_and_saveexec_b64 s[2:3], s[0:1]
	s_cbranch_execz .LBB97_21
; %bb.3:
	s_load_dwordx2 s[0:1], s[4:5], 0x0
	v_lshrrev_b32_e32 v5, 5, v0
	v_lshl_or_b32 v5, s6, 2, v5
	s_waitcnt lgkmcnt(0)
	v_cmp_gt_i32_e32 vcc, s0, v5
	s_and_b64 exec, exec, vcc
	s_cbranch_execz .LBB97_21
; %bb.4:
	s_load_dwordx8 s[8:15], s[4:5], 0x10
	v_ashrrev_i32_e32 v6, 31, v5
	v_lshlrev_b64 v[6:7], 2, v[5:6]
	v_and_b32_e32 v0, 31, v0
	s_cmp_lg_u32 s1, 0
	s_waitcnt lgkmcnt(0)
	v_mov_b32_e32 v8, s9
	v_add_co_u32_e32 v6, vcc, s8, v6
	v_addc_co_u32_e32 v7, vcc, v8, v7, vcc
	global_load_dwordx2 v[6:7], v[6:7], off
	s_waitcnt vmcnt(0)
	v_subrev_u32_e32 v6, s16, v6
	v_subrev_u32_e32 v16, s16, v7
	v_add_u32_e32 v6, v6, v0
	v_cmp_lt_i32_e64 s[0:1], v6, v16
	s_cbranch_scc0 .LBB97_10
; %bb.5:
	v_mov_b32_e32 v15, 0
	v_mov_b32_e32 v20, 0
	;; [unrolled: 1-line block ×8, first 2 shown]
	s_and_saveexec_b64 s[8:9], s[0:1]
	s_cbranch_execz .LBB97_9
; %bb.6:
	v_mad_u64_u32 v[7:8], s[2:3], v6, 24, 20
	v_mov_b32_e32 v10, 0
	s_mov_b64 s[18:19], 0
	v_mov_b32_e32 v22, s11
	v_mov_b32_e32 v23, s13
	;; [unrolled: 1-line block ×12, first 2 shown]
.LBB97_7:                               ; =>This Inner Loop Header: Depth=1
	v_ashrrev_i32_e32 v12, 31, v11
	v_subrev_u32_e32 v9, 20, v7
	v_mov_b32_e32 v8, v10
	v_lshlrev_b64 v[25:26], 2, v[11:12]
	v_lshlrev_b64 v[27:28], 3, v[9:10]
	;; [unrolled: 1-line block ×3, first 2 shown]
	v_add_u32_e32 v9, -12, v7
	v_lshlrev_b64 v[8:9], 3, v[9:10]
	v_add_co_u32_e32 v31, vcc, s10, v25
	v_add_co_u32_e64 v33, s[2:3], s12, v27
	v_add_co_u32_e64 v39, s[6:7], s12, v29
	v_addc_co_u32_e32 v32, vcc, v22, v26, vcc
	v_addc_co_u32_e64 v34, vcc, v23, v28, s[2:3]
	v_addc_co_u32_e64 v40, vcc, v23, v30, s[6:7]
	v_add_co_u32_e32 v41, vcc, s12, v8
	global_load_dword v8, v[31:32], off
	global_load_dwordx4 v[25:28], v[33:34], off
	v_mov_b32_e32 v38, v10
	v_addc_co_u32_e32 v42, vcc, v23, v9, vcc
	v_add_u32_e32 v11, 32, v11
	s_waitcnt vmcnt(1)
	v_subrev_u32_e32 v8, s16, v8
	v_mul_lo_u32 v37, v8, 6
	v_lshlrev_b64 v[29:30], 3, v[37:38]
	v_add_u32_e32 v9, 2, v37
	v_add_co_u32_e64 v29, s[2:3], s14, v29
	v_addc_co_u32_e64 v30, s[2:3], v24, v30, s[2:3]
	global_load_dwordx4 v[29:32], v[29:30], off
	s_waitcnt vmcnt(0)
	v_fmac_f32_e32 v20, v25, v29
	v_fmac_f32_e32 v15, v26, v29
	;; [unrolled: 1-line block ×4, first 2 shown]
	v_fma_f32 v8, -v26, v30, v20
	v_fmac_f32_e32 v15, v25, v30
	v_fma_f32 v12, -v28, v30, v21
	v_fmac_f32_e32 v17, v27, v30
	global_load_dwordx4 v[25:28], v[33:34], off offset:16
	s_waitcnt vmcnt(0)
	v_fmac_f32_e32 v19, v25, v29
	v_fmac_f32_e32 v14, v26, v29
	;; [unrolled: 1-line block ×4, first 2 shown]
	v_fma_f32 v29, -v26, v30, v19
	v_fmac_f32_e32 v14, v25, v30
	v_fma_f32 v38, -v28, v30, v18
	v_fmac_f32_e32 v13, v27, v30
	global_load_dwordx4 v[18:21], v[33:34], off offset:32
	global_load_dwordx4 v[25:28], v[33:34], off offset:48
	s_waitcnt vmcnt(1)
	v_fmac_f32_e32 v8, v18, v31
	s_waitcnt vmcnt(0)
	v_fmac_f32_e32 v29, v25, v31
	v_fmac_f32_e32 v14, v26, v31
	v_fma_f32 v43, -v26, v32, v29
	v_fmac_f32_e32 v14, v25, v32
	v_lshlrev_b64 v[25:26], 3, v[9:10]
	v_fmac_f32_e32 v15, v19, v31
	v_add_co_u32_e32 v25, vcc, s14, v25
	v_fmac_f32_e32 v12, v20, v31
	v_fmac_f32_e32 v17, v21, v31
	;; [unrolled: 1-line block ×4, first 2 shown]
	v_addc_co_u32_e32 v26, vcc, v24, v26, vcc
	v_fma_f32 v8, -v19, v32, v8
	v_fmac_f32_e32 v15, v18, v32
	v_fma_f32 v12, -v21, v32, v12
	v_fmac_f32_e32 v17, v20, v32
	;; [unrolled: 2-line block ×3, first 2 shown]
	global_load_dwordx4 v[18:21], v[41:42], off
	v_add_u32_e32 v9, -8, v7
	global_load_dwordx4 v[25:28], v[25:26], off
	s_waitcnt vmcnt(0)
	v_fmac_f32_e32 v8, v18, v25
	v_fmac_f32_e32 v15, v19, v25
	v_fma_f32 v8, -v19, v26, v8
	v_fmac_f32_e32 v15, v18, v26
	v_lshlrev_b64 v[18:19], 3, v[9:10]
	v_fmac_f32_e32 v12, v20, v25
	v_fmac_f32_e32 v17, v21, v25
	v_add_co_u32_e32 v31, vcc, s12, v18
	v_fma_f32 v12, -v21, v26, v12
	v_fmac_f32_e32 v17, v20, v26
	v_addc_co_u32_e32 v32, vcc, v23, v19, vcc
	global_load_dwordx4 v[18:21], v[41:42], off offset:16
	v_add_u32_e32 v9, -4, v7
	global_load_dwordx4 v[33:36], v[39:40], off
	v_lshlrev_b64 v[29:30], 3, v[9:10]
	v_add_u32_e32 v9, 4, v37
	v_add_co_u32_e32 v29, vcc, s12, v29
	v_addc_co_u32_e32 v30, vcc, v23, v30, vcc
	v_add_u32_e32 v7, 0x300, v7
	s_waitcnt vmcnt(1)
	v_fmac_f32_e32 v43, v18, v25
	v_fmac_f32_e32 v14, v19, v25
	;; [unrolled: 1-line block ×4, first 2 shown]
	v_fma_f32 v25, -v19, v26, v43
	v_fmac_f32_e32 v14, v18, v26
	v_fma_f32 v37, -v21, v26, v38
	v_fmac_f32_e32 v13, v20, v26
	global_load_dwordx4 v[18:21], v[31:32], off
	s_waitcnt vmcnt(0)
	v_fmac_f32_e32 v8, v18, v27
	v_fmac_f32_e32 v15, v19, v27
	;; [unrolled: 1-line block ×4, first 2 shown]
	v_fma_f32 v38, -v19, v28, v8
	v_fmac_f32_e32 v15, v18, v28
	v_fma_f32 v12, -v21, v28, v12
	v_fmac_f32_e32 v17, v20, v28
	global_load_dwordx4 v[18:21], v[31:32], off offset:16
	v_lshlrev_b64 v[8:9], 3, v[9:10]
	v_add_co_u32_e32 v8, vcc, s14, v8
	v_addc_co_u32_e32 v9, vcc, v24, v9, vcc
	v_cmp_ge_i32_e32 vcc, v11, v16
	s_or_b64 s[18:19], vcc, s[18:19]
	s_waitcnt vmcnt(0)
	v_fmac_f32_e32 v25, v18, v27
	v_fmac_f32_e32 v14, v19, v27
	v_fmac_f32_e32 v37, v20, v27
	v_fmac_f32_e32 v13, v21, v27
	v_fma_f32 v41, -v19, v28, v25
	v_fmac_f32_e32 v14, v18, v28
	v_fma_f32 v37, -v21, v28, v37
	v_fmac_f32_e32 v13, v20, v28
	global_load_dwordx4 v[18:21], v[29:30], off offset:16
	global_load_dwordx4 v[25:28], v[29:30], off
	s_nop 0
	global_load_dwordx4 v[29:32], v[8:9], off
	s_waitcnt vmcnt(0)
	v_fmac_f32_e32 v38, v25, v29
	v_fmac_f32_e32 v15, v26, v29
	;; [unrolled: 1-line block ×4, first 2 shown]
	v_fma_f32 v8, -v26, v30, v38
	v_fmac_f32_e32 v15, v25, v30
	v_fma_f32 v9, -v28, v30, v12
	v_fmac_f32_e32 v17, v27, v30
	global_load_dwordx4 v[25:28], v[39:40], off offset:16
	v_fmac_f32_e32 v41, v18, v29
	v_fmac_f32_e32 v14, v19, v29
	;; [unrolled: 1-line block ×4, first 2 shown]
	v_fma_f32 v12, -v19, v30, v41
	v_fmac_f32_e32 v14, v18, v30
	v_fma_f32 v18, -v21, v30, v37
	v_fmac_f32_e32 v13, v20, v30
	v_fmac_f32_e32 v8, v33, v31
	;; [unrolled: 1-line block ×5, first 2 shown]
	v_fma_f32 v20, -v34, v32, v8
	v_fmac_f32_e32 v15, v33, v32
	v_fma_f32 v21, -v36, v32, v9
	v_fmac_f32_e32 v17, v35, v32
	s_waitcnt vmcnt(0)
	v_fmac_f32_e32 v12, v25, v31
	v_fmac_f32_e32 v14, v26, v31
	;; [unrolled: 1-line block ×4, first 2 shown]
	v_fma_f32 v19, -v26, v32, v12
	v_fmac_f32_e32 v14, v25, v32
	v_fma_f32 v18, -v28, v32, v18
	v_fmac_f32_e32 v13, v27, v32
	s_andn2_b64 exec, exec, s[18:19]
	s_cbranch_execnz .LBB97_7
; %bb.8:
	s_or_b64 exec, exec, s[18:19]
.LBB97_9:
	s_or_b64 exec, exec, s[8:9]
	s_cbranch_execz .LBB97_11
	s_branch .LBB97_16
.LBB97_10:
                                        ; implicit-def: $vgpr15
                                        ; implicit-def: $vgpr20
                                        ; implicit-def: $vgpr18
                                        ; implicit-def: $vgpr13
                                        ; implicit-def: $vgpr19
                                        ; implicit-def: $vgpr14
                                        ; implicit-def: $vgpr21
                                        ; implicit-def: $vgpr17
.LBB97_11:
	v_mov_b32_e32 v15, 0
	v_mov_b32_e32 v20, 0
	v_mov_b32_e32 v18, 0
	v_mov_b32_e32 v13, 0
	v_mov_b32_e32 v19, 0
	v_mov_b32_e32 v14, 0
	v_mov_b32_e32 v21, 0
	v_mov_b32_e32 v17, 0
	s_and_saveexec_b64 s[2:3], s[0:1]
	s_cbranch_execz .LBB97_15
; %bb.12:
	v_mad_u64_u32 v[8:9], s[0:1], v6, 24, 23
	v_mov_b32_e32 v11, 0
	s_mov_b64 s[0:1], 0
	v_mov_b32_e32 v12, s11
	v_mov_b32_e32 v22, s13
	;; [unrolled: 1-line block ×11, first 2 shown]
.LBB97_13:                              ; =>This Inner Loop Header: Depth=1
	v_ashrrev_i32_e32 v7, 31, v6
	v_lshlrev_b64 v[28:29], 2, v[6:7]
	v_subrev_u32_e32 v10, 23, v8
	v_lshlrev_b64 v[30:31], 3, v[10:11]
	v_add_co_u32_e32 v32, vcc, s10, v28
	v_add_u32_e32 v24, -11, v8
	v_mov_b32_e32 v25, v11
	v_addc_co_u32_e32 v33, vcc, v12, v29, vcc
	v_lshlrev_b64 v[24:25], 3, v[24:25]
	v_add_co_u32_e32 v46, vcc, s12, v30
	v_add_u32_e32 v26, -5, v8
	v_mov_b32_e32 v27, v11
	v_addc_co_u32_e32 v47, vcc, v22, v31, vcc
	v_lshlrev_b64 v[26:27], 3, v[26:27]
	v_add_co_u32_e32 v48, vcc, s12, v24
	v_addc_co_u32_e32 v49, vcc, v22, v25, vcc
	v_add_co_u32_e32 v50, vcc, s12, v26
	v_addc_co_u32_e32 v51, vcc, v22, v27, vcc
	global_load_dword v7, v[32:33], off
	global_load_dwordx4 v[24:27], v[46:47], off
	global_load_dwordx4 v[28:31], v[46:47], off offset:16
	v_mov_b32_e32 v41, v11
	v_mov_b32_e32 v9, v11
	v_lshlrev_b64 v[42:43], 3, v[8:9]
	v_add_u32_e32 v10, -10, v8
	v_lshlrev_b64 v[44:45], 3, v[10:11]
	v_add_u32_e32 v10, -4, v8
	v_add_u32_e32 v6, 32, v6
	s_waitcnt vmcnt(2)
	v_subrev_u32_e32 v7, s16, v7
	v_mul_lo_u32 v40, v7, 6
	v_lshlrev_b64 v[32:33], 3, v[40:41]
	v_add_co_u32_e32 v32, vcc, s14, v32
	v_addc_co_u32_e32 v33, vcc, v23, v33, vcc
	global_load_dwordx4 v[32:35], v[32:33], off
	v_add_co_u32_e32 v41, vcc, s12, v42
	v_addc_co_u32_e32 v42, vcc, v22, v43, vcc
	s_waitcnt vmcnt(0)
	v_fmac_f32_e32 v20, v24, v32
	v_fmac_f32_e32 v15, v25, v32
	v_fma_f32 v7, -v25, v33, v20
	v_fmac_f32_e32 v15, v24, v33
	v_fmac_f32_e32 v7, v26, v34
	v_fmac_f32_e32 v15, v27, v34
	v_fma_f32 v7, -v27, v35, v7
	v_fmac_f32_e32 v15, v26, v35
	global_load_dwordx4 v[24:27], v[46:47], off offset:48
	global_load_dwordx4 v[36:39], v[46:47], off offset:32
	v_add_co_u32_e32 v20, vcc, s12, v44
	s_waitcnt vmcnt(1)
	v_fmac_f32_e32 v21, v24, v32
	v_fma_f32 v9, -v25, v33, v21
	v_fmac_f32_e32 v9, v26, v34
	v_fma_f32 v61, -v27, v35, v9
	v_lshlrev_b64 v[9:10], 3, v[10:11]
	v_fmac_f32_e32 v17, v25, v32
	v_addc_co_u32_e32 v21, vcc, v22, v45, vcc
	v_fmac_f32_e32 v17, v24, v33
	v_add_co_u32_e32 v24, vcc, s12, v9
	v_addc_co_u32_e32 v25, vcc, v22, v10, vcc
	v_add_u32_e32 v10, 2, v40
	v_lshlrev_b64 v[9:10], 3, v[10:11]
	v_fmac_f32_e32 v17, v27, v34
	v_fmac_f32_e32 v17, v26, v35
	v_add_co_u32_e32 v26, vcc, s14, v9
	v_addc_co_u32_e32 v27, vcc, v23, v10, vcc
	v_add_u32_e32 v10, -15, v8
	v_lshlrev_b64 v[9:10], 3, v[10:11]
	v_add_co_u32_e32 v43, vcc, s12, v9
	v_addc_co_u32_e32 v44, vcc, v22, v10, vcc
	v_add_u32_e32 v10, -9, v8
	v_lshlrev_b64 v[9:10], 3, v[10:11]
	v_add_co_u32_e32 v45, vcc, s12, v9
	v_addc_co_u32_e32 v46, vcc, v22, v10, vcc
	global_load_dwordx2 v[9:10], v[48:49], off
	global_load_dwordx2 v[52:53], v[50:51], off
	global_load_dwordx2 v[54:55], v[20:21], off
	global_load_dwordx2 v[56:57], v[24:25], off
	s_waitcnt vmcnt(3)
	v_fmac_f32_e32 v19, v9, v32
	v_fma_f32 v19, -v10, v33, v19
	v_fmac_f32_e32 v14, v10, v32
	s_waitcnt vmcnt(2)
	v_fmac_f32_e32 v18, v52, v32
	v_add_u32_e32 v10, -3, v8
	s_waitcnt vmcnt(1)
	v_fmac_f32_e32 v19, v54, v34
	v_fmac_f32_e32 v14, v9, v33
	v_fma_f32 v9, -v53, v33, v18
	v_fma_f32 v62, -v55, v35, v19
	v_lshlrev_b64 v[18:19], 3, v[10:11]
	v_add_u32_e32 v10, -14, v8
	v_lshlrev_b64 v[20:21], 3, v[10:11]
	v_add_co_u32_e32 v24, vcc, s12, v18
	v_add_u32_e32 v10, -8, v8
	v_addc_co_u32_e32 v25, vcc, v22, v19, vcc
	v_fmac_f32_e32 v13, v53, v32
	v_lshlrev_b64 v[18:19], 3, v[10:11]
	v_add_co_u32_e32 v32, vcc, s12, v20
	v_fmac_f32_e32 v13, v52, v33
	v_addc_co_u32_e32 v33, vcc, v22, v21, vcc
	v_add_co_u32_e32 v47, vcc, s12, v18
	v_addc_co_u32_e32 v48, vcc, v22, v19, vcc
	global_load_dwordx4 v[18:21], v[26:27], off
	v_fmac_f32_e32 v14, v55, v34
	s_waitcnt vmcnt(1)
	v_fmac_f32_e32 v9, v56, v34
	v_fmac_f32_e32 v13, v57, v34
	v_add_u32_e32 v10, -2, v8
	v_fmac_f32_e32 v14, v54, v35
	v_fma_f32 v63, -v57, v35, v9
	v_fmac_f32_e32 v13, v56, v35
	v_lshlrev_b64 v[34:35], 3, v[10:11]
	v_add_u32_e32 v10, 4, v40
	v_lshlrev_b64 v[26:27], 3, v[10:11]
	v_add_u32_e32 v10, -13, v8
	v_lshlrev_b64 v[9:10], 3, v[10:11]
	s_waitcnt vmcnt(0)
	v_fmac_f32_e32 v15, v29, v18
	v_fmac_f32_e32 v7, v28, v18
	v_fmac_f32_e32 v15, v28, v19
	v_add_co_u32_e32 v28, vcc, s12, v34
	v_fma_f32 v7, -v29, v19, v7
	v_fmac_f32_e32 v15, v31, v20
	v_addc_co_u32_e32 v29, vcc, v22, v35, vcc
	v_fmac_f32_e32 v7, v30, v20
	v_fmac_f32_e32 v15, v30, v21
	v_add_co_u32_e32 v30, vcc, s14, v26
	v_fma_f32 v7, -v31, v21, v7
	v_addc_co_u32_e32 v31, vcc, v23, v27, vcc
	global_load_dwordx2 v[26:27], v[43:44], off
	global_load_dwordx2 v[55:56], v[45:46], off
	;; [unrolled: 1-line block ×4, first 2 shown]
	v_add_co_u32_e32 v34, vcc, s12, v9
	v_addc_co_u32_e32 v35, vcc, v22, v10, vcc
	v_add_u32_e32 v10, -7, v8
	v_lshlrev_b64 v[9:10], 3, v[10:11]
	v_add_co_u32_e32 v49, vcc, s12, v9
	v_addc_co_u32_e32 v50, vcc, v22, v10, vcc
	v_add_u32_e32 v10, -1, v8
	v_lshlrev_b64 v[9:10], 3, v[10:11]
	v_add_co_u32_e32 v51, vcc, s12, v9
	v_addc_co_u32_e32 v52, vcc, v22, v10, vcc
	v_add_u32_e32 v10, -12, v8
	v_lshlrev_b64 v[9:10], 3, v[10:11]
	v_add_co_u32_e32 v53, vcc, s12, v9
	v_addc_co_u32_e32 v54, vcc, v22, v10, vcc
	v_add_u32_e32 v10, -6, v8
	v_lshlrev_b64 v[9:10], 3, v[10:11]
	v_add_u32_e32 v8, 0x300, v8
	v_add_co_u32_e32 v9, vcc, s12, v9
	v_addc_co_u32_e32 v10, vcc, v22, v10, vcc
	v_cmp_ge_i32_e32 vcc, v6, v16
	s_or_b64 s[0:1], vcc, s[0:1]
	s_waitcnt vmcnt(3)
	v_fmac_f32_e32 v61, v26, v18
	v_fmac_f32_e32 v17, v27, v18
	s_waitcnt vmcnt(2)
	v_fmac_f32_e32 v62, v55, v18
	v_fmac_f32_e32 v14, v56, v18
	;; [unrolled: 3-line block ×3, first 2 shown]
	v_fma_f32 v24, -v27, v19, v61
	v_fmac_f32_e32 v17, v26, v19
	v_fma_f32 v25, -v56, v19, v62
	v_fmac_f32_e32 v14, v55, v19
	;; [unrolled: 2-line block ×3, first 2 shown]
	global_load_dwordx2 v[18:19], v[47:48], off
	global_load_dwordx2 v[32:33], v[28:29], off
	s_waitcnt vmcnt(2)
	v_fmac_f32_e32 v24, v59, v20
	v_fma_f32 v57, -v60, v21, v24
	v_fmac_f32_e32 v17, v60, v20
	v_fmac_f32_e32 v17, v59, v21
	s_waitcnt vmcnt(1)
	v_fmac_f32_e32 v25, v18, v20
	v_fmac_f32_e32 v14, v19, v20
	v_fma_f32 v58, -v19, v21, v25
	v_fmac_f32_e32 v14, v18, v21
	global_load_dwordx4 v[24:27], v[30:31], off
	global_load_dwordx2 v[18:19], v[34:35], off
	global_load_dwordx2 v[28:29], v[49:50], off
	;; [unrolled: 1-line block ×6, first 2 shown]
	s_waitcnt vmcnt(7)
	v_fmac_f32_e32 v40, v32, v20
	v_fmac_f32_e32 v13, v33, v20
	v_fma_f32 v9, -v33, v21, v40
	v_fmac_f32_e32 v13, v32, v21
	s_waitcnt vmcnt(6)
	v_fmac_f32_e32 v7, v36, v24
	v_fma_f32 v7, -v37, v25, v7
	v_fmac_f32_e32 v15, v37, v24
	s_waitcnt vmcnt(5)
	v_fmac_f32_e32 v57, v18, v24
	v_fmac_f32_e32 v17, v19, v24
	;; [unrolled: 1-line block ×3, first 2 shown]
	s_waitcnt vmcnt(4)
	v_fmac_f32_e32 v58, v28, v24
	v_fmac_f32_e32 v14, v29, v24
	s_waitcnt vmcnt(3)
	v_fmac_f32_e32 v9, v43, v24
	v_fmac_f32_e32 v13, v44, v24
	;; [unrolled: 1-line block ×3, first 2 shown]
	v_fma_f32 v10, -v19, v25, v57
	v_fmac_f32_e32 v17, v18, v25
	v_fma_f32 v20, -v39, v27, v7
	v_fma_f32 v7, -v29, v25, v58
	v_fmac_f32_e32 v14, v28, v25
	v_fma_f32 v9, -v44, v25, v9
	v_fmac_f32_e32 v13, v43, v25
	v_fmac_f32_e32 v15, v39, v26
	s_waitcnt vmcnt(2)
	v_fmac_f32_e32 v10, v45, v26
	v_fmac_f32_e32 v17, v46, v26
	s_waitcnt vmcnt(1)
	v_fmac_f32_e32 v7, v47, v26
	v_fmac_f32_e32 v14, v48, v26
	s_waitcnt vmcnt(0)
	v_fmac_f32_e32 v9, v55, v26
	v_fmac_f32_e32 v13, v56, v26
	;; [unrolled: 1-line block ×3, first 2 shown]
	v_fma_f32 v21, -v46, v27, v10
	v_fmac_f32_e32 v17, v45, v27
	v_fma_f32 v19, -v48, v27, v7
	v_fmac_f32_e32 v14, v47, v27
	;; [unrolled: 2-line block ×3, first 2 shown]
	s_andn2_b64 exec, exec, s[0:1]
	s_cbranch_execnz .LBB97_13
; %bb.14:
	s_or_b64 exec, exec, s[0:1]
.LBB97_15:
	s_or_b64 exec, exec, s[2:3]
.LBB97_16:
	v_mov_b32_dpp v10, v21 row_shr:1 row_mask:0xf bank_mask:0xf
	v_add_f32_e32 v10, v21, v10
	v_mov_b32_dpp v6, v20 row_shr:1 row_mask:0xf bank_mask:0xf
	v_mov_b32_dpp v8, v15 row_shr:1 row_mask:0xf bank_mask:0xf
	;; [unrolled: 1-line block ×3, first 2 shown]
	v_add_f32_e32 v10, v10, v11
	v_add_f32_e32 v6, v20, v6
	;; [unrolled: 1-line block ×3, first 2 shown]
	v_mov_b32_dpp v11, v10 row_shr:4 row_mask:0xf bank_mask:0xe
	v_add_f32_e32 v10, v10, v11
	v_mov_b32_dpp v7, v6 row_shr:2 row_mask:0xf bank_mask:0xf
	v_mov_b32_dpp v9, v8 row_shr:2 row_mask:0xf bank_mask:0xf
	;; [unrolled: 1-line block ×3, first 2 shown]
	v_add_f32_e32 v11, v10, v11
	v_mov_b32_dpp v10, v17 row_shr:1 row_mask:0xf bank_mask:0xf
	v_add_f32_e32 v10, v17, v10
	v_add_f32_e32 v6, v6, v7
	;; [unrolled: 1-line block ×3, first 2 shown]
	v_mov_b32_dpp v12, v10 row_shr:2 row_mask:0xf bank_mask:0xf
	v_add_f32_e32 v10, v10, v12
	v_mov_b32_dpp v7, v6 row_shr:4 row_mask:0xf bank_mask:0xe
	v_mov_b32_dpp v9, v8 row_shr:4 row_mask:0xf bank_mask:0xe
	;; [unrolled: 1-line block ×3, first 2 shown]
	v_add_f32_e32 v10, v10, v12
	v_add_f32_e32 v6, v6, v7
	;; [unrolled: 1-line block ×3, first 2 shown]
	v_mov_b32_dpp v12, v10 row_shr:8 row_mask:0xf bank_mask:0xc
	v_add_f32_e32 v16, v10, v12
	v_mov_b32_dpp v10, v19 row_shr:1 row_mask:0xf bank_mask:0xf
	v_add_f32_e32 v10, v19, v10
	v_mov_b32_dpp v7, v6 row_shr:8 row_mask:0xf bank_mask:0xc
	v_mov_b32_dpp v9, v8 row_shr:8 row_mask:0xf bank_mask:0xc
	;; [unrolled: 1-line block ×3, first 2 shown]
	v_add_f32_e32 v10, v10, v12
	v_add_f32_e32 v6, v6, v7
	;; [unrolled: 1-line block ×3, first 2 shown]
	v_mov_b32_dpp v12, v10 row_shr:4 row_mask:0xf bank_mask:0xe
	v_add_f32_e32 v10, v10, v12
	v_mov_b32_dpp v7, v6 row_bcast:15 row_mask:0xa bank_mask:0xf
	v_mov_b32_dpp v9, v8 row_bcast:15 row_mask:0xa bank_mask:0xf
	v_mov_b32_dpp v12, v10 row_shr:8 row_mask:0xf bank_mask:0xc
	v_add_f32_e32 v19, v10, v12
	v_mov_b32_dpp v10, v14 row_shr:1 row_mask:0xf bank_mask:0xf
	v_add_f32_e32 v10, v14, v10
	v_mov_b32_dpp v15, v11 row_bcast:15 row_mask:0xa bank_mask:0xf
	v_mov_b32_dpp v17, v16 row_bcast:15 row_mask:0xa bank_mask:0xf
	v_mov_b32_dpp v12, v10 row_shr:2 row_mask:0xf bank_mask:0xf
	v_add_f32_e32 v10, v10, v12
	v_mov_b32_dpp v20, v19 row_bcast:15 row_mask:0xa bank_mask:0xf
	v_cmp_eq_u32_e32 vcc, 31, v0
	v_mov_b32_dpp v12, v10 row_shr:4 row_mask:0xf bank_mask:0xe
	v_add_f32_e32 v10, v10, v12
	s_nop 1
	v_mov_b32_dpp v12, v10 row_shr:8 row_mask:0xf bank_mask:0xc
	v_add_f32_e32 v14, v10, v12
	v_mov_b32_dpp v10, v18 row_shr:1 row_mask:0xf bank_mask:0xf
	v_add_f32_e32 v10, v18, v10
	v_mov_b32_dpp v21, v14 row_bcast:15 row_mask:0xa bank_mask:0xf
	s_nop 0
	v_mov_b32_dpp v12, v10 row_shr:2 row_mask:0xf bank_mask:0xf
	v_add_f32_e32 v10, v10, v12
	s_nop 1
	v_mov_b32_dpp v12, v10 row_shr:4 row_mask:0xf bank_mask:0xe
	v_add_f32_e32 v10, v10, v12
	s_nop 1
	v_mov_b32_dpp v12, v10 row_shr:8 row_mask:0xf bank_mask:0xc
	v_add_f32_e32 v18, v10, v12
	v_mov_b32_dpp v10, v13 row_shr:1 row_mask:0xf bank_mask:0xf
	v_add_f32_e32 v10, v13, v10
	v_mov_b32_dpp v22, v18 row_bcast:15 row_mask:0xa bank_mask:0xf
	s_nop 0
	v_mov_b32_dpp v12, v10 row_shr:2 row_mask:0xf bank_mask:0xf
	v_add_f32_e32 v10, v10, v12
	s_nop 1
	v_mov_b32_dpp v12, v10 row_shr:4 row_mask:0xf bank_mask:0xe
	v_add_f32_e32 v10, v10, v12
	;; [unrolled: 3-line block ×3, first 2 shown]
	s_nop 1
	v_mov_b32_dpp v23, v13 row_bcast:15 row_mask:0xa bank_mask:0xf
	s_and_b64 exec, exec, vcc
	s_cbranch_execz .LBB97_21
; %bb.17:
	s_load_dwordx2 s[2:3], s[4:5], 0x38
	v_cmp_eq_f32_e32 vcc, 0, v3
	v_cmp_eq_f32_e64 s[0:1], 0, v4
	v_add_f32_e32 v10, v6, v7
	v_add_f32_e32 v12, v8, v9
	;; [unrolled: 1-line block ×8, first 2 shown]
	s_and_b64 s[0:1], vcc, s[0:1]
	s_and_saveexec_b64 s[4:5], s[0:1]
	s_xor_b64 s[0:1], exec, s[4:5]
	s_cbranch_execz .LBB97_19
; %bb.18:
	v_lshlrev_b32_e32 v3, 2, v5
	v_ashrrev_i32_e32 v4, 31, v3
	v_lshlrev_b64 v[3:4], 3, v[3:4]
	s_waitcnt lgkmcnt(0)
	v_mov_b32_e32 v5, s3
	v_add_co_u32_e32 v17, vcc, s2, v3
	v_addc_co_u32_e32 v18, vcc, v5, v4, vcc
	v_mul_f32_e64 v3, v9, -v2
	v_mul_f32_e32 v4, v1, v9
	v_mul_f32_e64 v13, v12, -v2
	v_mul_f32_e32 v14, v1, v12
	v_mul_f32_e64 v15, v11, -v2
	v_mul_f32_e32 v16, v1, v11
	v_fmac_f32_e32 v3, v1, v6
	v_fmac_f32_e32 v4, v2, v6
	v_mul_f32_e64 v5, v7, -v2
	v_mul_f32_e32 v6, v1, v7
	v_fmac_f32_e32 v13, v1, v10
	v_fmac_f32_e32 v14, v2, v10
	;; [unrolled: 1-line block ×6, first 2 shown]
	global_store_dwordx4 v[17:18], v[13:16], off
	global_store_dwordx4 v[17:18], v[3:6], off offset:16
                                        ; implicit-def: $vgpr5
                                        ; implicit-def: $vgpr10
                                        ; implicit-def: $vgpr12
                                        ; implicit-def: $vgpr8
                                        ; implicit-def: $vgpr11
                                        ; implicit-def: $vgpr6
                                        ; implicit-def: $vgpr9
                                        ; implicit-def: $vgpr0
                                        ; implicit-def: $vgpr7
                                        ; implicit-def: $vgpr1_vgpr2
                                        ; implicit-def: $vgpr3_vgpr4
.LBB97_19:
	s_andn2_saveexec_b64 s[0:1], s[0:1]
	s_cbranch_execz .LBB97_21
; %bb.20:
	v_lshlrev_b32_e32 v13, 2, v5
	v_ashrrev_i32_e32 v14, 31, v13
	v_lshlrev_b64 v[13:14], 3, v[13:14]
	s_waitcnt lgkmcnt(0)
	v_mov_b32_e32 v5, s3
	v_add_co_u32_e32 v25, vcc, s2, v13
	v_addc_co_u32_e32 v26, vcc, v5, v14, vcc
	global_load_dwordx4 v[13:16], v[25:26], off
	global_load_dwordx4 v[17:20], v[25:26], off offset:16
	v_mul_f32_e64 v5, v12, -v2
	v_mul_f32_e32 v22, v1, v12
	v_mul_f32_e64 v12, v11, -v2
	v_mul_f32_e32 v24, v1, v11
	;; [unrolled: 2-line block ×4, first 2 shown]
	v_fmac_f32_e32 v5, v1, v10
	v_fmac_f32_e32 v22, v2, v10
	;; [unrolled: 1-line block ×8, first 2 shown]
	s_waitcnt vmcnt(1)
	v_fmac_f32_e32 v5, v3, v13
	v_fmac_f32_e32 v22, v4, v13
	;; [unrolled: 1-line block ×4, first 2 shown]
	s_waitcnt vmcnt(0)
	v_fmac_f32_e32 v27, v3, v17
	v_fmac_f32_e32 v9, v4, v17
	;; [unrolled: 1-line block ×4, first 2 shown]
	v_fma_f32 v21, -v4, v14, v5
	v_fmac_f32_e32 v22, v3, v14
	v_fma_f32 v23, -v4, v16, v12
	v_fmac_f32_e32 v24, v3, v16
	;; [unrolled: 2-line block ×4, first 2 shown]
	global_store_dwordx4 v[25:26], v[21:24], off
	global_store_dwordx4 v[25:26], v[8:11], off offset:16
.LBB97_21:
	s_endpgm
	.section	.rodata,"a",@progbits
	.p2align	6, 0x0
	.amdhsa_kernel _ZN9rocsparseL19gebsrmvn_4xn_kernelILj128ELj6ELj32E21rocsparse_complex_numIfEEEvi20rocsparse_direction_NS_24const_host_device_scalarIT2_EEPKiS8_PKS5_SA_S6_PS5_21rocsparse_index_base_b
		.amdhsa_group_segment_fixed_size 0
		.amdhsa_private_segment_fixed_size 0
		.amdhsa_kernarg_size 72
		.amdhsa_user_sgpr_count 6
		.amdhsa_user_sgpr_private_segment_buffer 1
		.amdhsa_user_sgpr_dispatch_ptr 0
		.amdhsa_user_sgpr_queue_ptr 0
		.amdhsa_user_sgpr_kernarg_segment_ptr 1
		.amdhsa_user_sgpr_dispatch_id 0
		.amdhsa_user_sgpr_flat_scratch_init 0
		.amdhsa_user_sgpr_private_segment_size 0
		.amdhsa_uses_dynamic_stack 0
		.amdhsa_system_sgpr_private_segment_wavefront_offset 0
		.amdhsa_system_sgpr_workgroup_id_x 1
		.amdhsa_system_sgpr_workgroup_id_y 0
		.amdhsa_system_sgpr_workgroup_id_z 0
		.amdhsa_system_sgpr_workgroup_info 0
		.amdhsa_system_vgpr_workitem_id 0
		.amdhsa_next_free_vgpr 64
		.amdhsa_next_free_sgpr 20
		.amdhsa_reserve_vcc 1
		.amdhsa_reserve_flat_scratch 0
		.amdhsa_float_round_mode_32 0
		.amdhsa_float_round_mode_16_64 0
		.amdhsa_float_denorm_mode_32 3
		.amdhsa_float_denorm_mode_16_64 3
		.amdhsa_dx10_clamp 1
		.amdhsa_ieee_mode 1
		.amdhsa_fp16_overflow 0
		.amdhsa_exception_fp_ieee_invalid_op 0
		.amdhsa_exception_fp_denorm_src 0
		.amdhsa_exception_fp_ieee_div_zero 0
		.amdhsa_exception_fp_ieee_overflow 0
		.amdhsa_exception_fp_ieee_underflow 0
		.amdhsa_exception_fp_ieee_inexact 0
		.amdhsa_exception_int_div_zero 0
	.end_amdhsa_kernel
	.section	.text._ZN9rocsparseL19gebsrmvn_4xn_kernelILj128ELj6ELj32E21rocsparse_complex_numIfEEEvi20rocsparse_direction_NS_24const_host_device_scalarIT2_EEPKiS8_PKS5_SA_S6_PS5_21rocsparse_index_base_b,"axG",@progbits,_ZN9rocsparseL19gebsrmvn_4xn_kernelILj128ELj6ELj32E21rocsparse_complex_numIfEEEvi20rocsparse_direction_NS_24const_host_device_scalarIT2_EEPKiS8_PKS5_SA_S6_PS5_21rocsparse_index_base_b,comdat
.Lfunc_end97:
	.size	_ZN9rocsparseL19gebsrmvn_4xn_kernelILj128ELj6ELj32E21rocsparse_complex_numIfEEEvi20rocsparse_direction_NS_24const_host_device_scalarIT2_EEPKiS8_PKS5_SA_S6_PS5_21rocsparse_index_base_b, .Lfunc_end97-_ZN9rocsparseL19gebsrmvn_4xn_kernelILj128ELj6ELj32E21rocsparse_complex_numIfEEEvi20rocsparse_direction_NS_24const_host_device_scalarIT2_EEPKiS8_PKS5_SA_S6_PS5_21rocsparse_index_base_b
                                        ; -- End function
	.set _ZN9rocsparseL19gebsrmvn_4xn_kernelILj128ELj6ELj32E21rocsparse_complex_numIfEEEvi20rocsparse_direction_NS_24const_host_device_scalarIT2_EEPKiS8_PKS5_SA_S6_PS5_21rocsparse_index_base_b.num_vgpr, 64
	.set _ZN9rocsparseL19gebsrmvn_4xn_kernelILj128ELj6ELj32E21rocsparse_complex_numIfEEEvi20rocsparse_direction_NS_24const_host_device_scalarIT2_EEPKiS8_PKS5_SA_S6_PS5_21rocsparse_index_base_b.num_agpr, 0
	.set _ZN9rocsparseL19gebsrmvn_4xn_kernelILj128ELj6ELj32E21rocsparse_complex_numIfEEEvi20rocsparse_direction_NS_24const_host_device_scalarIT2_EEPKiS8_PKS5_SA_S6_PS5_21rocsparse_index_base_b.numbered_sgpr, 20
	.set _ZN9rocsparseL19gebsrmvn_4xn_kernelILj128ELj6ELj32E21rocsparse_complex_numIfEEEvi20rocsparse_direction_NS_24const_host_device_scalarIT2_EEPKiS8_PKS5_SA_S6_PS5_21rocsparse_index_base_b.num_named_barrier, 0
	.set _ZN9rocsparseL19gebsrmvn_4xn_kernelILj128ELj6ELj32E21rocsparse_complex_numIfEEEvi20rocsparse_direction_NS_24const_host_device_scalarIT2_EEPKiS8_PKS5_SA_S6_PS5_21rocsparse_index_base_b.private_seg_size, 0
	.set _ZN9rocsparseL19gebsrmvn_4xn_kernelILj128ELj6ELj32E21rocsparse_complex_numIfEEEvi20rocsparse_direction_NS_24const_host_device_scalarIT2_EEPKiS8_PKS5_SA_S6_PS5_21rocsparse_index_base_b.uses_vcc, 1
	.set _ZN9rocsparseL19gebsrmvn_4xn_kernelILj128ELj6ELj32E21rocsparse_complex_numIfEEEvi20rocsparse_direction_NS_24const_host_device_scalarIT2_EEPKiS8_PKS5_SA_S6_PS5_21rocsparse_index_base_b.uses_flat_scratch, 0
	.set _ZN9rocsparseL19gebsrmvn_4xn_kernelILj128ELj6ELj32E21rocsparse_complex_numIfEEEvi20rocsparse_direction_NS_24const_host_device_scalarIT2_EEPKiS8_PKS5_SA_S6_PS5_21rocsparse_index_base_b.has_dyn_sized_stack, 0
	.set _ZN9rocsparseL19gebsrmvn_4xn_kernelILj128ELj6ELj32E21rocsparse_complex_numIfEEEvi20rocsparse_direction_NS_24const_host_device_scalarIT2_EEPKiS8_PKS5_SA_S6_PS5_21rocsparse_index_base_b.has_recursion, 0
	.set _ZN9rocsparseL19gebsrmvn_4xn_kernelILj128ELj6ELj32E21rocsparse_complex_numIfEEEvi20rocsparse_direction_NS_24const_host_device_scalarIT2_EEPKiS8_PKS5_SA_S6_PS5_21rocsparse_index_base_b.has_indirect_call, 0
	.section	.AMDGPU.csdata,"",@progbits
; Kernel info:
; codeLenInByte = 3556
; TotalNumSgprs: 24
; NumVgprs: 64
; ScratchSize: 0
; MemoryBound: 0
; FloatMode: 240
; IeeeMode: 1
; LDSByteSize: 0 bytes/workgroup (compile time only)
; SGPRBlocks: 2
; VGPRBlocks: 15
; NumSGPRsForWavesPerEU: 24
; NumVGPRsForWavesPerEU: 64
; Occupancy: 4
; WaveLimiterHint : 1
; COMPUTE_PGM_RSRC2:SCRATCH_EN: 0
; COMPUTE_PGM_RSRC2:USER_SGPR: 6
; COMPUTE_PGM_RSRC2:TRAP_HANDLER: 0
; COMPUTE_PGM_RSRC2:TGID_X_EN: 1
; COMPUTE_PGM_RSRC2:TGID_Y_EN: 0
; COMPUTE_PGM_RSRC2:TGID_Z_EN: 0
; COMPUTE_PGM_RSRC2:TIDIG_COMP_CNT: 0
	.section	.text._ZN9rocsparseL19gebsrmvn_4xn_kernelILj128ELj6ELj64E21rocsparse_complex_numIfEEEvi20rocsparse_direction_NS_24const_host_device_scalarIT2_EEPKiS8_PKS5_SA_S6_PS5_21rocsparse_index_base_b,"axG",@progbits,_ZN9rocsparseL19gebsrmvn_4xn_kernelILj128ELj6ELj64E21rocsparse_complex_numIfEEEvi20rocsparse_direction_NS_24const_host_device_scalarIT2_EEPKiS8_PKS5_SA_S6_PS5_21rocsparse_index_base_b,comdat
	.globl	_ZN9rocsparseL19gebsrmvn_4xn_kernelILj128ELj6ELj64E21rocsparse_complex_numIfEEEvi20rocsparse_direction_NS_24const_host_device_scalarIT2_EEPKiS8_PKS5_SA_S6_PS5_21rocsparse_index_base_b ; -- Begin function _ZN9rocsparseL19gebsrmvn_4xn_kernelILj128ELj6ELj64E21rocsparse_complex_numIfEEEvi20rocsparse_direction_NS_24const_host_device_scalarIT2_EEPKiS8_PKS5_SA_S6_PS5_21rocsparse_index_base_b
	.p2align	8
	.type	_ZN9rocsparseL19gebsrmvn_4xn_kernelILj128ELj6ELj64E21rocsparse_complex_numIfEEEvi20rocsparse_direction_NS_24const_host_device_scalarIT2_EEPKiS8_PKS5_SA_S6_PS5_21rocsparse_index_base_b,@function
_ZN9rocsparseL19gebsrmvn_4xn_kernelILj128ELj6ELj64E21rocsparse_complex_numIfEEEvi20rocsparse_direction_NS_24const_host_device_scalarIT2_EEPKiS8_PKS5_SA_S6_PS5_21rocsparse_index_base_b: ; @_ZN9rocsparseL19gebsrmvn_4xn_kernelILj128ELj6ELj64E21rocsparse_complex_numIfEEEvi20rocsparse_direction_NS_24const_host_device_scalarIT2_EEPKiS8_PKS5_SA_S6_PS5_21rocsparse_index_base_b
; %bb.0:
	s_load_dwordx2 s[0:1], s[4:5], 0x8
	s_load_dwordx2 s[2:3], s[4:5], 0x30
	;; [unrolled: 1-line block ×3, first 2 shown]
	s_add_u32 s7, s4, 8
	s_addc_u32 s8, s5, 0
	s_add_u32 s9, s4, 48
	s_addc_u32 s10, s5, 0
	s_waitcnt lgkmcnt(0)
	s_bitcmp1_b32 s17, 0
	s_cselect_b32 s1, s8, s1
	s_cselect_b32 s0, s7, s0
	v_mov_b32_e32 v1, s0
	v_mov_b32_e32 v2, s1
	flat_load_dwordx2 v[1:2], v[1:2]
	s_cselect_b32 s0, s10, s3
	s_cselect_b32 s1, s9, s2
	v_mov_b32_e32 v3, s1
	v_mov_b32_e32 v4, s0
	flat_load_dwordx2 v[3:4], v[3:4]
	s_waitcnt vmcnt(0) lgkmcnt(0)
	v_cmp_eq_f32_e32 vcc, 0, v1
	v_cmp_eq_f32_e64 s[0:1], 0, v2
	s_and_b64 s[8:9], vcc, s[0:1]
	s_mov_b64 s[0:1], -1
	s_and_saveexec_b64 s[2:3], s[8:9]
; %bb.1:
	v_cmp_neq_f32_e32 vcc, 1.0, v3
	v_cmp_neq_f32_e64 s[0:1], 0, v4
	s_or_b64 s[0:1], vcc, s[0:1]
	s_orn2_b64 s[0:1], s[0:1], exec
; %bb.2:
	s_or_b64 exec, exec, s[2:3]
	s_and_saveexec_b64 s[2:3], s[0:1]
	s_cbranch_execz .LBB98_21
; %bb.3:
	s_load_dwordx2 s[0:1], s[4:5], 0x0
	v_lshrrev_b32_e32 v5, 6, v0
	v_lshl_or_b32 v5, s6, 1, v5
	s_waitcnt lgkmcnt(0)
	v_cmp_gt_i32_e32 vcc, s0, v5
	s_and_b64 exec, exec, vcc
	s_cbranch_execz .LBB98_21
; %bb.4:
	s_load_dwordx8 s[8:15], s[4:5], 0x10
	v_ashrrev_i32_e32 v6, 31, v5
	v_lshlrev_b64 v[6:7], 2, v[5:6]
	v_and_b32_e32 v0, 63, v0
	s_cmp_lg_u32 s1, 0
	s_waitcnt lgkmcnt(0)
	v_mov_b32_e32 v8, s9
	v_add_co_u32_e32 v6, vcc, s8, v6
	v_addc_co_u32_e32 v7, vcc, v8, v7, vcc
	global_load_dwordx2 v[6:7], v[6:7], off
	s_waitcnt vmcnt(0)
	v_subrev_u32_e32 v6, s16, v6
	v_subrev_u32_e32 v17, s16, v7
	v_add_u32_e32 v6, v6, v0
	v_cmp_lt_i32_e64 s[0:1], v6, v17
	s_cbranch_scc0 .LBB98_10
; %bb.5:
	v_mov_b32_e32 v15, 0
	v_mov_b32_e32 v20, 0
	;; [unrolled: 1-line block ×8, first 2 shown]
	s_and_saveexec_b64 s[8:9], s[0:1]
	s_cbranch_execz .LBB98_9
; %bb.6:
	v_mad_u64_u32 v[7:8], s[2:3], v6, 24, 20
	v_mov_b32_e32 v10, 0
	s_mov_b64 s[18:19], 0
	v_mov_b32_e32 v22, s11
	v_mov_b32_e32 v23, s13
	;; [unrolled: 1-line block ×12, first 2 shown]
.LBB98_7:                               ; =>This Inner Loop Header: Depth=1
	v_ashrrev_i32_e32 v12, 31, v11
	v_subrev_u32_e32 v9, 20, v7
	v_mov_b32_e32 v8, v10
	v_lshlrev_b64 v[25:26], 2, v[11:12]
	v_lshlrev_b64 v[27:28], 3, v[9:10]
	v_lshlrev_b64 v[29:30], 3, v[7:8]
	v_add_u32_e32 v9, -12, v7
	v_lshlrev_b64 v[8:9], 3, v[9:10]
	v_add_co_u32_e32 v31, vcc, s10, v25
	v_add_co_u32_e64 v33, s[2:3], s12, v27
	v_add_co_u32_e64 v39, s[6:7], s12, v29
	v_addc_co_u32_e32 v32, vcc, v22, v26, vcc
	v_addc_co_u32_e64 v34, vcc, v23, v28, s[2:3]
	v_addc_co_u32_e64 v40, vcc, v23, v30, s[6:7]
	v_add_co_u32_e32 v41, vcc, s12, v8
	global_load_dword v8, v[31:32], off
	global_load_dwordx4 v[25:28], v[33:34], off
	v_mov_b32_e32 v38, v10
	v_addc_co_u32_e32 v42, vcc, v23, v9, vcc
	v_add_u32_e32 v11, 64, v11
	s_waitcnt vmcnt(1)
	v_subrev_u32_e32 v8, s16, v8
	v_mul_lo_u32 v37, v8, 6
	v_lshlrev_b64 v[29:30], 3, v[37:38]
	v_add_u32_e32 v9, 2, v37
	v_add_co_u32_e64 v29, s[2:3], s14, v29
	v_addc_co_u32_e64 v30, s[2:3], v24, v30, s[2:3]
	global_load_dwordx4 v[29:32], v[29:30], off
	s_waitcnt vmcnt(0)
	v_fmac_f32_e32 v20, v25, v29
	v_fmac_f32_e32 v15, v26, v29
	v_fmac_f32_e32 v21, v27, v29
	v_fmac_f32_e32 v16, v28, v29
	v_fma_f32 v8, -v26, v30, v20
	v_fmac_f32_e32 v15, v25, v30
	v_fma_f32 v12, -v28, v30, v21
	v_fmac_f32_e32 v16, v27, v30
	global_load_dwordx4 v[25:28], v[33:34], off offset:16
	s_waitcnt vmcnt(0)
	v_fmac_f32_e32 v19, v25, v29
	v_fmac_f32_e32 v14, v26, v29
	;; [unrolled: 1-line block ×4, first 2 shown]
	v_fma_f32 v29, -v26, v30, v19
	v_fmac_f32_e32 v14, v25, v30
	v_fma_f32 v38, -v28, v30, v18
	v_fmac_f32_e32 v13, v27, v30
	global_load_dwordx4 v[18:21], v[33:34], off offset:32
	global_load_dwordx4 v[25:28], v[33:34], off offset:48
	s_waitcnt vmcnt(1)
	v_fmac_f32_e32 v8, v18, v31
	s_waitcnt vmcnt(0)
	v_fmac_f32_e32 v29, v25, v31
	v_fmac_f32_e32 v14, v26, v31
	v_fma_f32 v43, -v26, v32, v29
	v_fmac_f32_e32 v14, v25, v32
	v_lshlrev_b64 v[25:26], 3, v[9:10]
	v_fmac_f32_e32 v15, v19, v31
	v_add_co_u32_e32 v25, vcc, s14, v25
	v_fmac_f32_e32 v12, v20, v31
	v_fmac_f32_e32 v16, v21, v31
	;; [unrolled: 1-line block ×4, first 2 shown]
	v_addc_co_u32_e32 v26, vcc, v24, v26, vcc
	v_fma_f32 v8, -v19, v32, v8
	v_fmac_f32_e32 v15, v18, v32
	v_fma_f32 v12, -v21, v32, v12
	v_fmac_f32_e32 v16, v20, v32
	;; [unrolled: 2-line block ×3, first 2 shown]
	global_load_dwordx4 v[18:21], v[41:42], off
	v_add_u32_e32 v9, -8, v7
	global_load_dwordx4 v[25:28], v[25:26], off
	s_waitcnt vmcnt(0)
	v_fmac_f32_e32 v8, v18, v25
	v_fmac_f32_e32 v15, v19, v25
	v_fma_f32 v8, -v19, v26, v8
	v_fmac_f32_e32 v15, v18, v26
	v_lshlrev_b64 v[18:19], 3, v[9:10]
	v_fmac_f32_e32 v12, v20, v25
	v_fmac_f32_e32 v16, v21, v25
	v_add_co_u32_e32 v31, vcc, s12, v18
	v_fma_f32 v12, -v21, v26, v12
	v_fmac_f32_e32 v16, v20, v26
	v_addc_co_u32_e32 v32, vcc, v23, v19, vcc
	global_load_dwordx4 v[18:21], v[41:42], off offset:16
	v_add_u32_e32 v9, -4, v7
	global_load_dwordx4 v[33:36], v[39:40], off
	v_lshlrev_b64 v[29:30], 3, v[9:10]
	v_add_u32_e32 v9, 4, v37
	v_add_co_u32_e32 v29, vcc, s12, v29
	v_addc_co_u32_e32 v30, vcc, v23, v30, vcc
	v_add_u32_e32 v7, 0x600, v7
	s_waitcnt vmcnt(1)
	v_fmac_f32_e32 v43, v18, v25
	v_fmac_f32_e32 v14, v19, v25
	;; [unrolled: 1-line block ×4, first 2 shown]
	v_fma_f32 v25, -v19, v26, v43
	v_fmac_f32_e32 v14, v18, v26
	v_fma_f32 v37, -v21, v26, v38
	v_fmac_f32_e32 v13, v20, v26
	global_load_dwordx4 v[18:21], v[31:32], off
	s_waitcnt vmcnt(0)
	v_fmac_f32_e32 v8, v18, v27
	v_fmac_f32_e32 v15, v19, v27
	;; [unrolled: 1-line block ×4, first 2 shown]
	v_fma_f32 v38, -v19, v28, v8
	v_fmac_f32_e32 v15, v18, v28
	v_fma_f32 v12, -v21, v28, v12
	v_fmac_f32_e32 v16, v20, v28
	global_load_dwordx4 v[18:21], v[31:32], off offset:16
	v_lshlrev_b64 v[8:9], 3, v[9:10]
	v_add_co_u32_e32 v8, vcc, s14, v8
	v_addc_co_u32_e32 v9, vcc, v24, v9, vcc
	v_cmp_ge_i32_e32 vcc, v11, v17
	s_or_b64 s[18:19], vcc, s[18:19]
	s_waitcnt vmcnt(0)
	v_fmac_f32_e32 v25, v18, v27
	v_fmac_f32_e32 v14, v19, v27
	;; [unrolled: 1-line block ×4, first 2 shown]
	v_fma_f32 v41, -v19, v28, v25
	v_fmac_f32_e32 v14, v18, v28
	v_fma_f32 v37, -v21, v28, v37
	v_fmac_f32_e32 v13, v20, v28
	global_load_dwordx4 v[18:21], v[29:30], off offset:16
	global_load_dwordx4 v[25:28], v[29:30], off
	s_nop 0
	global_load_dwordx4 v[29:32], v[8:9], off
	s_waitcnt vmcnt(0)
	v_fmac_f32_e32 v38, v25, v29
	v_fmac_f32_e32 v15, v26, v29
	;; [unrolled: 1-line block ×4, first 2 shown]
	v_fma_f32 v8, -v26, v30, v38
	v_fmac_f32_e32 v15, v25, v30
	v_fma_f32 v9, -v28, v30, v12
	v_fmac_f32_e32 v16, v27, v30
	global_load_dwordx4 v[25:28], v[39:40], off offset:16
	v_fmac_f32_e32 v41, v18, v29
	v_fmac_f32_e32 v14, v19, v29
	;; [unrolled: 1-line block ×4, first 2 shown]
	v_fma_f32 v12, -v19, v30, v41
	v_fmac_f32_e32 v14, v18, v30
	v_fma_f32 v18, -v21, v30, v37
	v_fmac_f32_e32 v13, v20, v30
	v_fmac_f32_e32 v8, v33, v31
	;; [unrolled: 1-line block ×5, first 2 shown]
	v_fma_f32 v20, -v34, v32, v8
	v_fmac_f32_e32 v15, v33, v32
	v_fma_f32 v21, -v36, v32, v9
	v_fmac_f32_e32 v16, v35, v32
	s_waitcnt vmcnt(0)
	v_fmac_f32_e32 v12, v25, v31
	v_fmac_f32_e32 v14, v26, v31
	v_fmac_f32_e32 v18, v27, v31
	v_fmac_f32_e32 v13, v28, v31
	v_fma_f32 v19, -v26, v32, v12
	v_fmac_f32_e32 v14, v25, v32
	v_fma_f32 v18, -v28, v32, v18
	v_fmac_f32_e32 v13, v27, v32
	s_andn2_b64 exec, exec, s[18:19]
	s_cbranch_execnz .LBB98_7
; %bb.8:
	s_or_b64 exec, exec, s[18:19]
.LBB98_9:
	s_or_b64 exec, exec, s[8:9]
	s_cbranch_execz .LBB98_11
	s_branch .LBB98_16
.LBB98_10:
                                        ; implicit-def: $vgpr15
                                        ; implicit-def: $vgpr20
                                        ; implicit-def: $vgpr18
                                        ; implicit-def: $vgpr13
                                        ; implicit-def: $vgpr19
                                        ; implicit-def: $vgpr14
                                        ; implicit-def: $vgpr21
                                        ; implicit-def: $vgpr16
.LBB98_11:
	v_mov_b32_e32 v15, 0
	v_mov_b32_e32 v20, 0
	v_mov_b32_e32 v18, 0
	v_mov_b32_e32 v13, 0
	v_mov_b32_e32 v19, 0
	v_mov_b32_e32 v14, 0
	v_mov_b32_e32 v21, 0
	v_mov_b32_e32 v16, 0
	s_and_saveexec_b64 s[2:3], s[0:1]
	s_cbranch_execz .LBB98_15
; %bb.12:
	v_mad_u64_u32 v[8:9], s[0:1], v6, 24, 23
	v_mov_b32_e32 v11, 0
	s_mov_b64 s[0:1], 0
	v_mov_b32_e32 v12, s11
	v_mov_b32_e32 v22, s13
	;; [unrolled: 1-line block ×11, first 2 shown]
.LBB98_13:                              ; =>This Inner Loop Header: Depth=1
	v_ashrrev_i32_e32 v7, 31, v6
	v_lshlrev_b64 v[28:29], 2, v[6:7]
	v_subrev_u32_e32 v10, 23, v8
	v_lshlrev_b64 v[30:31], 3, v[10:11]
	v_add_co_u32_e32 v32, vcc, s10, v28
	v_add_u32_e32 v24, -11, v8
	v_mov_b32_e32 v25, v11
	v_addc_co_u32_e32 v33, vcc, v12, v29, vcc
	v_lshlrev_b64 v[24:25], 3, v[24:25]
	v_add_co_u32_e32 v46, vcc, s12, v30
	v_add_u32_e32 v26, -5, v8
	v_mov_b32_e32 v27, v11
	v_addc_co_u32_e32 v47, vcc, v22, v31, vcc
	v_lshlrev_b64 v[26:27], 3, v[26:27]
	v_add_co_u32_e32 v48, vcc, s12, v24
	v_addc_co_u32_e32 v49, vcc, v22, v25, vcc
	v_add_co_u32_e32 v50, vcc, s12, v26
	v_addc_co_u32_e32 v51, vcc, v22, v27, vcc
	global_load_dword v7, v[32:33], off
	global_load_dwordx4 v[24:27], v[46:47], off
	global_load_dwordx4 v[28:31], v[46:47], off offset:16
	v_mov_b32_e32 v41, v11
	v_mov_b32_e32 v9, v11
	v_lshlrev_b64 v[42:43], 3, v[8:9]
	v_add_u32_e32 v10, -10, v8
	v_lshlrev_b64 v[44:45], 3, v[10:11]
	v_add_u32_e32 v10, -4, v8
	v_add_u32_e32 v6, 64, v6
	s_waitcnt vmcnt(2)
	v_subrev_u32_e32 v7, s16, v7
	v_mul_lo_u32 v40, v7, 6
	v_lshlrev_b64 v[32:33], 3, v[40:41]
	v_add_co_u32_e32 v32, vcc, s14, v32
	v_addc_co_u32_e32 v33, vcc, v23, v33, vcc
	global_load_dwordx4 v[32:35], v[32:33], off
	v_add_co_u32_e32 v41, vcc, s12, v42
	v_addc_co_u32_e32 v42, vcc, v22, v43, vcc
	s_waitcnt vmcnt(0)
	v_fmac_f32_e32 v20, v24, v32
	v_fmac_f32_e32 v15, v25, v32
	v_fma_f32 v7, -v25, v33, v20
	v_fmac_f32_e32 v15, v24, v33
	v_fmac_f32_e32 v7, v26, v34
	;; [unrolled: 1-line block ×3, first 2 shown]
	v_fma_f32 v7, -v27, v35, v7
	v_fmac_f32_e32 v15, v26, v35
	global_load_dwordx4 v[24:27], v[46:47], off offset:48
	global_load_dwordx4 v[36:39], v[46:47], off offset:32
	v_add_co_u32_e32 v20, vcc, s12, v44
	s_waitcnt vmcnt(1)
	v_fmac_f32_e32 v21, v24, v32
	v_fma_f32 v9, -v25, v33, v21
	v_fmac_f32_e32 v9, v26, v34
	v_fma_f32 v61, -v27, v35, v9
	v_lshlrev_b64 v[9:10], 3, v[10:11]
	v_fmac_f32_e32 v16, v25, v32
	v_addc_co_u32_e32 v21, vcc, v22, v45, vcc
	v_fmac_f32_e32 v16, v24, v33
	v_add_co_u32_e32 v24, vcc, s12, v9
	v_addc_co_u32_e32 v25, vcc, v22, v10, vcc
	v_add_u32_e32 v10, 2, v40
	v_lshlrev_b64 v[9:10], 3, v[10:11]
	v_fmac_f32_e32 v16, v27, v34
	v_fmac_f32_e32 v16, v26, v35
	v_add_co_u32_e32 v26, vcc, s14, v9
	v_addc_co_u32_e32 v27, vcc, v23, v10, vcc
	v_add_u32_e32 v10, -15, v8
	v_lshlrev_b64 v[9:10], 3, v[10:11]
	v_add_co_u32_e32 v43, vcc, s12, v9
	v_addc_co_u32_e32 v44, vcc, v22, v10, vcc
	v_add_u32_e32 v10, -9, v8
	v_lshlrev_b64 v[9:10], 3, v[10:11]
	v_add_co_u32_e32 v45, vcc, s12, v9
	v_addc_co_u32_e32 v46, vcc, v22, v10, vcc
	global_load_dwordx2 v[9:10], v[48:49], off
	global_load_dwordx2 v[52:53], v[50:51], off
	;; [unrolled: 1-line block ×4, first 2 shown]
	s_waitcnt vmcnt(3)
	v_fmac_f32_e32 v19, v9, v32
	v_fma_f32 v19, -v10, v33, v19
	v_fmac_f32_e32 v14, v10, v32
	s_waitcnt vmcnt(2)
	v_fmac_f32_e32 v18, v52, v32
	v_add_u32_e32 v10, -3, v8
	s_waitcnt vmcnt(1)
	v_fmac_f32_e32 v19, v54, v34
	v_fmac_f32_e32 v14, v9, v33
	v_fma_f32 v9, -v53, v33, v18
	v_fma_f32 v62, -v55, v35, v19
	v_lshlrev_b64 v[18:19], 3, v[10:11]
	v_add_u32_e32 v10, -14, v8
	v_lshlrev_b64 v[20:21], 3, v[10:11]
	v_add_co_u32_e32 v24, vcc, s12, v18
	v_add_u32_e32 v10, -8, v8
	v_addc_co_u32_e32 v25, vcc, v22, v19, vcc
	v_fmac_f32_e32 v13, v53, v32
	v_lshlrev_b64 v[18:19], 3, v[10:11]
	v_add_co_u32_e32 v32, vcc, s12, v20
	v_fmac_f32_e32 v13, v52, v33
	v_addc_co_u32_e32 v33, vcc, v22, v21, vcc
	v_add_co_u32_e32 v47, vcc, s12, v18
	v_addc_co_u32_e32 v48, vcc, v22, v19, vcc
	global_load_dwordx4 v[18:21], v[26:27], off
	v_fmac_f32_e32 v14, v55, v34
	s_waitcnt vmcnt(1)
	v_fmac_f32_e32 v9, v56, v34
	v_fmac_f32_e32 v13, v57, v34
	v_add_u32_e32 v10, -2, v8
	v_fmac_f32_e32 v14, v54, v35
	v_fma_f32 v63, -v57, v35, v9
	v_fmac_f32_e32 v13, v56, v35
	v_lshlrev_b64 v[34:35], 3, v[10:11]
	v_add_u32_e32 v10, 4, v40
	v_lshlrev_b64 v[26:27], 3, v[10:11]
	v_add_u32_e32 v10, -13, v8
	v_lshlrev_b64 v[9:10], 3, v[10:11]
	s_waitcnt vmcnt(0)
	v_fmac_f32_e32 v15, v29, v18
	v_fmac_f32_e32 v7, v28, v18
	;; [unrolled: 1-line block ×3, first 2 shown]
	v_add_co_u32_e32 v28, vcc, s12, v34
	v_fma_f32 v7, -v29, v19, v7
	v_fmac_f32_e32 v15, v31, v20
	v_addc_co_u32_e32 v29, vcc, v22, v35, vcc
	v_fmac_f32_e32 v7, v30, v20
	v_fmac_f32_e32 v15, v30, v21
	v_add_co_u32_e32 v30, vcc, s14, v26
	v_fma_f32 v7, -v31, v21, v7
	v_addc_co_u32_e32 v31, vcc, v23, v27, vcc
	global_load_dwordx2 v[26:27], v[43:44], off
	global_load_dwordx2 v[55:56], v[45:46], off
	;; [unrolled: 1-line block ×4, first 2 shown]
	v_add_co_u32_e32 v34, vcc, s12, v9
	v_addc_co_u32_e32 v35, vcc, v22, v10, vcc
	v_add_u32_e32 v10, -7, v8
	v_lshlrev_b64 v[9:10], 3, v[10:11]
	v_add_co_u32_e32 v49, vcc, s12, v9
	v_addc_co_u32_e32 v50, vcc, v22, v10, vcc
	v_add_u32_e32 v10, -1, v8
	v_lshlrev_b64 v[9:10], 3, v[10:11]
	;; [unrolled: 4-line block ×4, first 2 shown]
	v_add_u32_e32 v8, 0x600, v8
	v_add_co_u32_e32 v9, vcc, s12, v9
	v_addc_co_u32_e32 v10, vcc, v22, v10, vcc
	v_cmp_ge_i32_e32 vcc, v6, v17
	s_or_b64 s[0:1], vcc, s[0:1]
	s_waitcnt vmcnt(3)
	v_fmac_f32_e32 v61, v26, v18
	v_fmac_f32_e32 v16, v27, v18
	s_waitcnt vmcnt(2)
	v_fmac_f32_e32 v62, v55, v18
	v_fmac_f32_e32 v14, v56, v18
	;; [unrolled: 3-line block ×3, first 2 shown]
	v_fma_f32 v24, -v27, v19, v61
	v_fmac_f32_e32 v16, v26, v19
	v_fma_f32 v25, -v56, v19, v62
	v_fmac_f32_e32 v14, v55, v19
	;; [unrolled: 2-line block ×3, first 2 shown]
	global_load_dwordx2 v[18:19], v[47:48], off
	global_load_dwordx2 v[32:33], v[28:29], off
	s_waitcnt vmcnt(2)
	v_fmac_f32_e32 v24, v59, v20
	v_fma_f32 v57, -v60, v21, v24
	v_fmac_f32_e32 v16, v60, v20
	v_fmac_f32_e32 v16, v59, v21
	s_waitcnt vmcnt(1)
	v_fmac_f32_e32 v25, v18, v20
	v_fmac_f32_e32 v14, v19, v20
	v_fma_f32 v58, -v19, v21, v25
	v_fmac_f32_e32 v14, v18, v21
	global_load_dwordx4 v[24:27], v[30:31], off
	global_load_dwordx2 v[18:19], v[34:35], off
	global_load_dwordx2 v[28:29], v[49:50], off
	;; [unrolled: 1-line block ×6, first 2 shown]
	s_waitcnt vmcnt(7)
	v_fmac_f32_e32 v40, v32, v20
	v_fmac_f32_e32 v13, v33, v20
	v_fma_f32 v9, -v33, v21, v40
	v_fmac_f32_e32 v13, v32, v21
	s_waitcnt vmcnt(6)
	v_fmac_f32_e32 v7, v36, v24
	v_fma_f32 v7, -v37, v25, v7
	v_fmac_f32_e32 v15, v37, v24
	s_waitcnt vmcnt(5)
	v_fmac_f32_e32 v57, v18, v24
	v_fmac_f32_e32 v16, v19, v24
	;; [unrolled: 1-line block ×3, first 2 shown]
	s_waitcnt vmcnt(4)
	v_fmac_f32_e32 v58, v28, v24
	v_fmac_f32_e32 v14, v29, v24
	s_waitcnt vmcnt(3)
	v_fmac_f32_e32 v9, v43, v24
	v_fmac_f32_e32 v13, v44, v24
	;; [unrolled: 1-line block ×3, first 2 shown]
	v_fma_f32 v10, -v19, v25, v57
	v_fmac_f32_e32 v16, v18, v25
	v_fma_f32 v20, -v39, v27, v7
	v_fma_f32 v7, -v29, v25, v58
	v_fmac_f32_e32 v14, v28, v25
	v_fma_f32 v9, -v44, v25, v9
	v_fmac_f32_e32 v13, v43, v25
	v_fmac_f32_e32 v15, v39, v26
	s_waitcnt vmcnt(2)
	v_fmac_f32_e32 v10, v45, v26
	v_fmac_f32_e32 v16, v46, v26
	s_waitcnt vmcnt(1)
	;; [unrolled: 3-line block ×3, first 2 shown]
	v_fmac_f32_e32 v9, v55, v26
	v_fmac_f32_e32 v13, v56, v26
	;; [unrolled: 1-line block ×3, first 2 shown]
	v_fma_f32 v21, -v46, v27, v10
	v_fmac_f32_e32 v16, v45, v27
	v_fma_f32 v19, -v48, v27, v7
	v_fmac_f32_e32 v14, v47, v27
	;; [unrolled: 2-line block ×3, first 2 shown]
	s_andn2_b64 exec, exec, s[0:1]
	s_cbranch_execnz .LBB98_13
; %bb.14:
	s_or_b64 exec, exec, s[0:1]
.LBB98_15:
	s_or_b64 exec, exec, s[2:3]
.LBB98_16:
	v_mov_b32_dpp v10, v21 row_shr:1 row_mask:0xf bank_mask:0xf
	v_add_f32_e32 v10, v21, v10
	v_mov_b32_dpp v6, v20 row_shr:1 row_mask:0xf bank_mask:0xf
	v_mov_b32_dpp v8, v15 row_shr:1 row_mask:0xf bank_mask:0xf
	;; [unrolled: 1-line block ×3, first 2 shown]
	v_add_f32_e32 v10, v10, v11
	v_add_f32_e32 v6, v20, v6
	;; [unrolled: 1-line block ×3, first 2 shown]
	v_mov_b32_dpp v11, v10 row_shr:4 row_mask:0xf bank_mask:0xe
	v_add_f32_e32 v10, v10, v11
	v_mov_b32_dpp v7, v6 row_shr:2 row_mask:0xf bank_mask:0xf
	v_mov_b32_dpp v9, v8 row_shr:2 row_mask:0xf bank_mask:0xf
	;; [unrolled: 1-line block ×3, first 2 shown]
	v_add_f32_e32 v10, v10, v11
	v_add_f32_e32 v6, v6, v7
	;; [unrolled: 1-line block ×3, first 2 shown]
	v_mov_b32_dpp v11, v10 row_bcast:15 row_mask:0xa bank_mask:0xf
	v_add_f32_e32 v11, v10, v11
	v_mov_b32_dpp v10, v16 row_shr:1 row_mask:0xf bank_mask:0xf
	v_add_f32_e32 v10, v16, v10
	v_mov_b32_dpp v7, v6 row_shr:4 row_mask:0xf bank_mask:0xe
	v_mov_b32_dpp v9, v8 row_shr:4 row_mask:0xf bank_mask:0xe
	;; [unrolled: 1-line block ×3, first 2 shown]
	v_add_f32_e32 v10, v10, v12
	v_add_f32_e32 v6, v6, v7
	;; [unrolled: 1-line block ×3, first 2 shown]
	v_mov_b32_dpp v12, v10 row_shr:4 row_mask:0xf bank_mask:0xe
	v_add_f32_e32 v10, v10, v12
	v_mov_b32_dpp v7, v6 row_shr:8 row_mask:0xf bank_mask:0xc
	v_mov_b32_dpp v9, v8 row_shr:8 row_mask:0xf bank_mask:0xc
	;; [unrolled: 1-line block ×3, first 2 shown]
	v_add_f32_e32 v10, v10, v12
	v_add_f32_e32 v6, v6, v7
	;; [unrolled: 1-line block ×3, first 2 shown]
	v_mov_b32_dpp v12, v10 row_bcast:15 row_mask:0xa bank_mask:0xf
	v_add_f32_e32 v16, v10, v12
	v_mov_b32_dpp v10, v19 row_shr:1 row_mask:0xf bank_mask:0xf
	v_add_f32_e32 v10, v19, v10
	v_mov_b32_dpp v7, v6 row_bcast:15 row_mask:0xa bank_mask:0xf
	v_mov_b32_dpp v9, v8 row_bcast:15 row_mask:0xa bank_mask:0xf
	v_mov_b32_dpp v12, v10 row_shr:2 row_mask:0xf bank_mask:0xf
	v_add_f32_e32 v10, v10, v12
	v_add_f32_e32 v6, v6, v7
	;; [unrolled: 1-line block ×3, first 2 shown]
	v_mov_b32_dpp v12, v10 row_shr:4 row_mask:0xf bank_mask:0xe
	v_add_f32_e32 v10, v10, v12
	v_mov_b32_dpp v7, v6 row_bcast:31 row_mask:0xc bank_mask:0xf
	v_mov_b32_dpp v9, v8 row_bcast:31 row_mask:0xc bank_mask:0xf
	v_mov_b32_dpp v12, v10 row_shr:8 row_mask:0xf bank_mask:0xc
	v_add_f32_e32 v10, v10, v12
	v_mov_b32_dpp v15, v11 row_bcast:31 row_mask:0xc bank_mask:0xf
	v_mov_b32_dpp v17, v16 row_bcast:31 row_mask:0xc bank_mask:0xf
	v_mov_b32_dpp v12, v10 row_bcast:15 row_mask:0xa bank_mask:0xf
	v_add_f32_e32 v19, v10, v12
	v_mov_b32_dpp v10, v14 row_shr:1 row_mask:0xf bank_mask:0xf
	v_add_f32_e32 v10, v14, v10
	v_mov_b32_dpp v20, v19 row_bcast:31 row_mask:0xc bank_mask:0xf
	v_cmp_eq_u32_e32 vcc, 63, v0
	v_mov_b32_dpp v12, v10 row_shr:2 row_mask:0xf bank_mask:0xf
	v_add_f32_e32 v10, v10, v12
	s_nop 1
	v_mov_b32_dpp v12, v10 row_shr:4 row_mask:0xf bank_mask:0xe
	v_add_f32_e32 v10, v10, v12
	s_nop 1
	;; [unrolled: 3-line block ×3, first 2 shown]
	v_mov_b32_dpp v12, v10 row_bcast:15 row_mask:0xa bank_mask:0xf
	v_add_f32_e32 v14, v10, v12
	v_mov_b32_dpp v10, v18 row_shr:1 row_mask:0xf bank_mask:0xf
	v_add_f32_e32 v10, v18, v10
	v_mov_b32_dpp v21, v14 row_bcast:31 row_mask:0xc bank_mask:0xf
	s_nop 0
	v_mov_b32_dpp v12, v10 row_shr:2 row_mask:0xf bank_mask:0xf
	v_add_f32_e32 v10, v10, v12
	s_nop 1
	v_mov_b32_dpp v12, v10 row_shr:4 row_mask:0xf bank_mask:0xe
	v_add_f32_e32 v10, v10, v12
	;; [unrolled: 3-line block ×3, first 2 shown]
	s_nop 1
	v_mov_b32_dpp v12, v10 row_bcast:15 row_mask:0xa bank_mask:0xf
	v_add_f32_e32 v18, v10, v12
	v_mov_b32_dpp v10, v13 row_shr:1 row_mask:0xf bank_mask:0xf
	v_add_f32_e32 v10, v13, v10
	v_mov_b32_dpp v22, v18 row_bcast:31 row_mask:0xc bank_mask:0xf
	s_nop 0
	v_mov_b32_dpp v12, v10 row_shr:2 row_mask:0xf bank_mask:0xf
	v_add_f32_e32 v10, v10, v12
	s_nop 1
	v_mov_b32_dpp v12, v10 row_shr:4 row_mask:0xf bank_mask:0xe
	v_add_f32_e32 v10, v10, v12
	;; [unrolled: 3-line block ×3, first 2 shown]
	s_nop 1
	v_mov_b32_dpp v12, v10 row_bcast:15 row_mask:0xa bank_mask:0xf
	v_add_f32_e32 v13, v10, v12
	s_nop 1
	v_mov_b32_dpp v23, v13 row_bcast:31 row_mask:0xc bank_mask:0xf
	s_and_b64 exec, exec, vcc
	s_cbranch_execz .LBB98_21
; %bb.17:
	s_load_dwordx2 s[2:3], s[4:5], 0x38
	v_cmp_eq_f32_e32 vcc, 0, v3
	v_cmp_eq_f32_e64 s[0:1], 0, v4
	v_add_f32_e32 v10, v6, v7
	v_add_f32_e32 v12, v8, v9
	v_add_f32_e32 v8, v11, v15
	v_add_f32_e32 v11, v16, v17
	v_add_f32_e32 v6, v19, v20
	v_add_f32_e32 v9, v14, v21
	v_add_f32_e32 v0, v18, v22
	v_add_f32_e32 v7, v13, v23
	s_and_b64 s[0:1], vcc, s[0:1]
	s_and_saveexec_b64 s[4:5], s[0:1]
	s_xor_b64 s[0:1], exec, s[4:5]
	s_cbranch_execz .LBB98_19
; %bb.18:
	v_lshlrev_b32_e32 v3, 2, v5
	v_ashrrev_i32_e32 v4, 31, v3
	v_lshlrev_b64 v[3:4], 3, v[3:4]
	s_waitcnt lgkmcnt(0)
	v_mov_b32_e32 v5, s3
	v_add_co_u32_e32 v17, vcc, s2, v3
	v_addc_co_u32_e32 v18, vcc, v5, v4, vcc
	v_mul_f32_e64 v3, v9, -v2
	v_mul_f32_e32 v4, v1, v9
	v_mul_f32_e64 v13, v12, -v2
	v_mul_f32_e32 v14, v1, v12
	;; [unrolled: 2-line block ×3, first 2 shown]
	v_fmac_f32_e32 v3, v1, v6
	v_fmac_f32_e32 v4, v2, v6
	v_mul_f32_e64 v5, v7, -v2
	v_mul_f32_e32 v6, v1, v7
	v_fmac_f32_e32 v13, v1, v10
	v_fmac_f32_e32 v14, v2, v10
	;; [unrolled: 1-line block ×6, first 2 shown]
	global_store_dwordx4 v[17:18], v[13:16], off
	global_store_dwordx4 v[17:18], v[3:6], off offset:16
                                        ; implicit-def: $vgpr5
                                        ; implicit-def: $vgpr10
                                        ; implicit-def: $vgpr12
                                        ; implicit-def: $vgpr8
                                        ; implicit-def: $vgpr11
                                        ; implicit-def: $vgpr6
                                        ; implicit-def: $vgpr9
                                        ; implicit-def: $vgpr0
                                        ; implicit-def: $vgpr7
                                        ; implicit-def: $vgpr1_vgpr2
                                        ; implicit-def: $vgpr3_vgpr4
.LBB98_19:
	s_andn2_saveexec_b64 s[0:1], s[0:1]
	s_cbranch_execz .LBB98_21
; %bb.20:
	v_lshlrev_b32_e32 v13, 2, v5
	v_ashrrev_i32_e32 v14, 31, v13
	v_lshlrev_b64 v[13:14], 3, v[13:14]
	s_waitcnt lgkmcnt(0)
	v_mov_b32_e32 v5, s3
	v_add_co_u32_e32 v25, vcc, s2, v13
	v_addc_co_u32_e32 v26, vcc, v5, v14, vcc
	global_load_dwordx4 v[13:16], v[25:26], off
	global_load_dwordx4 v[17:20], v[25:26], off offset:16
	v_mul_f32_e64 v5, v12, -v2
	v_mul_f32_e32 v22, v1, v12
	v_mul_f32_e64 v12, v11, -v2
	v_mul_f32_e32 v24, v1, v11
	;; [unrolled: 2-line block ×4, first 2 shown]
	v_fmac_f32_e32 v5, v1, v10
	v_fmac_f32_e32 v22, v2, v10
	;; [unrolled: 1-line block ×8, first 2 shown]
	s_waitcnt vmcnt(1)
	v_fmac_f32_e32 v5, v3, v13
	v_fmac_f32_e32 v22, v4, v13
	;; [unrolled: 1-line block ×4, first 2 shown]
	s_waitcnt vmcnt(0)
	v_fmac_f32_e32 v27, v3, v17
	v_fmac_f32_e32 v9, v4, v17
	;; [unrolled: 1-line block ×4, first 2 shown]
	v_fma_f32 v21, -v4, v14, v5
	v_fmac_f32_e32 v22, v3, v14
	v_fma_f32 v23, -v4, v16, v12
	v_fmac_f32_e32 v24, v3, v16
	;; [unrolled: 2-line block ×4, first 2 shown]
	global_store_dwordx4 v[25:26], v[21:24], off
	global_store_dwordx4 v[25:26], v[8:11], off offset:16
.LBB98_21:
	s_endpgm
	.section	.rodata,"a",@progbits
	.p2align	6, 0x0
	.amdhsa_kernel _ZN9rocsparseL19gebsrmvn_4xn_kernelILj128ELj6ELj64E21rocsparse_complex_numIfEEEvi20rocsparse_direction_NS_24const_host_device_scalarIT2_EEPKiS8_PKS5_SA_S6_PS5_21rocsparse_index_base_b
		.amdhsa_group_segment_fixed_size 0
		.amdhsa_private_segment_fixed_size 0
		.amdhsa_kernarg_size 72
		.amdhsa_user_sgpr_count 6
		.amdhsa_user_sgpr_private_segment_buffer 1
		.amdhsa_user_sgpr_dispatch_ptr 0
		.amdhsa_user_sgpr_queue_ptr 0
		.amdhsa_user_sgpr_kernarg_segment_ptr 1
		.amdhsa_user_sgpr_dispatch_id 0
		.amdhsa_user_sgpr_flat_scratch_init 0
		.amdhsa_user_sgpr_private_segment_size 0
		.amdhsa_uses_dynamic_stack 0
		.amdhsa_system_sgpr_private_segment_wavefront_offset 0
		.amdhsa_system_sgpr_workgroup_id_x 1
		.amdhsa_system_sgpr_workgroup_id_y 0
		.amdhsa_system_sgpr_workgroup_id_z 0
		.amdhsa_system_sgpr_workgroup_info 0
		.amdhsa_system_vgpr_workitem_id 0
		.amdhsa_next_free_vgpr 64
		.amdhsa_next_free_sgpr 20
		.amdhsa_reserve_vcc 1
		.amdhsa_reserve_flat_scratch 0
		.amdhsa_float_round_mode_32 0
		.amdhsa_float_round_mode_16_64 0
		.amdhsa_float_denorm_mode_32 3
		.amdhsa_float_denorm_mode_16_64 3
		.amdhsa_dx10_clamp 1
		.amdhsa_ieee_mode 1
		.amdhsa_fp16_overflow 0
		.amdhsa_exception_fp_ieee_invalid_op 0
		.amdhsa_exception_fp_denorm_src 0
		.amdhsa_exception_fp_ieee_div_zero 0
		.amdhsa_exception_fp_ieee_overflow 0
		.amdhsa_exception_fp_ieee_underflow 0
		.amdhsa_exception_fp_ieee_inexact 0
		.amdhsa_exception_int_div_zero 0
	.end_amdhsa_kernel
	.section	.text._ZN9rocsparseL19gebsrmvn_4xn_kernelILj128ELj6ELj64E21rocsparse_complex_numIfEEEvi20rocsparse_direction_NS_24const_host_device_scalarIT2_EEPKiS8_PKS5_SA_S6_PS5_21rocsparse_index_base_b,"axG",@progbits,_ZN9rocsparseL19gebsrmvn_4xn_kernelILj128ELj6ELj64E21rocsparse_complex_numIfEEEvi20rocsparse_direction_NS_24const_host_device_scalarIT2_EEPKiS8_PKS5_SA_S6_PS5_21rocsparse_index_base_b,comdat
.Lfunc_end98:
	.size	_ZN9rocsparseL19gebsrmvn_4xn_kernelILj128ELj6ELj64E21rocsparse_complex_numIfEEEvi20rocsparse_direction_NS_24const_host_device_scalarIT2_EEPKiS8_PKS5_SA_S6_PS5_21rocsparse_index_base_b, .Lfunc_end98-_ZN9rocsparseL19gebsrmvn_4xn_kernelILj128ELj6ELj64E21rocsparse_complex_numIfEEEvi20rocsparse_direction_NS_24const_host_device_scalarIT2_EEPKiS8_PKS5_SA_S6_PS5_21rocsparse_index_base_b
                                        ; -- End function
	.set _ZN9rocsparseL19gebsrmvn_4xn_kernelILj128ELj6ELj64E21rocsparse_complex_numIfEEEvi20rocsparse_direction_NS_24const_host_device_scalarIT2_EEPKiS8_PKS5_SA_S6_PS5_21rocsparse_index_base_b.num_vgpr, 64
	.set _ZN9rocsparseL19gebsrmvn_4xn_kernelILj128ELj6ELj64E21rocsparse_complex_numIfEEEvi20rocsparse_direction_NS_24const_host_device_scalarIT2_EEPKiS8_PKS5_SA_S6_PS5_21rocsparse_index_base_b.num_agpr, 0
	.set _ZN9rocsparseL19gebsrmvn_4xn_kernelILj128ELj6ELj64E21rocsparse_complex_numIfEEEvi20rocsparse_direction_NS_24const_host_device_scalarIT2_EEPKiS8_PKS5_SA_S6_PS5_21rocsparse_index_base_b.numbered_sgpr, 20
	.set _ZN9rocsparseL19gebsrmvn_4xn_kernelILj128ELj6ELj64E21rocsparse_complex_numIfEEEvi20rocsparse_direction_NS_24const_host_device_scalarIT2_EEPKiS8_PKS5_SA_S6_PS5_21rocsparse_index_base_b.num_named_barrier, 0
	.set _ZN9rocsparseL19gebsrmvn_4xn_kernelILj128ELj6ELj64E21rocsparse_complex_numIfEEEvi20rocsparse_direction_NS_24const_host_device_scalarIT2_EEPKiS8_PKS5_SA_S6_PS5_21rocsparse_index_base_b.private_seg_size, 0
	.set _ZN9rocsparseL19gebsrmvn_4xn_kernelILj128ELj6ELj64E21rocsparse_complex_numIfEEEvi20rocsparse_direction_NS_24const_host_device_scalarIT2_EEPKiS8_PKS5_SA_S6_PS5_21rocsparse_index_base_b.uses_vcc, 1
	.set _ZN9rocsparseL19gebsrmvn_4xn_kernelILj128ELj6ELj64E21rocsparse_complex_numIfEEEvi20rocsparse_direction_NS_24const_host_device_scalarIT2_EEPKiS8_PKS5_SA_S6_PS5_21rocsparse_index_base_b.uses_flat_scratch, 0
	.set _ZN9rocsparseL19gebsrmvn_4xn_kernelILj128ELj6ELj64E21rocsparse_complex_numIfEEEvi20rocsparse_direction_NS_24const_host_device_scalarIT2_EEPKiS8_PKS5_SA_S6_PS5_21rocsparse_index_base_b.has_dyn_sized_stack, 0
	.set _ZN9rocsparseL19gebsrmvn_4xn_kernelILj128ELj6ELj64E21rocsparse_complex_numIfEEEvi20rocsparse_direction_NS_24const_host_device_scalarIT2_EEPKiS8_PKS5_SA_S6_PS5_21rocsparse_index_base_b.has_recursion, 0
	.set _ZN9rocsparseL19gebsrmvn_4xn_kernelILj128ELj6ELj64E21rocsparse_complex_numIfEEEvi20rocsparse_direction_NS_24const_host_device_scalarIT2_EEPKiS8_PKS5_SA_S6_PS5_21rocsparse_index_base_b.has_indirect_call, 0
	.section	.AMDGPU.csdata,"",@progbits
; Kernel info:
; codeLenInByte = 3668
; TotalNumSgprs: 24
; NumVgprs: 64
; ScratchSize: 0
; MemoryBound: 0
; FloatMode: 240
; IeeeMode: 1
; LDSByteSize: 0 bytes/workgroup (compile time only)
; SGPRBlocks: 2
; VGPRBlocks: 15
; NumSGPRsForWavesPerEU: 24
; NumVGPRsForWavesPerEU: 64
; Occupancy: 4
; WaveLimiterHint : 1
; COMPUTE_PGM_RSRC2:SCRATCH_EN: 0
; COMPUTE_PGM_RSRC2:USER_SGPR: 6
; COMPUTE_PGM_RSRC2:TRAP_HANDLER: 0
; COMPUTE_PGM_RSRC2:TGID_X_EN: 1
; COMPUTE_PGM_RSRC2:TGID_Y_EN: 0
; COMPUTE_PGM_RSRC2:TGID_Z_EN: 0
; COMPUTE_PGM_RSRC2:TIDIG_COMP_CNT: 0
	.section	.text._ZN9rocsparseL19gebsrmvn_4xn_kernelILj128ELj7ELj4E21rocsparse_complex_numIfEEEvi20rocsparse_direction_NS_24const_host_device_scalarIT2_EEPKiS8_PKS5_SA_S6_PS5_21rocsparse_index_base_b,"axG",@progbits,_ZN9rocsparseL19gebsrmvn_4xn_kernelILj128ELj7ELj4E21rocsparse_complex_numIfEEEvi20rocsparse_direction_NS_24const_host_device_scalarIT2_EEPKiS8_PKS5_SA_S6_PS5_21rocsparse_index_base_b,comdat
	.globl	_ZN9rocsparseL19gebsrmvn_4xn_kernelILj128ELj7ELj4E21rocsparse_complex_numIfEEEvi20rocsparse_direction_NS_24const_host_device_scalarIT2_EEPKiS8_PKS5_SA_S6_PS5_21rocsparse_index_base_b ; -- Begin function _ZN9rocsparseL19gebsrmvn_4xn_kernelILj128ELj7ELj4E21rocsparse_complex_numIfEEEvi20rocsparse_direction_NS_24const_host_device_scalarIT2_EEPKiS8_PKS5_SA_S6_PS5_21rocsparse_index_base_b
	.p2align	8
	.type	_ZN9rocsparseL19gebsrmvn_4xn_kernelILj128ELj7ELj4E21rocsparse_complex_numIfEEEvi20rocsparse_direction_NS_24const_host_device_scalarIT2_EEPKiS8_PKS5_SA_S6_PS5_21rocsparse_index_base_b,@function
_ZN9rocsparseL19gebsrmvn_4xn_kernelILj128ELj7ELj4E21rocsparse_complex_numIfEEEvi20rocsparse_direction_NS_24const_host_device_scalarIT2_EEPKiS8_PKS5_SA_S6_PS5_21rocsparse_index_base_b: ; @_ZN9rocsparseL19gebsrmvn_4xn_kernelILj128ELj7ELj4E21rocsparse_complex_numIfEEEvi20rocsparse_direction_NS_24const_host_device_scalarIT2_EEPKiS8_PKS5_SA_S6_PS5_21rocsparse_index_base_b
; %bb.0:
	s_load_dwordx2 s[0:1], s[4:5], 0x8
	s_load_dwordx2 s[8:9], s[4:5], 0x30
	s_load_dwordx2 s[2:3], s[4:5], 0x40
	s_add_u32 s7, s4, 8
	s_addc_u32 s10, s5, 0
	s_add_u32 s11, s4, 48
	s_addc_u32 s12, s5, 0
	s_waitcnt lgkmcnt(0)
	s_bitcmp1_b32 s3, 0
	s_cselect_b32 s1, s10, s1
	s_cselect_b32 s0, s7, s0
	v_mov_b32_e32 v1, s0
	v_mov_b32_e32 v2, s1
	flat_load_dwordx2 v[1:2], v[1:2]
	s_cselect_b32 s0, s12, s9
	s_cselect_b32 s1, s11, s8
	v_mov_b32_e32 v3, s1
	v_mov_b32_e32 v4, s0
	flat_load_dwordx2 v[3:4], v[3:4]
	s_waitcnt vmcnt(0) lgkmcnt(0)
	v_cmp_eq_f32_e32 vcc, 0, v1
	v_cmp_eq_f32_e64 s[0:1], 0, v2
	s_and_b64 s[10:11], vcc, s[0:1]
	s_mov_b64 s[0:1], -1
	s_and_saveexec_b64 s[8:9], s[10:11]
; %bb.1:
	v_cmp_neq_f32_e32 vcc, 1.0, v3
	v_cmp_neq_f32_e64 s[0:1], 0, v4
	s_or_b64 s[0:1], vcc, s[0:1]
	s_orn2_b64 s[0:1], s[0:1], exec
; %bb.2:
	s_or_b64 exec, exec, s[8:9]
	s_and_saveexec_b64 s[8:9], s[0:1]
	s_cbranch_execz .LBB99_21
; %bb.3:
	s_load_dwordx2 s[0:1], s[4:5], 0x0
	v_lshrrev_b32_e32 v5, 2, v0
	v_lshl_or_b32 v5, s6, 5, v5
	s_waitcnt lgkmcnt(0)
	v_cmp_gt_i32_e32 vcc, s0, v5
	s_and_b64 exec, exec, vcc
	s_cbranch_execz .LBB99_21
; %bb.4:
	s_load_dwordx8 s[8:15], s[4:5], 0x10
	v_ashrrev_i32_e32 v6, 31, v5
	v_lshlrev_b64 v[6:7], 2, v[5:6]
	v_and_b32_e32 v0, 3, v0
	s_cmp_lg_u32 s1, 0
	s_waitcnt lgkmcnt(0)
	v_mov_b32_e32 v8, s9
	v_add_co_u32_e32 v6, vcc, s8, v6
	v_addc_co_u32_e32 v7, vcc, v8, v7, vcc
	global_load_dwordx2 v[6:7], v[6:7], off
	s_waitcnt vmcnt(0)
	v_subrev_u32_e32 v6, s2, v6
	v_subrev_u32_e32 v20, s2, v7
	v_add_u32_e32 v6, v6, v0
	v_cmp_lt_i32_e64 s[0:1], v6, v20
	s_cbranch_scc0 .LBB99_10
; %bb.5:
	v_mov_b32_e32 v19, 0
	v_mov_b32_e32 v24, 0
	;; [unrolled: 1-line block ×8, first 2 shown]
	s_and_saveexec_b64 s[6:7], s[0:1]
	s_cbranch_execz .LBB99_9
; %bb.6:
	v_mad_u64_u32 v[7:8], s[8:9], v6, 28, 24
	v_mov_b32_e32 v10, 0
	s_mov_b64 s[8:9], 0
	v_mov_b32_e32 v13, s11
	v_mov_b32_e32 v14, s13
	;; [unrolled: 1-line block ×12, first 2 shown]
.LBB99_7:                               ; =>This Inner Loop Header: Depth=1
	v_ashrrev_i32_e32 v12, 31, v11
	v_lshlrev_b64 v[27:28], 2, v[11:12]
	v_subrev_u32_e32 v9, 24, v7
	v_lshlrev_b64 v[29:30], 3, v[9:10]
	v_add_co_u32_e32 v35, vcc, s10, v27
	v_mov_b32_e32 v8, v10
	v_addc_co_u32_e32 v36, vcc, v13, v28, vcc
	v_lshlrev_b64 v[31:32], 3, v[7:8]
	v_add_co_u32_e32 v37, vcc, s12, v29
	v_addc_co_u32_e32 v38, vcc, v14, v30, vcc
	v_add_co_u32_e32 v43, vcc, s12, v31
	v_addc_co_u32_e32 v44, vcc, v14, v32, vcc
	global_load_dword v12, v[35:36], off
	global_load_dwordx4 v[27:30], v[37:38], off
	global_load_dwordx4 v[31:34], v[37:38], off offset:16
	v_subrev_u32_e32 v9, 20, v7
	v_lshlrev_b64 v[8:9], 3, v[9:10]
	v_mov_b32_e32 v17, v10
	v_add_co_u32_e32 v8, vcc, s12, v8
	global_load_dwordx4 v[35:38], v[43:44], off
	global_load_dwordx4 v[39:42], v[43:44], off offset:16
	v_addc_co_u32_e32 v9, vcc, v14, v9, vcc
	v_add_u32_e32 v11, 4, v11
	s_waitcnt vmcnt(4)
	v_subrev_u32_e32 v12, s2, v12
	v_mul_lo_u32 v16, v12, 7
	v_lshlrev_b64 v[43:44], 3, v[16:17]
	v_add_co_u32_e32 v47, vcc, s14, v43
	v_addc_co_u32_e32 v48, vcc, v15, v44, vcc
	global_load_dwordx4 v[43:46], v[8:9], off
	global_load_dwordx2 v[49:50], v[47:48], off
	s_waitcnt vmcnt(0)
	v_fmac_f32_e32 v24, v27, v49
	v_fmac_f32_e32 v19, v28, v49
	;; [unrolled: 1-line block ×4, first 2 shown]
	v_fma_f32 v12, -v28, v50, v24
	v_fmac_f32_e32 v19, v27, v50
	v_fma_f32 v17, -v30, v50, v26
	v_fmac_f32_e32 v22, v29, v50
	global_load_dwordx4 v[26:29], v[8:9], off offset:16
	v_add_u32_e32 v9, 1, v16
	v_lshlrev_b64 v[47:48], 3, v[9:10]
	v_fmac_f32_e32 v21, v32, v49
	v_add_co_u32_e32 v30, vcc, s14, v47
	v_fmac_f32_e32 v25, v31, v49
	v_fmac_f32_e32 v21, v31, v50
	v_addc_co_u32_e32 v31, vcc, v15, v48, vcc
	global_load_dwordx2 v[47:48], v[30:31], off
	v_add_u32_e32 v9, -16, v7
	v_fmac_f32_e32 v23, v33, v49
	v_fma_f32 v8, -v32, v50, v25
	v_fma_f32 v25, -v34, v50, v23
	v_lshlrev_b64 v[23:24], 3, v[9:10]
	v_fmac_f32_e32 v18, v34, v49
	v_add_u32_e32 v9, 2, v16
	v_fmac_f32_e32 v18, v33, v50
	v_lshlrev_b64 v[32:33], 3, v[9:10]
	v_add_co_u32_e32 v23, vcc, s12, v23
	v_addc_co_u32_e32 v24, vcc, v14, v24, vcc
	v_add_co_u32_e32 v49, vcc, s14, v32
	v_addc_co_u32_e32 v50, vcc, v15, v33, vcc
	global_load_dwordx4 v[30:33], v[23:24], off
	v_add_u32_e32 v9, -12, v7
	v_lshlrev_b64 v[51:52], 3, v[9:10]
	v_add_u32_e32 v9, 3, v16
	s_waitcnt vmcnt(1)
	v_fmac_f32_e32 v12, v43, v47
	v_fmac_f32_e32 v19, v44, v47
	v_fma_f32 v12, -v44, v48, v12
	v_fmac_f32_e32 v19, v43, v48
	v_fmac_f32_e32 v21, v27, v47
	;; [unrolled: 1-line block ×3, first 2 shown]
	global_load_dwordx2 v[43:44], v[49:50], off
	v_fmac_f32_e32 v8, v26, v47
	v_fmac_f32_e32 v21, v26, v48
	v_fma_f32 v34, -v29, v48, v25
	global_load_dwordx4 v[23:26], v[23:24], off offset:16
	v_fmac_f32_e32 v22, v46, v47
	v_fmac_f32_e32 v18, v29, v47
	;; [unrolled: 1-line block ×4, first 2 shown]
	v_fma_f32 v8, -v27, v48, v8
	v_fmac_f32_e32 v18, v28, v48
	v_lshlrev_b64 v[27:28], 3, v[9:10]
	v_add_co_u32_e32 v45, vcc, s12, v51
	v_fma_f32 v17, -v46, v48, v17
	v_addc_co_u32_e32 v46, vcc, v14, v52, vcc
	v_add_co_u32_e32 v47, vcc, s14, v27
	v_addc_co_u32_e32 v48, vcc, v15, v28, vcc
	v_add_u32_e32 v9, -8, v7
	v_lshlrev_b64 v[49:50], 3, v[9:10]
	v_add_u32_e32 v9, 4, v16
	s_waitcnt vmcnt(1)
	v_fmac_f32_e32 v19, v31, v43
	v_fmac_f32_e32 v12, v30, v43
	;; [unrolled: 1-line block ×4, first 2 shown]
	global_load_dwordx4 v[27:30], v[45:46], off
	s_waitcnt vmcnt(1)
	v_fmac_f32_e32 v8, v23, v43
	v_fmac_f32_e32 v21, v24, v43
	;; [unrolled: 1-line block ×5, first 2 shown]
	v_fma_f32 v17, -v33, v44, v17
	v_fma_f32 v8, -v24, v44, v8
	v_fmac_f32_e32 v21, v23, v44
	v_fma_f32 v51, -v26, v44, v34
	v_fmac_f32_e32 v18, v25, v44
	global_load_dwordx4 v[23:26], v[45:46], off offset:16
	global_load_dwordx2 v[33:34], v[47:48], off
	v_fma_f32 v12, -v31, v44, v12
	v_fmac_f32_e32 v22, v32, v44
	v_lshlrev_b64 v[31:32], 3, v[9:10]
	v_add_co_u32_e32 v43, vcc, s12, v49
	v_addc_co_u32_e32 v44, vcc, v14, v50, vcc
	v_add_u32_e32 v9, -4, v7
	v_add_co_u32_e32 v31, vcc, s14, v31
	v_addc_co_u32_e32 v32, vcc, v15, v32, vcc
	v_lshlrev_b64 v[45:46], 3, v[9:10]
	v_add_u32_e32 v9, 5, v16
	v_add_u32_e32 v7, 0x70, v7
	s_waitcnt vmcnt(0)
	v_fmac_f32_e32 v12, v27, v33
	v_fmac_f32_e32 v19, v28, v33
	;; [unrolled: 1-line block ×8, first 2 shown]
	v_fma_f32 v12, -v28, v34, v12
	v_fmac_f32_e32 v19, v27, v34
	v_fma_f32 v47, -v30, v34, v17
	v_fmac_f32_e32 v22, v29, v34
	global_load_dwordx4 v[27:30], v[43:44], off
	v_fma_f32 v52, -v24, v34, v8
	v_fmac_f32_e32 v21, v23, v34
	v_fma_f32 v51, -v26, v34, v51
	v_fmac_f32_e32 v18, v25, v34
	v_lshlrev_b64 v[33:34], 3, v[9:10]
	v_add_u32_e32 v9, 6, v16
	global_load_dwordx2 v[16:17], v[31:32], off
	global_load_dwordx4 v[23:26], v[43:44], off offset:16
	v_add_co_u32_e32 v43, vcc, s12, v45
	v_addc_co_u32_e32 v44, vcc, v14, v46, vcc
	v_lshlrev_b64 v[8:9], 3, v[9:10]
	v_add_co_u32_e32 v45, vcc, s14, v33
	v_addc_co_u32_e32 v46, vcc, v15, v34, vcc
	v_add_co_u32_e32 v8, vcc, s14, v8
	v_addc_co_u32_e32 v9, vcc, v15, v9, vcc
	v_cmp_ge_i32_e32 vcc, v11, v20
	s_or_b64 s[8:9], vcc, s[8:9]
	s_waitcnt vmcnt(1)
	v_fmac_f32_e32 v12, v27, v16
	v_fmac_f32_e32 v19, v28, v16
	;; [unrolled: 1-line block ×4, first 2 shown]
	v_fma_f32 v12, -v28, v17, v12
	v_fmac_f32_e32 v19, v27, v17
	v_fma_f32 v53, -v30, v17, v47
	v_fmac_f32_e32 v22, v29, v17
	global_load_dwordx4 v[27:30], v[43:44], off
	global_load_dwordx4 v[31:34], v[43:44], off offset:16
	global_load_dwordx2 v[47:48], v[45:46], off
	global_load_dwordx2 v[49:50], v[8:9], off
	s_waitcnt vmcnt(4)
	v_fmac_f32_e32 v52, v23, v16
	v_fmac_f32_e32 v21, v24, v16
	;; [unrolled: 1-line block ×4, first 2 shown]
	v_fma_f32 v8, -v24, v17, v52
	v_fmac_f32_e32 v21, v23, v17
	v_fma_f32 v9, -v26, v17, v51
	v_fmac_f32_e32 v18, v25, v17
	s_waitcnt vmcnt(1)
	v_fmac_f32_e32 v8, v31, v47
	v_fmac_f32_e32 v12, v27, v47
	;; [unrolled: 1-line block ×8, first 2 shown]
	v_fma_f32 v12, -v28, v48, v12
	v_fmac_f32_e32 v19, v27, v48
	v_fma_f32 v16, -v30, v48, v53
	v_fmac_f32_e32 v22, v29, v48
	;; [unrolled: 2-line block ×4, first 2 shown]
	s_waitcnt vmcnt(0)
	v_fmac_f32_e32 v12, v35, v49
	v_fmac_f32_e32 v19, v36, v49
	;; [unrolled: 1-line block ×8, first 2 shown]
	v_fma_f32 v24, -v36, v50, v12
	v_fmac_f32_e32 v19, v35, v50
	v_fma_f32 v26, -v38, v50, v16
	v_fmac_f32_e32 v22, v37, v50
	v_fma_f32 v25, -v40, v50, v8
	v_fmac_f32_e32 v21, v39, v50
	v_fma_f32 v23, -v42, v50, v9
	v_fmac_f32_e32 v18, v41, v50
	s_andn2_b64 exec, exec, s[8:9]
	s_cbranch_execnz .LBB99_7
; %bb.8:
	s_or_b64 exec, exec, s[8:9]
.LBB99_9:
	s_or_b64 exec, exec, s[6:7]
	s_cbranch_execz .LBB99_11
	s_branch .LBB99_16
.LBB99_10:
                                        ; implicit-def: $vgpr19
                                        ; implicit-def: $vgpr24
                                        ; implicit-def: $vgpr23
                                        ; implicit-def: $vgpr18
                                        ; implicit-def: $vgpr25
                                        ; implicit-def: $vgpr21
                                        ; implicit-def: $vgpr26
                                        ; implicit-def: $vgpr22
.LBB99_11:
	v_mov_b32_e32 v19, 0
	v_mov_b32_e32 v24, 0
	;; [unrolled: 1-line block ×8, first 2 shown]
	s_and_saveexec_b64 s[6:7], s[0:1]
	s_cbranch_execz .LBB99_15
; %bb.12:
	v_mad_u64_u32 v[8:9], s[0:1], v6, 28, 27
	v_mov_b32_e32 v11, 0
	s_mov_b64 s[0:1], 0
	v_mov_b32_e32 v27, s11
	v_mov_b32_e32 v28, s13
	;; [unrolled: 1-line block ×11, first 2 shown]
.LBB99_13:                              ; =>This Inner Loop Header: Depth=1
	v_ashrrev_i32_e32 v7, 31, v6
	v_lshlrev_b64 v[30:31], 2, v[6:7]
	v_subrev_u32_e32 v10, 27, v8
	v_add_co_u32_e32 v30, vcc, s10, v30
	v_addc_co_u32_e32 v31, vcc, v27, v31, vcc
	global_load_dword v7, v[30:31], off
	v_lshlrev_b64 v[32:33], 3, v[10:11]
	v_subrev_u32_e32 v12, 20, v8
	v_mov_b32_e32 v13, v11
	v_lshlrev_b64 v[12:13], 3, v[12:13]
	v_add_co_u32_e32 v34, vcc, s12, v32
	v_add_u32_e32 v14, -13, v8
	v_mov_b32_e32 v15, v11
	v_addc_co_u32_e32 v35, vcc, v28, v33, vcc
	v_lshlrev_b64 v[14:15], 3, v[14:15]
	v_add_co_u32_e32 v12, vcc, s12, v12
	v_add_u32_e32 v16, -6, v8
	v_mov_b32_e32 v17, v11
	v_addc_co_u32_e32 v13, vcc, v28, v13, vcc
	v_lshlrev_b64 v[16:17], 3, v[16:17]
	v_add_co_u32_e32 v14, vcc, s12, v14
	v_mov_b32_e32 v9, v11
	v_addc_co_u32_e32 v15, vcc, v28, v15, vcc
	v_lshlrev_b64 v[9:10], 3, v[8:9]
	v_add_co_u32_e32 v16, vcc, s12, v16
	v_addc_co_u32_e32 v17, vcc, v28, v17, vcc
	v_add_co_u32_e32 v36, vcc, s12, v9
	v_addc_co_u32_e32 v37, vcc, v28, v10, vcc
	v_mov_b32_e32 v10, v11
	v_add_u32_e32 v6, 4, v6
	s_waitcnt vmcnt(0)
	v_subrev_u32_e32 v7, s2, v7
	v_mul_lo_u32 v9, v7, 7
	v_lshlrev_b64 v[30:31], 3, v[9:10]
	v_add_u32_e32 v10, 1, v9
	v_add_co_u32_e32 v30, vcc, s14, v30
	v_lshlrev_b64 v[32:33], 3, v[10:11]
	v_addc_co_u32_e32 v31, vcc, v29, v31, vcc
	v_add_co_u32_e32 v38, vcc, s14, v32
	v_addc_co_u32_e32 v39, vcc, v29, v33, vcc
	global_load_dwordx2 v[32:33], v[12:13], off
	global_load_dwordx2 v[40:41], v[14:15], off
	;; [unrolled: 1-line block ×4, first 2 shown]
	v_subrev_u32_e32 v10, 19, v8
	s_waitcnt vmcnt(0)
	v_fmac_f32_e32 v26, v32, v44
	v_fmac_f32_e32 v22, v33, v44
	v_fma_f32 v7, -v33, v45, v26
	v_fmac_f32_e32 v22, v32, v45
	global_load_dwordx4 v[12:15], v[34:35], off
	global_load_dwordx4 v[30:33], v[34:35], off offset:16
	v_fmac_f32_e32 v21, v41, v44
	v_fmac_f32_e32 v23, v42, v44
	;; [unrolled: 1-line block ×4, first 2 shown]
	v_fma_f32 v40, -v43, v45, v23
	v_fma_f32 v41, -v41, v45, v25
	v_fmac_f32_e32 v18, v43, v44
	v_fmac_f32_e32 v18, v42, v45
	s_waitcnt vmcnt(1)
	v_fmac_f32_e32 v24, v12, v44
	v_fmac_f32_e32 v19, v13, v44
	v_fma_f32 v16, -v13, v45, v24
	v_fmac_f32_e32 v19, v12, v45
	global_load_dwordx2 v[12:13], v[38:39], off
	s_waitcnt vmcnt(0)
	v_fmac_f32_e32 v16, v14, v12
	v_fmac_f32_e32 v19, v15, v12
	v_fma_f32 v46, -v15, v13, v16
	v_fmac_f32_e32 v19, v14, v13
	v_lshlrev_b64 v[14:15], 3, v[10:11]
	v_add_u32_e32 v10, -12, v8
	v_add_co_u32_e32 v14, vcc, s12, v14
	v_lshlrev_b64 v[16:17], 3, v[10:11]
	v_addc_co_u32_e32 v15, vcc, v28, v15, vcc
	v_add_u32_e32 v10, -5, v8
	v_add_co_u32_e32 v16, vcc, s12, v16
	v_lshlrev_b64 v[23:24], 3, v[10:11]
	v_addc_co_u32_e32 v17, vcc, v28, v17, vcc
	v_add_co_u32_e32 v23, vcc, s12, v23
	v_addc_co_u32_e32 v24, vcc, v28, v24, vcc
	global_load_dwordx2 v[25:26], v[14:15], off
	global_load_dwordx2 v[34:35], v[16:17], off
	;; [unrolled: 1-line block ×3, first 2 shown]
	v_add_u32_e32 v10, 2, v9
	v_lshlrev_b64 v[14:15], 3, v[10:11]
	v_subrev_u32_e32 v10, 18, v8
	v_add_co_u32_e32 v14, vcc, s14, v14
	v_addc_co_u32_e32 v15, vcc, v29, v15, vcc
	s_waitcnt vmcnt(2)
	v_fmac_f32_e32 v7, v25, v12
	v_fmac_f32_e32 v22, v26, v12
	s_waitcnt vmcnt(1)
	v_fmac_f32_e32 v41, v34, v12
	v_fmac_f32_e32 v21, v35, v12
	;; [unrolled: 3-line block ×3, first 2 shown]
	v_fma_f32 v7, -v26, v13, v7
	v_fmac_f32_e32 v22, v25, v13
	v_fma_f32 v47, -v35, v13, v41
	v_fmac_f32_e32 v21, v34, v13
	;; [unrolled: 2-line block ×3, first 2 shown]
	v_lshlrev_b64 v[12:13], 3, v[10:11]
	v_add_u32_e32 v10, -11, v8
	v_add_co_u32_e32 v12, vcc, s12, v12
	v_lshlrev_b64 v[16:17], 3, v[10:11]
	v_addc_co_u32_e32 v13, vcc, v28, v13, vcc
	v_add_u32_e32 v10, -4, v8
	v_add_co_u32_e32 v16, vcc, s12, v16
	v_lshlrev_b64 v[23:24], 3, v[10:11]
	v_addc_co_u32_e32 v17, vcc, v28, v17, vcc
	v_add_u32_e32 v10, 3, v9
	v_add_co_u32_e32 v23, vcc, s12, v23
	v_lshlrev_b64 v[25:26], 3, v[10:11]
	v_addc_co_u32_e32 v24, vcc, v28, v24, vcc
	v_add_co_u32_e32 v25, vcc, s14, v25
	v_addc_co_u32_e32 v26, vcc, v29, v26, vcc
	global_load_dwordx2 v[38:39], v[14:15], off
	global_load_dwordx2 v[40:41], v[12:13], off
	;; [unrolled: 1-line block ×4, first 2 shown]
	v_subrev_u32_e32 v10, 17, v8
	global_load_dwordx2 v[14:15], v[25:26], off
	v_lshlrev_b64 v[34:35], 3, v[10:11]
	v_add_u32_e32 v10, -10, v8
	v_add_co_u32_e32 v34, vcc, s12, v34
	v_lshlrev_b64 v[12:13], 3, v[10:11]
	v_addc_co_u32_e32 v35, vcc, v28, v35, vcc
	v_add_u32_e32 v10, -3, v8
	v_add_co_u32_e32 v12, vcc, s12, v12
	v_addc_co_u32_e32 v13, vcc, v28, v13, vcc
	s_waitcnt vmcnt(4)
	v_fmac_f32_e32 v46, v30, v38
	v_fma_f32 v16, -v31, v39, v46
	v_fmac_f32_e32 v19, v31, v38
	s_waitcnt vmcnt(1)
	v_fmac_f32_e32 v18, v45, v38
	v_fmac_f32_e32 v48, v44, v38
	s_waitcnt vmcnt(0)
	v_fmac_f32_e32 v16, v32, v14
	v_fmac_f32_e32 v18, v44, v39
	v_fma_f32 v44, -v33, v15, v16
	v_lshlrev_b64 v[16:17], 3, v[10:11]
	v_subrev_u32_e32 v10, 23, v8
	v_add_co_u32_e32 v16, vcc, s12, v16
	v_lshlrev_b64 v[23:24], 3, v[10:11]
	v_fmac_f32_e32 v19, v30, v39
	v_addc_co_u32_e32 v17, vcc, v28, v17, vcc
	v_fmac_f32_e32 v7, v40, v38
	v_fmac_f32_e32 v22, v41, v38
	;; [unrolled: 1-line block ×5, first 2 shown]
	v_add_co_u32_e32 v23, vcc, s12, v23
	v_fma_f32 v7, -v41, v39, v7
	v_fmac_f32_e32 v22, v40, v39
	v_fma_f32 v43, -v43, v39, v47
	v_fmac_f32_e32 v21, v42, v39
	;; [unrolled: 2-line block ×3, first 2 shown]
	v_addc_co_u32_e32 v24, vcc, v28, v24, vcc
	global_load_dwordx2 v[30:31], v[34:35], off
	global_load_dwordx2 v[32:33], v[12:13], off
	global_load_dwordx2 v[38:39], v[16:17], off
	global_load_dwordx2 v[40:41], v[23:24], off
	v_add_u32_e32 v10, 4, v9
	v_lshlrev_b64 v[25:26], 3, v[10:11]
	v_add_u32_e32 v10, -16, v8
	v_add_co_u32_e32 v25, vcc, s14, v25
	v_addc_co_u32_e32 v26, vcc, v29, v26, vcc
	global_load_dwordx2 v[25:26], v[25:26], off
	v_lshlrev_b64 v[12:13], 3, v[10:11]
	v_add_u32_e32 v10, -9, v8
	v_add_co_u32_e32 v12, vcc, s12, v12
	v_addc_co_u32_e32 v13, vcc, v28, v13, vcc
	s_waitcnt vmcnt(4)
	v_fmac_f32_e32 v7, v30, v14
	v_fmac_f32_e32 v22, v31, v14
	s_waitcnt vmcnt(3)
	v_fmac_f32_e32 v43, v32, v14
	v_fmac_f32_e32 v21, v33, v14
	s_waitcnt vmcnt(2)
	v_fmac_f32_e32 v42, v38, v14
	v_fmac_f32_e32 v18, v39, v14
	v_fma_f32 v7, -v31, v15, v7
	v_fmac_f32_e32 v22, v30, v15
	v_fma_f32 v43, -v33, v15, v43
	v_fmac_f32_e32 v21, v32, v15
	;; [unrolled: 2-line block ×3, first 2 shown]
	v_lshlrev_b64 v[14:15], 3, v[10:11]
	v_add_u32_e32 v10, -2, v8
	v_add_co_u32_e32 v14, vcc, s12, v14
	v_lshlrev_b64 v[16:17], 3, v[10:11]
	v_addc_co_u32_e32 v15, vcc, v28, v15, vcc
	v_subrev_u32_e32 v10, 22, v8
	v_add_co_u32_e32 v16, vcc, s12, v16
	v_lshlrev_b64 v[23:24], 3, v[10:11]
	v_addc_co_u32_e32 v17, vcc, v28, v17, vcc
	v_add_u32_e32 v10, 5, v9
	v_add_co_u32_e32 v23, vcc, s12, v23
	v_lshlrev_b64 v[30:31], 3, v[10:11]
	v_addc_co_u32_e32 v24, vcc, v28, v24, vcc
	v_add_co_u32_e32 v30, vcc, s14, v30
	v_addc_co_u32_e32 v31, vcc, v29, v31, vcc
	s_waitcnt vmcnt(0)
	v_fmac_f32_e32 v44, v40, v25
	v_fmac_f32_e32 v19, v41, v25
	v_fma_f32 v44, -v41, v26, v44
	v_fmac_f32_e32 v19, v40, v26
	global_load_dwordx2 v[32:33], v[12:13], off
	global_load_dwordx2 v[34:35], v[14:15], off
	;; [unrolled: 1-line block ×4, first 2 shown]
	v_add_u32_e32 v10, -15, v8
	global_load_dwordx2 v[30:31], v[30:31], off
	v_lshlrev_b64 v[12:13], 3, v[10:11]
	v_add_u32_e32 v10, -8, v8
	v_lshlrev_b64 v[14:15], 3, v[10:11]
	v_add_co_u32_e32 v12, vcc, s12, v12
	v_add_u32_e32 v10, -1, v8
	v_addc_co_u32_e32 v13, vcc, v28, v13, vcc
	v_add_co_u32_e32 v14, vcc, s12, v14
	v_lshlrev_b64 v[16:17], 3, v[10:11]
	v_addc_co_u32_e32 v15, vcc, v28, v15, vcc
	v_subrev_u32_e32 v10, 21, v8
	v_lshlrev_b64 v[23:24], 3, v[10:11]
	v_add_co_u32_e32 v16, vcc, s12, v16
	v_addc_co_u32_e32 v17, vcc, v28, v17, vcc
	v_add_co_u32_e32 v23, vcc, s12, v23
	v_addc_co_u32_e32 v24, vcc, v28, v24, vcc
	v_add_u32_e32 v10, 6, v9
	v_lshlrev_b64 v[9:10], 3, v[10:11]
	s_waitcnt vmcnt(4)
	v_fmac_f32_e32 v7, v32, v25
	s_waitcnt vmcnt(3)
	v_fmac_f32_e32 v43, v34, v25
	v_fmac_f32_e32 v21, v35, v25
	s_waitcnt vmcnt(2)
	v_fmac_f32_e32 v42, v38, v25
	v_fmac_f32_e32 v18, v39, v25
	s_waitcnt vmcnt(0)
	v_fmac_f32_e32 v44, v40, v30
	v_fmac_f32_e32 v19, v41, v30
	v_fma_f32 v45, -v35, v26, v43
	v_fmac_f32_e32 v21, v34, v26
	v_fma_f32 v46, -v39, v26, v42
	;; [unrolled: 2-line block ×3, first 2 shown]
	v_fmac_f32_e32 v19, v40, v31
	global_load_dwordx2 v[34:35], v[12:13], off
	global_load_dwordx2 v[38:39], v[14:15], off
	;; [unrolled: 1-line block ×4, first 2 shown]
	v_fmac_f32_e32 v22, v33, v25
	v_add_co_u32_e32 v25, vcc, s14, v9
	v_fma_f32 v7, -v33, v26, v7
	v_fmac_f32_e32 v22, v32, v26
	v_addc_co_u32_e32 v26, vcc, v29, v10, vcc
	v_add_u32_e32 v10, -14, v8
	v_lshlrev_b64 v[9:10], 3, v[10:11]
	v_add_co_u32_e32 v32, vcc, s12, v9
	v_addc_co_u32_e32 v33, vcc, v28, v10, vcc
	v_add_u32_e32 v10, -7, v8
	v_lshlrev_b64 v[9:10], 3, v[10:11]
	v_add_u32_e32 v8, 0x70, v8
	v_add_co_u32_e32 v9, vcc, s12, v9
	v_addc_co_u32_e32 v10, vcc, v28, v10, vcc
	v_cmp_ge_i32_e32 vcc, v6, v20
	s_or_b64 s[0:1], vcc, s[0:1]
	s_waitcnt vmcnt(3)
	v_fmac_f32_e32 v7, v34, v30
	v_fmac_f32_e32 v22, v35, v30
	v_fma_f32 v7, -v35, v31, v7
	v_fmac_f32_e32 v22, v34, v31
	global_load_dwordx2 v[12:13], v[25:26], off
	global_load_dwordx2 v[14:15], v[32:33], off
	;; [unrolled: 1-line block ×4, first 2 shown]
	s_waitcnt vmcnt(6)
	v_fmac_f32_e32 v45, v38, v30
	v_fmac_f32_e32 v21, v39, v30
	s_waitcnt vmcnt(5)
	v_fmac_f32_e32 v46, v40, v30
	v_fmac_f32_e32 v18, v41, v30
	v_fma_f32 v23, -v39, v31, v45
	v_fmac_f32_e32 v21, v38, v31
	v_fma_f32 v9, -v41, v31, v46
	v_fmac_f32_e32 v18, v40, v31
	s_waitcnt vmcnt(3)
	v_fmac_f32_e32 v44, v42, v12
	v_fmac_f32_e32 v19, v43, v12
	s_waitcnt vmcnt(2)
	v_fmac_f32_e32 v7, v14, v12
	;; [unrolled: 3-line block ×4, first 2 shown]
	v_fmac_f32_e32 v18, v35, v12
	v_fma_f32 v24, -v43, v13, v44
	v_fmac_f32_e32 v19, v42, v13
	v_fma_f32 v26, -v15, v13, v7
	;; [unrolled: 2-line block ×4, first 2 shown]
	v_fmac_f32_e32 v18, v34, v13
	s_andn2_b64 exec, exec, s[0:1]
	s_cbranch_execnz .LBB99_13
; %bb.14:
	s_or_b64 exec, exec, s[0:1]
.LBB99_15:
	s_or_b64 exec, exec, s[6:7]
.LBB99_16:
	v_mov_b32_dpp v10, v26 row_shr:1 row_mask:0xf bank_mask:0xf
	v_add_f32_e32 v11, v26, v10
	v_mov_b32_dpp v8, v19 row_shr:1 row_mask:0xf bank_mask:0xf
	v_mov_b32_dpp v10, v22 row_shr:1 row_mask:0xf bank_mask:0xf
	v_add_f32_e32 v14, v22, v10
	v_add_f32_e32 v8, v19, v8
	v_mov_b32_dpp v10, v25 row_shr:1 row_mask:0xf bank_mask:0xf
	v_add_f32_e32 v16, v25, v10
	v_mov_b32_dpp v6, v24 row_shr:1 row_mask:0xf bank_mask:0xf
	v_mov_b32_dpp v10, v21 row_shr:1 row_mask:0xf bank_mask:0xf
	v_add_f32_e32 v19, v21, v10
	v_add_f32_e32 v6, v24, v6
	v_mov_b32_dpp v10, v23 row_shr:1 row_mask:0xf bank_mask:0xf
	v_add_f32_e32 v21, v23, v10
	v_mov_b32_dpp v7, v6 row_shr:2 row_mask:0xf bank_mask:0xf
	v_mov_b32_dpp v10, v18 row_shr:1 row_mask:0xf bank_mask:0xf
	v_add_f32_e32 v18, v18, v10
	v_mov_b32_dpp v9, v8 row_shr:2 row_mask:0xf bank_mask:0xf
	v_mov_b32_dpp v13, v11 row_shr:2 row_mask:0xf bank_mask:0xf
	;; [unrolled: 1-line block ×7, first 2 shown]
	v_cmp_eq_u32_e32 vcc, 3, v0
	s_and_b64 exec, exec, vcc
	s_cbranch_execz .LBB99_21
; %bb.17:
	s_load_dwordx2 s[2:3], s[4:5], 0x38
	v_cmp_eq_f32_e32 vcc, 0, v3
	v_cmp_eq_f32_e64 s[0:1], 0, v4
	v_add_f32_e32 v10, v6, v7
	v_add_f32_e32 v12, v8, v9
	;; [unrolled: 1-line block ×8, first 2 shown]
	s_and_b64 s[0:1], vcc, s[0:1]
	s_and_saveexec_b64 s[4:5], s[0:1]
	s_xor_b64 s[0:1], exec, s[4:5]
	s_cbranch_execz .LBB99_19
; %bb.18:
	v_lshlrev_b32_e32 v3, 2, v5
	v_ashrrev_i32_e32 v4, 31, v3
	v_lshlrev_b64 v[3:4], 3, v[3:4]
	s_waitcnt lgkmcnt(0)
	v_mov_b32_e32 v5, s3
	v_add_co_u32_e32 v17, vcc, s2, v3
	v_addc_co_u32_e32 v18, vcc, v5, v4, vcc
	v_mul_f32_e64 v3, v9, -v2
	v_mul_f32_e32 v4, v1, v9
	v_mul_f32_e64 v13, v12, -v2
	v_mul_f32_e32 v14, v1, v12
	;; [unrolled: 2-line block ×3, first 2 shown]
	v_fmac_f32_e32 v3, v1, v6
	v_fmac_f32_e32 v4, v2, v6
	v_mul_f32_e64 v5, v7, -v2
	v_mul_f32_e32 v6, v1, v7
	v_fmac_f32_e32 v13, v1, v10
	v_fmac_f32_e32 v14, v2, v10
	;; [unrolled: 1-line block ×6, first 2 shown]
	global_store_dwordx4 v[17:18], v[13:16], off
	global_store_dwordx4 v[17:18], v[3:6], off offset:16
                                        ; implicit-def: $vgpr5
                                        ; implicit-def: $vgpr10
                                        ; implicit-def: $vgpr12
                                        ; implicit-def: $vgpr8
                                        ; implicit-def: $vgpr11
                                        ; implicit-def: $vgpr6
                                        ; implicit-def: $vgpr9
                                        ; implicit-def: $vgpr0
                                        ; implicit-def: $vgpr7
                                        ; implicit-def: $vgpr1_vgpr2
                                        ; implicit-def: $vgpr3_vgpr4
.LBB99_19:
	s_andn2_saveexec_b64 s[0:1], s[0:1]
	s_cbranch_execz .LBB99_21
; %bb.20:
	v_lshlrev_b32_e32 v13, 2, v5
	v_ashrrev_i32_e32 v14, 31, v13
	v_lshlrev_b64 v[13:14], 3, v[13:14]
	s_waitcnt lgkmcnt(0)
	v_mov_b32_e32 v5, s3
	v_add_co_u32_e32 v25, vcc, s2, v13
	v_addc_co_u32_e32 v26, vcc, v5, v14, vcc
	global_load_dwordx4 v[13:16], v[25:26], off
	global_load_dwordx4 v[17:20], v[25:26], off offset:16
	v_mul_f32_e64 v5, v12, -v2
	v_mul_f32_e32 v22, v1, v12
	v_mul_f32_e64 v12, v11, -v2
	v_mul_f32_e32 v24, v1, v11
	;; [unrolled: 2-line block ×4, first 2 shown]
	v_fmac_f32_e32 v5, v1, v10
	v_fmac_f32_e32 v22, v2, v10
	v_fmac_f32_e32 v12, v1, v8
	v_fmac_f32_e32 v24, v2, v8
	v_fmac_f32_e32 v27, v1, v6
	v_fmac_f32_e32 v9, v2, v6
	v_fmac_f32_e32 v28, v1, v0
	v_fmac_f32_e32 v11, v2, v0
	s_waitcnt vmcnt(1)
	v_fmac_f32_e32 v5, v3, v13
	v_fmac_f32_e32 v22, v4, v13
	;; [unrolled: 1-line block ×4, first 2 shown]
	s_waitcnt vmcnt(0)
	v_fmac_f32_e32 v27, v3, v17
	v_fmac_f32_e32 v9, v4, v17
	v_fmac_f32_e32 v28, v3, v19
	v_fmac_f32_e32 v11, v4, v19
	v_fma_f32 v21, -v4, v14, v5
	v_fmac_f32_e32 v22, v3, v14
	v_fma_f32 v23, -v4, v16, v12
	v_fmac_f32_e32 v24, v3, v16
	;; [unrolled: 2-line block ×4, first 2 shown]
	global_store_dwordx4 v[25:26], v[21:24], off
	global_store_dwordx4 v[25:26], v[8:11], off offset:16
.LBB99_21:
	s_endpgm
	.section	.rodata,"a",@progbits
	.p2align	6, 0x0
	.amdhsa_kernel _ZN9rocsparseL19gebsrmvn_4xn_kernelILj128ELj7ELj4E21rocsparse_complex_numIfEEEvi20rocsparse_direction_NS_24const_host_device_scalarIT2_EEPKiS8_PKS5_SA_S6_PS5_21rocsparse_index_base_b
		.amdhsa_group_segment_fixed_size 0
		.amdhsa_private_segment_fixed_size 0
		.amdhsa_kernarg_size 72
		.amdhsa_user_sgpr_count 6
		.amdhsa_user_sgpr_private_segment_buffer 1
		.amdhsa_user_sgpr_dispatch_ptr 0
		.amdhsa_user_sgpr_queue_ptr 0
		.amdhsa_user_sgpr_kernarg_segment_ptr 1
		.amdhsa_user_sgpr_dispatch_id 0
		.amdhsa_user_sgpr_flat_scratch_init 0
		.amdhsa_user_sgpr_private_segment_size 0
		.amdhsa_uses_dynamic_stack 0
		.amdhsa_system_sgpr_private_segment_wavefront_offset 0
		.amdhsa_system_sgpr_workgroup_id_x 1
		.amdhsa_system_sgpr_workgroup_id_y 0
		.amdhsa_system_sgpr_workgroup_id_z 0
		.amdhsa_system_sgpr_workgroup_info 0
		.amdhsa_system_vgpr_workitem_id 0
		.amdhsa_next_free_vgpr 54
		.amdhsa_next_free_sgpr 16
		.amdhsa_reserve_vcc 1
		.amdhsa_reserve_flat_scratch 0
		.amdhsa_float_round_mode_32 0
		.amdhsa_float_round_mode_16_64 0
		.amdhsa_float_denorm_mode_32 3
		.amdhsa_float_denorm_mode_16_64 3
		.amdhsa_dx10_clamp 1
		.amdhsa_ieee_mode 1
		.amdhsa_fp16_overflow 0
		.amdhsa_exception_fp_ieee_invalid_op 0
		.amdhsa_exception_fp_denorm_src 0
		.amdhsa_exception_fp_ieee_div_zero 0
		.amdhsa_exception_fp_ieee_overflow 0
		.amdhsa_exception_fp_ieee_underflow 0
		.amdhsa_exception_fp_ieee_inexact 0
		.amdhsa_exception_int_div_zero 0
	.end_amdhsa_kernel
	.section	.text._ZN9rocsparseL19gebsrmvn_4xn_kernelILj128ELj7ELj4E21rocsparse_complex_numIfEEEvi20rocsparse_direction_NS_24const_host_device_scalarIT2_EEPKiS8_PKS5_SA_S6_PS5_21rocsparse_index_base_b,"axG",@progbits,_ZN9rocsparseL19gebsrmvn_4xn_kernelILj128ELj7ELj4E21rocsparse_complex_numIfEEEvi20rocsparse_direction_NS_24const_host_device_scalarIT2_EEPKiS8_PKS5_SA_S6_PS5_21rocsparse_index_base_b,comdat
.Lfunc_end99:
	.size	_ZN9rocsparseL19gebsrmvn_4xn_kernelILj128ELj7ELj4E21rocsparse_complex_numIfEEEvi20rocsparse_direction_NS_24const_host_device_scalarIT2_EEPKiS8_PKS5_SA_S6_PS5_21rocsparse_index_base_b, .Lfunc_end99-_ZN9rocsparseL19gebsrmvn_4xn_kernelILj128ELj7ELj4E21rocsparse_complex_numIfEEEvi20rocsparse_direction_NS_24const_host_device_scalarIT2_EEPKiS8_PKS5_SA_S6_PS5_21rocsparse_index_base_b
                                        ; -- End function
	.set _ZN9rocsparseL19gebsrmvn_4xn_kernelILj128ELj7ELj4E21rocsparse_complex_numIfEEEvi20rocsparse_direction_NS_24const_host_device_scalarIT2_EEPKiS8_PKS5_SA_S6_PS5_21rocsparse_index_base_b.num_vgpr, 54
	.set _ZN9rocsparseL19gebsrmvn_4xn_kernelILj128ELj7ELj4E21rocsparse_complex_numIfEEEvi20rocsparse_direction_NS_24const_host_device_scalarIT2_EEPKiS8_PKS5_SA_S6_PS5_21rocsparse_index_base_b.num_agpr, 0
	.set _ZN9rocsparseL19gebsrmvn_4xn_kernelILj128ELj7ELj4E21rocsparse_complex_numIfEEEvi20rocsparse_direction_NS_24const_host_device_scalarIT2_EEPKiS8_PKS5_SA_S6_PS5_21rocsparse_index_base_b.numbered_sgpr, 16
	.set _ZN9rocsparseL19gebsrmvn_4xn_kernelILj128ELj7ELj4E21rocsparse_complex_numIfEEEvi20rocsparse_direction_NS_24const_host_device_scalarIT2_EEPKiS8_PKS5_SA_S6_PS5_21rocsparse_index_base_b.num_named_barrier, 0
	.set _ZN9rocsparseL19gebsrmvn_4xn_kernelILj128ELj7ELj4E21rocsparse_complex_numIfEEEvi20rocsparse_direction_NS_24const_host_device_scalarIT2_EEPKiS8_PKS5_SA_S6_PS5_21rocsparse_index_base_b.private_seg_size, 0
	.set _ZN9rocsparseL19gebsrmvn_4xn_kernelILj128ELj7ELj4E21rocsparse_complex_numIfEEEvi20rocsparse_direction_NS_24const_host_device_scalarIT2_EEPKiS8_PKS5_SA_S6_PS5_21rocsparse_index_base_b.uses_vcc, 1
	.set _ZN9rocsparseL19gebsrmvn_4xn_kernelILj128ELj7ELj4E21rocsparse_complex_numIfEEEvi20rocsparse_direction_NS_24const_host_device_scalarIT2_EEPKiS8_PKS5_SA_S6_PS5_21rocsparse_index_base_b.uses_flat_scratch, 0
	.set _ZN9rocsparseL19gebsrmvn_4xn_kernelILj128ELj7ELj4E21rocsparse_complex_numIfEEEvi20rocsparse_direction_NS_24const_host_device_scalarIT2_EEPKiS8_PKS5_SA_S6_PS5_21rocsparse_index_base_b.has_dyn_sized_stack, 0
	.set _ZN9rocsparseL19gebsrmvn_4xn_kernelILj128ELj7ELj4E21rocsparse_complex_numIfEEEvi20rocsparse_direction_NS_24const_host_device_scalarIT2_EEPKiS8_PKS5_SA_S6_PS5_21rocsparse_index_base_b.has_recursion, 0
	.set _ZN9rocsparseL19gebsrmvn_4xn_kernelILj128ELj7ELj4E21rocsparse_complex_numIfEEEvi20rocsparse_direction_NS_24const_host_device_scalarIT2_EEPKiS8_PKS5_SA_S6_PS5_21rocsparse_index_base_b.has_indirect_call, 0
	.section	.AMDGPU.csdata,"",@progbits
; Kernel info:
; codeLenInByte = 3872
; TotalNumSgprs: 20
; NumVgprs: 54
; ScratchSize: 0
; MemoryBound: 0
; FloatMode: 240
; IeeeMode: 1
; LDSByteSize: 0 bytes/workgroup (compile time only)
; SGPRBlocks: 2
; VGPRBlocks: 13
; NumSGPRsForWavesPerEU: 20
; NumVGPRsForWavesPerEU: 54
; Occupancy: 4
; WaveLimiterHint : 1
; COMPUTE_PGM_RSRC2:SCRATCH_EN: 0
; COMPUTE_PGM_RSRC2:USER_SGPR: 6
; COMPUTE_PGM_RSRC2:TRAP_HANDLER: 0
; COMPUTE_PGM_RSRC2:TGID_X_EN: 1
; COMPUTE_PGM_RSRC2:TGID_Y_EN: 0
; COMPUTE_PGM_RSRC2:TGID_Z_EN: 0
; COMPUTE_PGM_RSRC2:TIDIG_COMP_CNT: 0
	.section	.text._ZN9rocsparseL19gebsrmvn_4xn_kernelILj128ELj7ELj8E21rocsparse_complex_numIfEEEvi20rocsparse_direction_NS_24const_host_device_scalarIT2_EEPKiS8_PKS5_SA_S6_PS5_21rocsparse_index_base_b,"axG",@progbits,_ZN9rocsparseL19gebsrmvn_4xn_kernelILj128ELj7ELj8E21rocsparse_complex_numIfEEEvi20rocsparse_direction_NS_24const_host_device_scalarIT2_EEPKiS8_PKS5_SA_S6_PS5_21rocsparse_index_base_b,comdat
	.globl	_ZN9rocsparseL19gebsrmvn_4xn_kernelILj128ELj7ELj8E21rocsparse_complex_numIfEEEvi20rocsparse_direction_NS_24const_host_device_scalarIT2_EEPKiS8_PKS5_SA_S6_PS5_21rocsparse_index_base_b ; -- Begin function _ZN9rocsparseL19gebsrmvn_4xn_kernelILj128ELj7ELj8E21rocsparse_complex_numIfEEEvi20rocsparse_direction_NS_24const_host_device_scalarIT2_EEPKiS8_PKS5_SA_S6_PS5_21rocsparse_index_base_b
	.p2align	8
	.type	_ZN9rocsparseL19gebsrmvn_4xn_kernelILj128ELj7ELj8E21rocsparse_complex_numIfEEEvi20rocsparse_direction_NS_24const_host_device_scalarIT2_EEPKiS8_PKS5_SA_S6_PS5_21rocsparse_index_base_b,@function
_ZN9rocsparseL19gebsrmvn_4xn_kernelILj128ELj7ELj8E21rocsparse_complex_numIfEEEvi20rocsparse_direction_NS_24const_host_device_scalarIT2_EEPKiS8_PKS5_SA_S6_PS5_21rocsparse_index_base_b: ; @_ZN9rocsparseL19gebsrmvn_4xn_kernelILj128ELj7ELj8E21rocsparse_complex_numIfEEEvi20rocsparse_direction_NS_24const_host_device_scalarIT2_EEPKiS8_PKS5_SA_S6_PS5_21rocsparse_index_base_b
; %bb.0:
	s_load_dwordx2 s[0:1], s[4:5], 0x8
	s_load_dwordx2 s[8:9], s[4:5], 0x30
	;; [unrolled: 1-line block ×3, first 2 shown]
	s_add_u32 s7, s4, 8
	s_addc_u32 s10, s5, 0
	s_add_u32 s11, s4, 48
	s_addc_u32 s12, s5, 0
	s_waitcnt lgkmcnt(0)
	s_bitcmp1_b32 s3, 0
	s_cselect_b32 s1, s10, s1
	s_cselect_b32 s0, s7, s0
	v_mov_b32_e32 v1, s0
	v_mov_b32_e32 v2, s1
	flat_load_dwordx2 v[1:2], v[1:2]
	s_cselect_b32 s0, s12, s9
	s_cselect_b32 s1, s11, s8
	v_mov_b32_e32 v3, s1
	v_mov_b32_e32 v4, s0
	flat_load_dwordx2 v[3:4], v[3:4]
	s_waitcnt vmcnt(0) lgkmcnt(0)
	v_cmp_eq_f32_e32 vcc, 0, v1
	v_cmp_eq_f32_e64 s[0:1], 0, v2
	s_and_b64 s[10:11], vcc, s[0:1]
	s_mov_b64 s[0:1], -1
	s_and_saveexec_b64 s[8:9], s[10:11]
; %bb.1:
	v_cmp_neq_f32_e32 vcc, 1.0, v3
	v_cmp_neq_f32_e64 s[0:1], 0, v4
	s_or_b64 s[0:1], vcc, s[0:1]
	s_orn2_b64 s[0:1], s[0:1], exec
; %bb.2:
	s_or_b64 exec, exec, s[8:9]
	s_and_saveexec_b64 s[8:9], s[0:1]
	s_cbranch_execz .LBB100_21
; %bb.3:
	s_load_dwordx2 s[0:1], s[4:5], 0x0
	v_lshrrev_b32_e32 v5, 3, v0
	v_lshl_or_b32 v5, s6, 4, v5
	s_waitcnt lgkmcnt(0)
	v_cmp_gt_i32_e32 vcc, s0, v5
	s_and_b64 exec, exec, vcc
	s_cbranch_execz .LBB100_21
; %bb.4:
	s_load_dwordx8 s[8:15], s[4:5], 0x10
	v_ashrrev_i32_e32 v6, 31, v5
	v_lshlrev_b64 v[6:7], 2, v[5:6]
	v_and_b32_e32 v0, 7, v0
	s_cmp_lg_u32 s1, 0
	s_waitcnt lgkmcnt(0)
	v_mov_b32_e32 v8, s9
	v_add_co_u32_e32 v6, vcc, s8, v6
	v_addc_co_u32_e32 v7, vcc, v8, v7, vcc
	global_load_dwordx2 v[6:7], v[6:7], off
	s_waitcnt vmcnt(0)
	v_subrev_u32_e32 v6, s2, v6
	v_subrev_u32_e32 v21, s2, v7
	v_add_u32_e32 v6, v6, v0
	v_cmp_lt_i32_e64 s[0:1], v6, v21
	s_cbranch_scc0 .LBB100_10
; %bb.5:
	v_mov_b32_e32 v19, 0
	v_mov_b32_e32 v24, 0
	;; [unrolled: 1-line block ×8, first 2 shown]
	s_and_saveexec_b64 s[6:7], s[0:1]
	s_cbranch_execz .LBB100_9
; %bb.6:
	v_mad_u64_u32 v[7:8], s[8:9], v6, 28, 24
	v_mov_b32_e32 v10, 0
	s_mov_b64 s[8:9], 0
	v_mov_b32_e32 v13, s11
	v_mov_b32_e32 v14, s13
	;; [unrolled: 1-line block ×12, first 2 shown]
.LBB100_7:                              ; =>This Inner Loop Header: Depth=1
	v_ashrrev_i32_e32 v12, 31, v11
	v_lshlrev_b64 v[27:28], 2, v[11:12]
	v_subrev_u32_e32 v9, 24, v7
	v_lshlrev_b64 v[29:30], 3, v[9:10]
	v_add_co_u32_e32 v35, vcc, s10, v27
	v_mov_b32_e32 v8, v10
	v_addc_co_u32_e32 v36, vcc, v13, v28, vcc
	v_lshlrev_b64 v[31:32], 3, v[7:8]
	v_add_co_u32_e32 v37, vcc, s12, v29
	v_addc_co_u32_e32 v38, vcc, v14, v30, vcc
	v_add_co_u32_e32 v43, vcc, s12, v31
	v_addc_co_u32_e32 v44, vcc, v14, v32, vcc
	global_load_dword v12, v[35:36], off
	global_load_dwordx4 v[27:30], v[37:38], off
	global_load_dwordx4 v[31:34], v[37:38], off offset:16
	v_subrev_u32_e32 v9, 20, v7
	v_lshlrev_b64 v[8:9], 3, v[9:10]
	v_mov_b32_e32 v17, v10
	v_add_co_u32_e32 v8, vcc, s12, v8
	global_load_dwordx4 v[35:38], v[43:44], off
	global_load_dwordx4 v[39:42], v[43:44], off offset:16
	v_addc_co_u32_e32 v9, vcc, v14, v9, vcc
	v_add_u32_e32 v11, 8, v11
	s_waitcnt vmcnt(4)
	v_subrev_u32_e32 v12, s2, v12
	v_mul_lo_u32 v16, v12, 7
	v_lshlrev_b64 v[43:44], 3, v[16:17]
	v_add_co_u32_e32 v47, vcc, s14, v43
	v_addc_co_u32_e32 v48, vcc, v15, v44, vcc
	global_load_dwordx4 v[43:46], v[8:9], off
	global_load_dwordx2 v[49:50], v[47:48], off
	s_waitcnt vmcnt(0)
	v_fmac_f32_e32 v24, v27, v49
	v_fmac_f32_e32 v19, v28, v49
	v_fmac_f32_e32 v26, v29, v49
	v_fmac_f32_e32 v22, v30, v49
	v_fma_f32 v12, -v28, v50, v24
	v_fmac_f32_e32 v19, v27, v50
	v_fma_f32 v17, -v30, v50, v26
	v_fmac_f32_e32 v22, v29, v50
	global_load_dwordx4 v[26:29], v[8:9], off offset:16
	v_add_u32_e32 v9, 1, v16
	v_lshlrev_b64 v[47:48], 3, v[9:10]
	v_fmac_f32_e32 v20, v32, v49
	v_add_co_u32_e32 v30, vcc, s14, v47
	v_fmac_f32_e32 v25, v31, v49
	v_fmac_f32_e32 v20, v31, v50
	v_addc_co_u32_e32 v31, vcc, v15, v48, vcc
	global_load_dwordx2 v[47:48], v[30:31], off
	v_add_u32_e32 v9, -16, v7
	v_fmac_f32_e32 v23, v33, v49
	v_fma_f32 v8, -v32, v50, v25
	v_fma_f32 v25, -v34, v50, v23
	v_lshlrev_b64 v[23:24], 3, v[9:10]
	v_fmac_f32_e32 v18, v34, v49
	v_add_u32_e32 v9, 2, v16
	v_fmac_f32_e32 v18, v33, v50
	v_lshlrev_b64 v[32:33], 3, v[9:10]
	v_add_co_u32_e32 v23, vcc, s12, v23
	v_addc_co_u32_e32 v24, vcc, v14, v24, vcc
	v_add_co_u32_e32 v49, vcc, s14, v32
	v_addc_co_u32_e32 v50, vcc, v15, v33, vcc
	global_load_dwordx4 v[30:33], v[23:24], off
	v_add_u32_e32 v9, -12, v7
	v_lshlrev_b64 v[51:52], 3, v[9:10]
	v_add_u32_e32 v9, 3, v16
	s_waitcnt vmcnt(1)
	v_fmac_f32_e32 v12, v43, v47
	v_fmac_f32_e32 v19, v44, v47
	v_fma_f32 v12, -v44, v48, v12
	v_fmac_f32_e32 v19, v43, v48
	v_fmac_f32_e32 v20, v27, v47
	;; [unrolled: 1-line block ×3, first 2 shown]
	global_load_dwordx2 v[43:44], v[49:50], off
	v_fmac_f32_e32 v8, v26, v47
	v_fmac_f32_e32 v20, v26, v48
	v_fma_f32 v34, -v29, v48, v25
	global_load_dwordx4 v[23:26], v[23:24], off offset:16
	v_fmac_f32_e32 v22, v46, v47
	v_fmac_f32_e32 v18, v29, v47
	;; [unrolled: 1-line block ×4, first 2 shown]
	v_fma_f32 v8, -v27, v48, v8
	v_fmac_f32_e32 v18, v28, v48
	v_lshlrev_b64 v[27:28], 3, v[9:10]
	v_add_co_u32_e32 v45, vcc, s12, v51
	v_fma_f32 v17, -v46, v48, v17
	v_addc_co_u32_e32 v46, vcc, v14, v52, vcc
	v_add_co_u32_e32 v47, vcc, s14, v27
	v_addc_co_u32_e32 v48, vcc, v15, v28, vcc
	v_add_u32_e32 v9, -8, v7
	v_lshlrev_b64 v[49:50], 3, v[9:10]
	v_add_u32_e32 v9, 4, v16
	s_waitcnt vmcnt(1)
	v_fmac_f32_e32 v19, v31, v43
	v_fmac_f32_e32 v12, v30, v43
	;; [unrolled: 1-line block ×4, first 2 shown]
	global_load_dwordx4 v[27:30], v[45:46], off
	s_waitcnt vmcnt(1)
	v_fmac_f32_e32 v8, v23, v43
	v_fmac_f32_e32 v20, v24, v43
	v_fmac_f32_e32 v34, v25, v43
	v_fmac_f32_e32 v18, v26, v43
	v_fmac_f32_e32 v22, v33, v43
	v_fma_f32 v17, -v33, v44, v17
	v_fma_f32 v8, -v24, v44, v8
	v_fmac_f32_e32 v20, v23, v44
	v_fma_f32 v51, -v26, v44, v34
	v_fmac_f32_e32 v18, v25, v44
	global_load_dwordx4 v[23:26], v[45:46], off offset:16
	global_load_dwordx2 v[33:34], v[47:48], off
	v_fma_f32 v12, -v31, v44, v12
	v_fmac_f32_e32 v22, v32, v44
	v_lshlrev_b64 v[31:32], 3, v[9:10]
	v_add_co_u32_e32 v43, vcc, s12, v49
	v_addc_co_u32_e32 v44, vcc, v14, v50, vcc
	v_add_u32_e32 v9, -4, v7
	v_add_co_u32_e32 v31, vcc, s14, v31
	v_addc_co_u32_e32 v32, vcc, v15, v32, vcc
	v_lshlrev_b64 v[45:46], 3, v[9:10]
	v_add_u32_e32 v9, 5, v16
	v_add_u32_e32 v7, 0xe0, v7
	s_waitcnt vmcnt(0)
	v_fmac_f32_e32 v12, v27, v33
	v_fmac_f32_e32 v19, v28, v33
	;; [unrolled: 1-line block ×8, first 2 shown]
	v_fma_f32 v12, -v28, v34, v12
	v_fmac_f32_e32 v19, v27, v34
	v_fma_f32 v47, -v30, v34, v17
	v_fmac_f32_e32 v22, v29, v34
	global_load_dwordx4 v[27:30], v[43:44], off
	v_fma_f32 v52, -v24, v34, v8
	v_fmac_f32_e32 v20, v23, v34
	v_fma_f32 v51, -v26, v34, v51
	v_fmac_f32_e32 v18, v25, v34
	v_lshlrev_b64 v[33:34], 3, v[9:10]
	v_add_u32_e32 v9, 6, v16
	global_load_dwordx2 v[16:17], v[31:32], off
	global_load_dwordx4 v[23:26], v[43:44], off offset:16
	v_add_co_u32_e32 v43, vcc, s12, v45
	v_addc_co_u32_e32 v44, vcc, v14, v46, vcc
	v_lshlrev_b64 v[8:9], 3, v[9:10]
	v_add_co_u32_e32 v45, vcc, s14, v33
	v_addc_co_u32_e32 v46, vcc, v15, v34, vcc
	v_add_co_u32_e32 v8, vcc, s14, v8
	v_addc_co_u32_e32 v9, vcc, v15, v9, vcc
	v_cmp_ge_i32_e32 vcc, v11, v21
	s_or_b64 s[8:9], vcc, s[8:9]
	s_waitcnt vmcnt(1)
	v_fmac_f32_e32 v12, v27, v16
	v_fmac_f32_e32 v19, v28, v16
	;; [unrolled: 1-line block ×4, first 2 shown]
	v_fma_f32 v12, -v28, v17, v12
	v_fmac_f32_e32 v19, v27, v17
	v_fma_f32 v53, -v30, v17, v47
	v_fmac_f32_e32 v22, v29, v17
	global_load_dwordx4 v[27:30], v[43:44], off
	global_load_dwordx4 v[31:34], v[43:44], off offset:16
	global_load_dwordx2 v[47:48], v[45:46], off
	global_load_dwordx2 v[49:50], v[8:9], off
	s_waitcnt vmcnt(4)
	v_fmac_f32_e32 v52, v23, v16
	v_fmac_f32_e32 v20, v24, v16
	v_fmac_f32_e32 v51, v25, v16
	v_fmac_f32_e32 v18, v26, v16
	v_fma_f32 v8, -v24, v17, v52
	v_fmac_f32_e32 v20, v23, v17
	v_fma_f32 v9, -v26, v17, v51
	v_fmac_f32_e32 v18, v25, v17
	s_waitcnt vmcnt(1)
	v_fmac_f32_e32 v8, v31, v47
	v_fmac_f32_e32 v12, v27, v47
	;; [unrolled: 1-line block ×8, first 2 shown]
	v_fma_f32 v12, -v28, v48, v12
	v_fmac_f32_e32 v19, v27, v48
	v_fma_f32 v16, -v30, v48, v53
	v_fmac_f32_e32 v22, v29, v48
	;; [unrolled: 2-line block ×4, first 2 shown]
	s_waitcnt vmcnt(0)
	v_fmac_f32_e32 v12, v35, v49
	v_fmac_f32_e32 v19, v36, v49
	;; [unrolled: 1-line block ×8, first 2 shown]
	v_fma_f32 v24, -v36, v50, v12
	v_fmac_f32_e32 v19, v35, v50
	v_fma_f32 v26, -v38, v50, v16
	v_fmac_f32_e32 v22, v37, v50
	;; [unrolled: 2-line block ×4, first 2 shown]
	s_andn2_b64 exec, exec, s[8:9]
	s_cbranch_execnz .LBB100_7
; %bb.8:
	s_or_b64 exec, exec, s[8:9]
.LBB100_9:
	s_or_b64 exec, exec, s[6:7]
	s_cbranch_execz .LBB100_11
	s_branch .LBB100_16
.LBB100_10:
                                        ; implicit-def: $vgpr19
                                        ; implicit-def: $vgpr24
                                        ; implicit-def: $vgpr23
                                        ; implicit-def: $vgpr18
                                        ; implicit-def: $vgpr25
                                        ; implicit-def: $vgpr20
                                        ; implicit-def: $vgpr26
                                        ; implicit-def: $vgpr22
.LBB100_11:
	v_mov_b32_e32 v19, 0
	v_mov_b32_e32 v24, 0
	;; [unrolled: 1-line block ×8, first 2 shown]
	s_and_saveexec_b64 s[6:7], s[0:1]
	s_cbranch_execz .LBB100_15
; %bb.12:
	v_mad_u64_u32 v[8:9], s[0:1], v6, 28, 27
	v_mov_b32_e32 v11, 0
	s_mov_b64 s[0:1], 0
	v_mov_b32_e32 v27, s11
	v_mov_b32_e32 v28, s13
	;; [unrolled: 1-line block ×11, first 2 shown]
.LBB100_13:                             ; =>This Inner Loop Header: Depth=1
	v_ashrrev_i32_e32 v7, 31, v6
	v_lshlrev_b64 v[30:31], 2, v[6:7]
	v_subrev_u32_e32 v10, 27, v8
	v_add_co_u32_e32 v30, vcc, s10, v30
	v_addc_co_u32_e32 v31, vcc, v27, v31, vcc
	global_load_dword v7, v[30:31], off
	v_lshlrev_b64 v[32:33], 3, v[10:11]
	v_subrev_u32_e32 v12, 20, v8
	v_mov_b32_e32 v13, v11
	v_lshlrev_b64 v[12:13], 3, v[12:13]
	v_add_co_u32_e32 v34, vcc, s12, v32
	v_add_u32_e32 v14, -13, v8
	v_mov_b32_e32 v15, v11
	v_addc_co_u32_e32 v35, vcc, v28, v33, vcc
	v_lshlrev_b64 v[14:15], 3, v[14:15]
	v_add_co_u32_e32 v12, vcc, s12, v12
	v_add_u32_e32 v16, -6, v8
	v_mov_b32_e32 v17, v11
	v_addc_co_u32_e32 v13, vcc, v28, v13, vcc
	v_lshlrev_b64 v[16:17], 3, v[16:17]
	v_add_co_u32_e32 v14, vcc, s12, v14
	v_mov_b32_e32 v9, v11
	v_addc_co_u32_e32 v15, vcc, v28, v15, vcc
	v_lshlrev_b64 v[9:10], 3, v[8:9]
	v_add_co_u32_e32 v16, vcc, s12, v16
	v_addc_co_u32_e32 v17, vcc, v28, v17, vcc
	v_add_co_u32_e32 v36, vcc, s12, v9
	v_addc_co_u32_e32 v37, vcc, v28, v10, vcc
	v_mov_b32_e32 v10, v11
	v_add_u32_e32 v6, 8, v6
	s_waitcnt vmcnt(0)
	v_subrev_u32_e32 v7, s2, v7
	v_mul_lo_u32 v9, v7, 7
	v_lshlrev_b64 v[30:31], 3, v[9:10]
	v_add_u32_e32 v10, 1, v9
	v_add_co_u32_e32 v30, vcc, s14, v30
	v_lshlrev_b64 v[32:33], 3, v[10:11]
	v_addc_co_u32_e32 v31, vcc, v29, v31, vcc
	v_add_co_u32_e32 v38, vcc, s14, v32
	v_addc_co_u32_e32 v39, vcc, v29, v33, vcc
	global_load_dwordx2 v[32:33], v[12:13], off
	global_load_dwordx2 v[40:41], v[14:15], off
	;; [unrolled: 1-line block ×4, first 2 shown]
	v_subrev_u32_e32 v10, 19, v8
	s_waitcnt vmcnt(0)
	v_fmac_f32_e32 v26, v32, v44
	v_fmac_f32_e32 v22, v33, v44
	v_fma_f32 v7, -v33, v45, v26
	v_fmac_f32_e32 v22, v32, v45
	global_load_dwordx4 v[12:15], v[34:35], off
	global_load_dwordx4 v[30:33], v[34:35], off offset:16
	v_fmac_f32_e32 v20, v41, v44
	v_fmac_f32_e32 v23, v42, v44
	;; [unrolled: 1-line block ×4, first 2 shown]
	v_fma_f32 v40, -v43, v45, v23
	v_fma_f32 v41, -v41, v45, v25
	v_fmac_f32_e32 v18, v43, v44
	v_fmac_f32_e32 v18, v42, v45
	s_waitcnt vmcnt(1)
	v_fmac_f32_e32 v24, v12, v44
	v_fmac_f32_e32 v19, v13, v44
	v_fma_f32 v16, -v13, v45, v24
	v_fmac_f32_e32 v19, v12, v45
	global_load_dwordx2 v[12:13], v[38:39], off
	s_waitcnt vmcnt(0)
	v_fmac_f32_e32 v16, v14, v12
	v_fmac_f32_e32 v19, v15, v12
	v_fma_f32 v46, -v15, v13, v16
	v_fmac_f32_e32 v19, v14, v13
	v_lshlrev_b64 v[14:15], 3, v[10:11]
	v_add_u32_e32 v10, -12, v8
	v_add_co_u32_e32 v14, vcc, s12, v14
	v_lshlrev_b64 v[16:17], 3, v[10:11]
	v_addc_co_u32_e32 v15, vcc, v28, v15, vcc
	v_add_u32_e32 v10, -5, v8
	v_add_co_u32_e32 v16, vcc, s12, v16
	v_lshlrev_b64 v[23:24], 3, v[10:11]
	v_addc_co_u32_e32 v17, vcc, v28, v17, vcc
	v_add_co_u32_e32 v23, vcc, s12, v23
	v_addc_co_u32_e32 v24, vcc, v28, v24, vcc
	global_load_dwordx2 v[25:26], v[14:15], off
	global_load_dwordx2 v[34:35], v[16:17], off
	;; [unrolled: 1-line block ×3, first 2 shown]
	v_add_u32_e32 v10, 2, v9
	v_lshlrev_b64 v[14:15], 3, v[10:11]
	v_subrev_u32_e32 v10, 18, v8
	v_add_co_u32_e32 v14, vcc, s14, v14
	v_addc_co_u32_e32 v15, vcc, v29, v15, vcc
	s_waitcnt vmcnt(2)
	v_fmac_f32_e32 v7, v25, v12
	v_fmac_f32_e32 v22, v26, v12
	s_waitcnt vmcnt(1)
	v_fmac_f32_e32 v41, v34, v12
	v_fmac_f32_e32 v20, v35, v12
	;; [unrolled: 3-line block ×3, first 2 shown]
	v_fma_f32 v7, -v26, v13, v7
	v_fmac_f32_e32 v22, v25, v13
	v_fma_f32 v47, -v35, v13, v41
	v_fmac_f32_e32 v20, v34, v13
	;; [unrolled: 2-line block ×3, first 2 shown]
	v_lshlrev_b64 v[12:13], 3, v[10:11]
	v_add_u32_e32 v10, -11, v8
	v_add_co_u32_e32 v12, vcc, s12, v12
	v_lshlrev_b64 v[16:17], 3, v[10:11]
	v_addc_co_u32_e32 v13, vcc, v28, v13, vcc
	v_add_u32_e32 v10, -4, v8
	v_add_co_u32_e32 v16, vcc, s12, v16
	v_lshlrev_b64 v[23:24], 3, v[10:11]
	v_addc_co_u32_e32 v17, vcc, v28, v17, vcc
	v_add_u32_e32 v10, 3, v9
	v_add_co_u32_e32 v23, vcc, s12, v23
	v_lshlrev_b64 v[25:26], 3, v[10:11]
	v_addc_co_u32_e32 v24, vcc, v28, v24, vcc
	v_add_co_u32_e32 v25, vcc, s14, v25
	v_addc_co_u32_e32 v26, vcc, v29, v26, vcc
	global_load_dwordx2 v[38:39], v[14:15], off
	global_load_dwordx2 v[40:41], v[12:13], off
	;; [unrolled: 1-line block ×4, first 2 shown]
	v_subrev_u32_e32 v10, 17, v8
	global_load_dwordx2 v[14:15], v[25:26], off
	v_lshlrev_b64 v[34:35], 3, v[10:11]
	v_add_u32_e32 v10, -10, v8
	v_add_co_u32_e32 v34, vcc, s12, v34
	v_lshlrev_b64 v[12:13], 3, v[10:11]
	v_addc_co_u32_e32 v35, vcc, v28, v35, vcc
	v_add_u32_e32 v10, -3, v8
	v_add_co_u32_e32 v12, vcc, s12, v12
	v_addc_co_u32_e32 v13, vcc, v28, v13, vcc
	s_waitcnt vmcnt(4)
	v_fmac_f32_e32 v46, v30, v38
	v_fma_f32 v16, -v31, v39, v46
	v_fmac_f32_e32 v19, v31, v38
	s_waitcnt vmcnt(1)
	v_fmac_f32_e32 v18, v45, v38
	v_fmac_f32_e32 v48, v44, v38
	s_waitcnt vmcnt(0)
	v_fmac_f32_e32 v16, v32, v14
	v_fmac_f32_e32 v18, v44, v39
	v_fma_f32 v44, -v33, v15, v16
	v_lshlrev_b64 v[16:17], 3, v[10:11]
	v_subrev_u32_e32 v10, 23, v8
	v_add_co_u32_e32 v16, vcc, s12, v16
	v_lshlrev_b64 v[23:24], 3, v[10:11]
	v_fmac_f32_e32 v19, v30, v39
	v_addc_co_u32_e32 v17, vcc, v28, v17, vcc
	v_fmac_f32_e32 v7, v40, v38
	v_fmac_f32_e32 v22, v41, v38
	;; [unrolled: 1-line block ×5, first 2 shown]
	v_add_co_u32_e32 v23, vcc, s12, v23
	v_fma_f32 v7, -v41, v39, v7
	v_fmac_f32_e32 v22, v40, v39
	v_fma_f32 v43, -v43, v39, v47
	v_fmac_f32_e32 v20, v42, v39
	;; [unrolled: 2-line block ×3, first 2 shown]
	v_addc_co_u32_e32 v24, vcc, v28, v24, vcc
	global_load_dwordx2 v[30:31], v[34:35], off
	global_load_dwordx2 v[32:33], v[12:13], off
	;; [unrolled: 1-line block ×4, first 2 shown]
	v_add_u32_e32 v10, 4, v9
	v_lshlrev_b64 v[25:26], 3, v[10:11]
	v_add_u32_e32 v10, -16, v8
	v_add_co_u32_e32 v25, vcc, s14, v25
	v_addc_co_u32_e32 v26, vcc, v29, v26, vcc
	global_load_dwordx2 v[25:26], v[25:26], off
	v_lshlrev_b64 v[12:13], 3, v[10:11]
	v_add_u32_e32 v10, -9, v8
	v_add_co_u32_e32 v12, vcc, s12, v12
	v_addc_co_u32_e32 v13, vcc, v28, v13, vcc
	s_waitcnt vmcnt(4)
	v_fmac_f32_e32 v7, v30, v14
	v_fmac_f32_e32 v22, v31, v14
	s_waitcnt vmcnt(3)
	v_fmac_f32_e32 v43, v32, v14
	v_fmac_f32_e32 v20, v33, v14
	;; [unrolled: 3-line block ×3, first 2 shown]
	v_fma_f32 v7, -v31, v15, v7
	v_fmac_f32_e32 v22, v30, v15
	v_fma_f32 v43, -v33, v15, v43
	v_fmac_f32_e32 v20, v32, v15
	;; [unrolled: 2-line block ×3, first 2 shown]
	v_lshlrev_b64 v[14:15], 3, v[10:11]
	v_add_u32_e32 v10, -2, v8
	v_add_co_u32_e32 v14, vcc, s12, v14
	v_lshlrev_b64 v[16:17], 3, v[10:11]
	v_addc_co_u32_e32 v15, vcc, v28, v15, vcc
	v_subrev_u32_e32 v10, 22, v8
	v_add_co_u32_e32 v16, vcc, s12, v16
	v_lshlrev_b64 v[23:24], 3, v[10:11]
	v_addc_co_u32_e32 v17, vcc, v28, v17, vcc
	v_add_u32_e32 v10, 5, v9
	v_add_co_u32_e32 v23, vcc, s12, v23
	v_lshlrev_b64 v[30:31], 3, v[10:11]
	v_addc_co_u32_e32 v24, vcc, v28, v24, vcc
	v_add_co_u32_e32 v30, vcc, s14, v30
	v_addc_co_u32_e32 v31, vcc, v29, v31, vcc
	s_waitcnt vmcnt(0)
	v_fmac_f32_e32 v44, v40, v25
	v_fmac_f32_e32 v19, v41, v25
	v_fma_f32 v44, -v41, v26, v44
	v_fmac_f32_e32 v19, v40, v26
	global_load_dwordx2 v[32:33], v[12:13], off
	global_load_dwordx2 v[34:35], v[14:15], off
	;; [unrolled: 1-line block ×4, first 2 shown]
	v_add_u32_e32 v10, -15, v8
	global_load_dwordx2 v[30:31], v[30:31], off
	v_lshlrev_b64 v[12:13], 3, v[10:11]
	v_add_u32_e32 v10, -8, v8
	v_lshlrev_b64 v[14:15], 3, v[10:11]
	v_add_co_u32_e32 v12, vcc, s12, v12
	v_add_u32_e32 v10, -1, v8
	v_addc_co_u32_e32 v13, vcc, v28, v13, vcc
	v_add_co_u32_e32 v14, vcc, s12, v14
	v_lshlrev_b64 v[16:17], 3, v[10:11]
	v_addc_co_u32_e32 v15, vcc, v28, v15, vcc
	v_subrev_u32_e32 v10, 21, v8
	v_lshlrev_b64 v[23:24], 3, v[10:11]
	v_add_co_u32_e32 v16, vcc, s12, v16
	v_addc_co_u32_e32 v17, vcc, v28, v17, vcc
	v_add_co_u32_e32 v23, vcc, s12, v23
	v_addc_co_u32_e32 v24, vcc, v28, v24, vcc
	v_add_u32_e32 v10, 6, v9
	v_lshlrev_b64 v[9:10], 3, v[10:11]
	s_waitcnt vmcnt(4)
	v_fmac_f32_e32 v7, v32, v25
	s_waitcnt vmcnt(3)
	v_fmac_f32_e32 v43, v34, v25
	v_fmac_f32_e32 v20, v35, v25
	s_waitcnt vmcnt(2)
	v_fmac_f32_e32 v42, v38, v25
	;; [unrolled: 3-line block ×3, first 2 shown]
	v_fmac_f32_e32 v19, v41, v30
	v_fma_f32 v45, -v35, v26, v43
	v_fmac_f32_e32 v20, v34, v26
	v_fma_f32 v46, -v39, v26, v42
	;; [unrolled: 2-line block ×3, first 2 shown]
	v_fmac_f32_e32 v19, v40, v31
	global_load_dwordx2 v[34:35], v[12:13], off
	global_load_dwordx2 v[38:39], v[14:15], off
	;; [unrolled: 1-line block ×4, first 2 shown]
	v_fmac_f32_e32 v22, v33, v25
	v_add_co_u32_e32 v25, vcc, s14, v9
	v_fma_f32 v7, -v33, v26, v7
	v_fmac_f32_e32 v22, v32, v26
	v_addc_co_u32_e32 v26, vcc, v29, v10, vcc
	v_add_u32_e32 v10, -14, v8
	v_lshlrev_b64 v[9:10], 3, v[10:11]
	v_add_co_u32_e32 v32, vcc, s12, v9
	v_addc_co_u32_e32 v33, vcc, v28, v10, vcc
	v_add_u32_e32 v10, -7, v8
	v_lshlrev_b64 v[9:10], 3, v[10:11]
	v_add_u32_e32 v8, 0xe0, v8
	v_add_co_u32_e32 v9, vcc, s12, v9
	v_addc_co_u32_e32 v10, vcc, v28, v10, vcc
	v_cmp_ge_i32_e32 vcc, v6, v21
	s_or_b64 s[0:1], vcc, s[0:1]
	s_waitcnt vmcnt(3)
	v_fmac_f32_e32 v7, v34, v30
	v_fmac_f32_e32 v22, v35, v30
	v_fma_f32 v7, -v35, v31, v7
	v_fmac_f32_e32 v22, v34, v31
	global_load_dwordx2 v[12:13], v[25:26], off
	global_load_dwordx2 v[14:15], v[32:33], off
	;; [unrolled: 1-line block ×4, first 2 shown]
	s_waitcnt vmcnt(6)
	v_fmac_f32_e32 v45, v38, v30
	v_fmac_f32_e32 v20, v39, v30
	s_waitcnt vmcnt(5)
	v_fmac_f32_e32 v46, v40, v30
	v_fmac_f32_e32 v18, v41, v30
	v_fma_f32 v23, -v39, v31, v45
	v_fmac_f32_e32 v20, v38, v31
	v_fma_f32 v9, -v41, v31, v46
	v_fmac_f32_e32 v18, v40, v31
	s_waitcnt vmcnt(3)
	v_fmac_f32_e32 v44, v42, v12
	v_fmac_f32_e32 v19, v43, v12
	s_waitcnt vmcnt(2)
	v_fmac_f32_e32 v7, v14, v12
	;; [unrolled: 3-line block ×4, first 2 shown]
	v_fmac_f32_e32 v18, v35, v12
	v_fma_f32 v24, -v43, v13, v44
	v_fmac_f32_e32 v19, v42, v13
	v_fma_f32 v26, -v15, v13, v7
	;; [unrolled: 2-line block ×4, first 2 shown]
	v_fmac_f32_e32 v18, v34, v13
	s_andn2_b64 exec, exec, s[0:1]
	s_cbranch_execnz .LBB100_13
; %bb.14:
	s_or_b64 exec, exec, s[0:1]
.LBB100_15:
	s_or_b64 exec, exec, s[6:7]
.LBB100_16:
	v_mov_b32_dpp v10, v26 row_shr:1 row_mask:0xf bank_mask:0xf
	v_add_f32_e32 v10, v26, v10
	v_mov_b32_dpp v8, v19 row_shr:1 row_mask:0xf bank_mask:0xf
	v_add_f32_e32 v8, v19, v8
	;; [unrolled: 2-line block ×7, first 2 shown]
	v_mov_b32_dpp v7, v6 row_shr:2 row_mask:0xf bank_mask:0xf
	v_mov_b32_dpp v9, v8 row_shr:2 row_mask:0xf bank_mask:0xf
	;; [unrolled: 1-line block ×3, first 2 shown]
	v_add_f32_e32 v16, v10, v12
	v_mov_b32_dpp v10, v20 row_shr:1 row_mask:0xf bank_mask:0xf
	v_add_f32_e32 v10, v20, v10
	v_add_f32_e32 v6, v6, v7
	;; [unrolled: 1-line block ×3, first 2 shown]
	v_mov_b32_dpp v12, v10 row_shr:2 row_mask:0xf bank_mask:0xf
	v_add_f32_e32 v19, v10, v12
	v_mov_b32_dpp v10, v23 row_shr:1 row_mask:0xf bank_mask:0xf
	v_add_f32_e32 v10, v23, v10
	v_mov_b32_dpp v7, v6 row_shr:4 row_mask:0xf bank_mask:0xe
	v_mov_b32_dpp v9, v8 row_shr:4 row_mask:0xf bank_mask:0xe
	;; [unrolled: 1-line block ×3, first 2 shown]
	v_add_f32_e32 v21, v10, v12
	v_mov_b32_dpp v10, v18 row_shr:1 row_mask:0xf bank_mask:0xf
	v_add_f32_e32 v10, v18, v10
	v_mov_b32_dpp v13, v11 row_shr:4 row_mask:0xf bank_mask:0xe
	v_mov_b32_dpp v15, v14 row_shr:4 row_mask:0xf bank_mask:0xe
	;; [unrolled: 1-line block ×3, first 2 shown]
	v_add_f32_e32 v18, v10, v12
	v_mov_b32_dpp v17, v16 row_shr:4 row_mask:0xf bank_mask:0xe
	v_mov_b32_dpp v20, v19 row_shr:4 row_mask:0xf bank_mask:0xe
	;; [unrolled: 1-line block ×4, first 2 shown]
	v_cmp_eq_u32_e32 vcc, 7, v0
	s_and_b64 exec, exec, vcc
	s_cbranch_execz .LBB100_21
; %bb.17:
	s_load_dwordx2 s[2:3], s[4:5], 0x38
	v_cmp_eq_f32_e32 vcc, 0, v3
	v_cmp_eq_f32_e64 s[0:1], 0, v4
	v_add_f32_e32 v10, v6, v7
	v_add_f32_e32 v12, v8, v9
	;; [unrolled: 1-line block ×8, first 2 shown]
	s_and_b64 s[0:1], vcc, s[0:1]
	s_and_saveexec_b64 s[4:5], s[0:1]
	s_xor_b64 s[0:1], exec, s[4:5]
	s_cbranch_execz .LBB100_19
; %bb.18:
	v_lshlrev_b32_e32 v3, 2, v5
	v_ashrrev_i32_e32 v4, 31, v3
	v_lshlrev_b64 v[3:4], 3, v[3:4]
	s_waitcnt lgkmcnt(0)
	v_mov_b32_e32 v5, s3
	v_add_co_u32_e32 v17, vcc, s2, v3
	v_addc_co_u32_e32 v18, vcc, v5, v4, vcc
	v_mul_f32_e64 v3, v9, -v2
	v_mul_f32_e32 v4, v1, v9
	v_mul_f32_e64 v13, v12, -v2
	v_mul_f32_e32 v14, v1, v12
	v_mul_f32_e64 v15, v11, -v2
	v_mul_f32_e32 v16, v1, v11
	v_fmac_f32_e32 v3, v1, v6
	v_fmac_f32_e32 v4, v2, v6
	v_mul_f32_e64 v5, v7, -v2
	v_mul_f32_e32 v6, v1, v7
	v_fmac_f32_e32 v13, v1, v10
	v_fmac_f32_e32 v14, v2, v10
	;; [unrolled: 1-line block ×6, first 2 shown]
	global_store_dwordx4 v[17:18], v[13:16], off
	global_store_dwordx4 v[17:18], v[3:6], off offset:16
                                        ; implicit-def: $vgpr5
                                        ; implicit-def: $vgpr10
                                        ; implicit-def: $vgpr12
                                        ; implicit-def: $vgpr8
                                        ; implicit-def: $vgpr11
                                        ; implicit-def: $vgpr6
                                        ; implicit-def: $vgpr9
                                        ; implicit-def: $vgpr0
                                        ; implicit-def: $vgpr7
                                        ; implicit-def: $vgpr1_vgpr2
                                        ; implicit-def: $vgpr3_vgpr4
.LBB100_19:
	s_andn2_saveexec_b64 s[0:1], s[0:1]
	s_cbranch_execz .LBB100_21
; %bb.20:
	v_lshlrev_b32_e32 v13, 2, v5
	v_ashrrev_i32_e32 v14, 31, v13
	v_lshlrev_b64 v[13:14], 3, v[13:14]
	s_waitcnt lgkmcnt(0)
	v_mov_b32_e32 v5, s3
	v_add_co_u32_e32 v25, vcc, s2, v13
	v_addc_co_u32_e32 v26, vcc, v5, v14, vcc
	global_load_dwordx4 v[13:16], v[25:26], off
	global_load_dwordx4 v[17:20], v[25:26], off offset:16
	v_mul_f32_e64 v5, v12, -v2
	v_mul_f32_e32 v22, v1, v12
	v_mul_f32_e64 v12, v11, -v2
	v_mul_f32_e32 v24, v1, v11
	v_mul_f32_e64 v27, v9, -v2
	v_mul_f32_e32 v9, v1, v9
	v_mul_f32_e64 v28, v7, -v2
	v_mul_f32_e32 v11, v1, v7
	v_fmac_f32_e32 v5, v1, v10
	v_fmac_f32_e32 v22, v2, v10
	;; [unrolled: 1-line block ×8, first 2 shown]
	s_waitcnt vmcnt(1)
	v_fmac_f32_e32 v5, v3, v13
	v_fmac_f32_e32 v22, v4, v13
	;; [unrolled: 1-line block ×4, first 2 shown]
	s_waitcnt vmcnt(0)
	v_fmac_f32_e32 v27, v3, v17
	v_fmac_f32_e32 v9, v4, v17
	;; [unrolled: 1-line block ×4, first 2 shown]
	v_fma_f32 v21, -v4, v14, v5
	v_fmac_f32_e32 v22, v3, v14
	v_fma_f32 v23, -v4, v16, v12
	v_fmac_f32_e32 v24, v3, v16
	;; [unrolled: 2-line block ×4, first 2 shown]
	global_store_dwordx4 v[25:26], v[21:24], off
	global_store_dwordx4 v[25:26], v[8:11], off offset:16
.LBB100_21:
	s_endpgm
	.section	.rodata,"a",@progbits
	.p2align	6, 0x0
	.amdhsa_kernel _ZN9rocsparseL19gebsrmvn_4xn_kernelILj128ELj7ELj8E21rocsparse_complex_numIfEEEvi20rocsparse_direction_NS_24const_host_device_scalarIT2_EEPKiS8_PKS5_SA_S6_PS5_21rocsparse_index_base_b
		.amdhsa_group_segment_fixed_size 0
		.amdhsa_private_segment_fixed_size 0
		.amdhsa_kernarg_size 72
		.amdhsa_user_sgpr_count 6
		.amdhsa_user_sgpr_private_segment_buffer 1
		.amdhsa_user_sgpr_dispatch_ptr 0
		.amdhsa_user_sgpr_queue_ptr 0
		.amdhsa_user_sgpr_kernarg_segment_ptr 1
		.amdhsa_user_sgpr_dispatch_id 0
		.amdhsa_user_sgpr_flat_scratch_init 0
		.amdhsa_user_sgpr_private_segment_size 0
		.amdhsa_uses_dynamic_stack 0
		.amdhsa_system_sgpr_private_segment_wavefront_offset 0
		.amdhsa_system_sgpr_workgroup_id_x 1
		.amdhsa_system_sgpr_workgroup_id_y 0
		.amdhsa_system_sgpr_workgroup_id_z 0
		.amdhsa_system_sgpr_workgroup_info 0
		.amdhsa_system_vgpr_workitem_id 0
		.amdhsa_next_free_vgpr 54
		.amdhsa_next_free_sgpr 16
		.amdhsa_reserve_vcc 1
		.amdhsa_reserve_flat_scratch 0
		.amdhsa_float_round_mode_32 0
		.amdhsa_float_round_mode_16_64 0
		.amdhsa_float_denorm_mode_32 3
		.amdhsa_float_denorm_mode_16_64 3
		.amdhsa_dx10_clamp 1
		.amdhsa_ieee_mode 1
		.amdhsa_fp16_overflow 0
		.amdhsa_exception_fp_ieee_invalid_op 0
		.amdhsa_exception_fp_denorm_src 0
		.amdhsa_exception_fp_ieee_div_zero 0
		.amdhsa_exception_fp_ieee_overflow 0
		.amdhsa_exception_fp_ieee_underflow 0
		.amdhsa_exception_fp_ieee_inexact 0
		.amdhsa_exception_int_div_zero 0
	.end_amdhsa_kernel
	.section	.text._ZN9rocsparseL19gebsrmvn_4xn_kernelILj128ELj7ELj8E21rocsparse_complex_numIfEEEvi20rocsparse_direction_NS_24const_host_device_scalarIT2_EEPKiS8_PKS5_SA_S6_PS5_21rocsparse_index_base_b,"axG",@progbits,_ZN9rocsparseL19gebsrmvn_4xn_kernelILj128ELj7ELj8E21rocsparse_complex_numIfEEEvi20rocsparse_direction_NS_24const_host_device_scalarIT2_EEPKiS8_PKS5_SA_S6_PS5_21rocsparse_index_base_b,comdat
.Lfunc_end100:
	.size	_ZN9rocsparseL19gebsrmvn_4xn_kernelILj128ELj7ELj8E21rocsparse_complex_numIfEEEvi20rocsparse_direction_NS_24const_host_device_scalarIT2_EEPKiS8_PKS5_SA_S6_PS5_21rocsparse_index_base_b, .Lfunc_end100-_ZN9rocsparseL19gebsrmvn_4xn_kernelILj128ELj7ELj8E21rocsparse_complex_numIfEEEvi20rocsparse_direction_NS_24const_host_device_scalarIT2_EEPKiS8_PKS5_SA_S6_PS5_21rocsparse_index_base_b
                                        ; -- End function
	.set _ZN9rocsparseL19gebsrmvn_4xn_kernelILj128ELj7ELj8E21rocsparse_complex_numIfEEEvi20rocsparse_direction_NS_24const_host_device_scalarIT2_EEPKiS8_PKS5_SA_S6_PS5_21rocsparse_index_base_b.num_vgpr, 54
	.set _ZN9rocsparseL19gebsrmvn_4xn_kernelILj128ELj7ELj8E21rocsparse_complex_numIfEEEvi20rocsparse_direction_NS_24const_host_device_scalarIT2_EEPKiS8_PKS5_SA_S6_PS5_21rocsparse_index_base_b.num_agpr, 0
	.set _ZN9rocsparseL19gebsrmvn_4xn_kernelILj128ELj7ELj8E21rocsparse_complex_numIfEEEvi20rocsparse_direction_NS_24const_host_device_scalarIT2_EEPKiS8_PKS5_SA_S6_PS5_21rocsparse_index_base_b.numbered_sgpr, 16
	.set _ZN9rocsparseL19gebsrmvn_4xn_kernelILj128ELj7ELj8E21rocsparse_complex_numIfEEEvi20rocsparse_direction_NS_24const_host_device_scalarIT2_EEPKiS8_PKS5_SA_S6_PS5_21rocsparse_index_base_b.num_named_barrier, 0
	.set _ZN9rocsparseL19gebsrmvn_4xn_kernelILj128ELj7ELj8E21rocsparse_complex_numIfEEEvi20rocsparse_direction_NS_24const_host_device_scalarIT2_EEPKiS8_PKS5_SA_S6_PS5_21rocsparse_index_base_b.private_seg_size, 0
	.set _ZN9rocsparseL19gebsrmvn_4xn_kernelILj128ELj7ELj8E21rocsparse_complex_numIfEEEvi20rocsparse_direction_NS_24const_host_device_scalarIT2_EEPKiS8_PKS5_SA_S6_PS5_21rocsparse_index_base_b.uses_vcc, 1
	.set _ZN9rocsparseL19gebsrmvn_4xn_kernelILj128ELj7ELj8E21rocsparse_complex_numIfEEEvi20rocsparse_direction_NS_24const_host_device_scalarIT2_EEPKiS8_PKS5_SA_S6_PS5_21rocsparse_index_base_b.uses_flat_scratch, 0
	.set _ZN9rocsparseL19gebsrmvn_4xn_kernelILj128ELj7ELj8E21rocsparse_complex_numIfEEEvi20rocsparse_direction_NS_24const_host_device_scalarIT2_EEPKiS8_PKS5_SA_S6_PS5_21rocsparse_index_base_b.has_dyn_sized_stack, 0
	.set _ZN9rocsparseL19gebsrmvn_4xn_kernelILj128ELj7ELj8E21rocsparse_complex_numIfEEEvi20rocsparse_direction_NS_24const_host_device_scalarIT2_EEPKiS8_PKS5_SA_S6_PS5_21rocsparse_index_base_b.has_recursion, 0
	.set _ZN9rocsparseL19gebsrmvn_4xn_kernelILj128ELj7ELj8E21rocsparse_complex_numIfEEEvi20rocsparse_direction_NS_24const_host_device_scalarIT2_EEPKiS8_PKS5_SA_S6_PS5_21rocsparse_index_base_b.has_indirect_call, 0
	.section	.AMDGPU.csdata,"",@progbits
; Kernel info:
; codeLenInByte = 3968
; TotalNumSgprs: 20
; NumVgprs: 54
; ScratchSize: 0
; MemoryBound: 0
; FloatMode: 240
; IeeeMode: 1
; LDSByteSize: 0 bytes/workgroup (compile time only)
; SGPRBlocks: 2
; VGPRBlocks: 13
; NumSGPRsForWavesPerEU: 20
; NumVGPRsForWavesPerEU: 54
; Occupancy: 4
; WaveLimiterHint : 1
; COMPUTE_PGM_RSRC2:SCRATCH_EN: 0
; COMPUTE_PGM_RSRC2:USER_SGPR: 6
; COMPUTE_PGM_RSRC2:TRAP_HANDLER: 0
; COMPUTE_PGM_RSRC2:TGID_X_EN: 1
; COMPUTE_PGM_RSRC2:TGID_Y_EN: 0
; COMPUTE_PGM_RSRC2:TGID_Z_EN: 0
; COMPUTE_PGM_RSRC2:TIDIG_COMP_CNT: 0
	.section	.text._ZN9rocsparseL19gebsrmvn_4xn_kernelILj128ELj7ELj16E21rocsparse_complex_numIfEEEvi20rocsparse_direction_NS_24const_host_device_scalarIT2_EEPKiS8_PKS5_SA_S6_PS5_21rocsparse_index_base_b,"axG",@progbits,_ZN9rocsparseL19gebsrmvn_4xn_kernelILj128ELj7ELj16E21rocsparse_complex_numIfEEEvi20rocsparse_direction_NS_24const_host_device_scalarIT2_EEPKiS8_PKS5_SA_S6_PS5_21rocsparse_index_base_b,comdat
	.globl	_ZN9rocsparseL19gebsrmvn_4xn_kernelILj128ELj7ELj16E21rocsparse_complex_numIfEEEvi20rocsparse_direction_NS_24const_host_device_scalarIT2_EEPKiS8_PKS5_SA_S6_PS5_21rocsparse_index_base_b ; -- Begin function _ZN9rocsparseL19gebsrmvn_4xn_kernelILj128ELj7ELj16E21rocsparse_complex_numIfEEEvi20rocsparse_direction_NS_24const_host_device_scalarIT2_EEPKiS8_PKS5_SA_S6_PS5_21rocsparse_index_base_b
	.p2align	8
	.type	_ZN9rocsparseL19gebsrmvn_4xn_kernelILj128ELj7ELj16E21rocsparse_complex_numIfEEEvi20rocsparse_direction_NS_24const_host_device_scalarIT2_EEPKiS8_PKS5_SA_S6_PS5_21rocsparse_index_base_b,@function
_ZN9rocsparseL19gebsrmvn_4xn_kernelILj128ELj7ELj16E21rocsparse_complex_numIfEEEvi20rocsparse_direction_NS_24const_host_device_scalarIT2_EEPKiS8_PKS5_SA_S6_PS5_21rocsparse_index_base_b: ; @_ZN9rocsparseL19gebsrmvn_4xn_kernelILj128ELj7ELj16E21rocsparse_complex_numIfEEEvi20rocsparse_direction_NS_24const_host_device_scalarIT2_EEPKiS8_PKS5_SA_S6_PS5_21rocsparse_index_base_b
; %bb.0:
	s_load_dwordx2 s[0:1], s[4:5], 0x8
	s_load_dwordx2 s[8:9], s[4:5], 0x30
	;; [unrolled: 1-line block ×3, first 2 shown]
	s_add_u32 s7, s4, 8
	s_addc_u32 s10, s5, 0
	s_add_u32 s11, s4, 48
	s_addc_u32 s12, s5, 0
	s_waitcnt lgkmcnt(0)
	s_bitcmp1_b32 s3, 0
	s_cselect_b32 s1, s10, s1
	s_cselect_b32 s0, s7, s0
	v_mov_b32_e32 v1, s0
	v_mov_b32_e32 v2, s1
	flat_load_dwordx2 v[1:2], v[1:2]
	s_cselect_b32 s0, s12, s9
	s_cselect_b32 s1, s11, s8
	v_mov_b32_e32 v3, s1
	v_mov_b32_e32 v4, s0
	flat_load_dwordx2 v[3:4], v[3:4]
	s_waitcnt vmcnt(0) lgkmcnt(0)
	v_cmp_eq_f32_e32 vcc, 0, v1
	v_cmp_eq_f32_e64 s[0:1], 0, v2
	s_and_b64 s[10:11], vcc, s[0:1]
	s_mov_b64 s[0:1], -1
	s_and_saveexec_b64 s[8:9], s[10:11]
; %bb.1:
	v_cmp_neq_f32_e32 vcc, 1.0, v3
	v_cmp_neq_f32_e64 s[0:1], 0, v4
	s_or_b64 s[0:1], vcc, s[0:1]
	s_orn2_b64 s[0:1], s[0:1], exec
; %bb.2:
	s_or_b64 exec, exec, s[8:9]
	s_and_saveexec_b64 s[8:9], s[0:1]
	s_cbranch_execz .LBB101_21
; %bb.3:
	s_load_dwordx2 s[0:1], s[4:5], 0x0
	v_lshrrev_b32_e32 v5, 4, v0
	v_lshl_or_b32 v5, s6, 3, v5
	s_waitcnt lgkmcnt(0)
	v_cmp_gt_i32_e32 vcc, s0, v5
	s_and_b64 exec, exec, vcc
	s_cbranch_execz .LBB101_21
; %bb.4:
	s_load_dwordx8 s[8:15], s[4:5], 0x10
	v_ashrrev_i32_e32 v6, 31, v5
	v_lshlrev_b64 v[6:7], 2, v[5:6]
	v_and_b32_e32 v0, 15, v0
	s_cmp_lg_u32 s1, 0
	s_waitcnt lgkmcnt(0)
	v_mov_b32_e32 v8, s9
	v_add_co_u32_e32 v6, vcc, s8, v6
	v_addc_co_u32_e32 v7, vcc, v8, v7, vcc
	global_load_dwordx2 v[6:7], v[6:7], off
	s_waitcnt vmcnt(0)
	v_subrev_u32_e32 v6, s2, v6
	v_subrev_u32_e32 v21, s2, v7
	v_add_u32_e32 v6, v6, v0
	v_cmp_lt_i32_e64 s[0:1], v6, v21
	s_cbranch_scc0 .LBB101_10
; %bb.5:
	v_mov_b32_e32 v20, 0
	v_mov_b32_e32 v25, 0
	v_mov_b32_e32 v23, 0
	v_mov_b32_e32 v18, 0
	v_mov_b32_e32 v24, 0
	v_mov_b32_e32 v19, 0
	v_mov_b32_e32 v26, 0
	v_mov_b32_e32 v22, 0
	s_and_saveexec_b64 s[6:7], s[0:1]
	s_cbranch_execz .LBB101_9
; %bb.6:
	v_mad_u64_u32 v[7:8], s[8:9], v6, 28, 24
	v_mov_b32_e32 v10, 0
	s_mov_b64 s[8:9], 0
	v_mov_b32_e32 v13, s11
	v_mov_b32_e32 v14, s13
	;; [unrolled: 1-line block ×12, first 2 shown]
.LBB101_7:                              ; =>This Inner Loop Header: Depth=1
	v_ashrrev_i32_e32 v12, 31, v11
	v_lshlrev_b64 v[27:28], 2, v[11:12]
	v_subrev_u32_e32 v9, 24, v7
	v_lshlrev_b64 v[29:30], 3, v[9:10]
	v_add_co_u32_e32 v35, vcc, s10, v27
	v_mov_b32_e32 v8, v10
	v_addc_co_u32_e32 v36, vcc, v13, v28, vcc
	v_lshlrev_b64 v[31:32], 3, v[7:8]
	v_add_co_u32_e32 v37, vcc, s12, v29
	v_addc_co_u32_e32 v38, vcc, v14, v30, vcc
	v_add_co_u32_e32 v43, vcc, s12, v31
	v_addc_co_u32_e32 v44, vcc, v14, v32, vcc
	global_load_dword v12, v[35:36], off
	global_load_dwordx4 v[27:30], v[37:38], off
	global_load_dwordx4 v[31:34], v[37:38], off offset:16
	v_subrev_u32_e32 v9, 20, v7
	v_lshlrev_b64 v[8:9], 3, v[9:10]
	v_mov_b32_e32 v17, v10
	v_add_co_u32_e32 v8, vcc, s12, v8
	global_load_dwordx4 v[35:38], v[43:44], off
	global_load_dwordx4 v[39:42], v[43:44], off offset:16
	v_addc_co_u32_e32 v9, vcc, v14, v9, vcc
	v_add_u32_e32 v11, 16, v11
	s_waitcnt vmcnt(4)
	v_subrev_u32_e32 v12, s2, v12
	v_mul_lo_u32 v16, v12, 7
	v_lshlrev_b64 v[43:44], 3, v[16:17]
	v_add_co_u32_e32 v47, vcc, s14, v43
	v_addc_co_u32_e32 v48, vcc, v15, v44, vcc
	global_load_dwordx4 v[43:46], v[8:9], off
	global_load_dwordx2 v[49:50], v[47:48], off
	s_waitcnt vmcnt(0)
	v_fmac_f32_e32 v25, v27, v49
	v_fmac_f32_e32 v20, v28, v49
	;; [unrolled: 1-line block ×4, first 2 shown]
	v_fma_f32 v12, -v28, v50, v25
	v_fmac_f32_e32 v20, v27, v50
	v_fma_f32 v17, -v30, v50, v26
	global_load_dwordx4 v[25:28], v[8:9], off offset:16
	v_add_u32_e32 v9, 1, v16
	v_fmac_f32_e32 v22, v29, v50
	v_lshlrev_b64 v[29:30], 3, v[9:10]
	v_fmac_f32_e32 v23, v33, v49
	v_add_co_u32_e32 v29, vcc, s14, v29
	v_fmac_f32_e32 v18, v34, v49
	v_addc_co_u32_e32 v30, vcc, v15, v30, vcc
	v_fma_f32 v51, -v34, v50, v23
	v_fmac_f32_e32 v18, v33, v50
	global_load_dwordx2 v[33:34], v[29:30], off
	v_add_u32_e32 v9, -16, v7
	v_fmac_f32_e32 v24, v31, v49
	v_fma_f32 v8, -v32, v50, v24
	v_lshlrev_b64 v[23:24], 3, v[9:10]
	v_fmac_f32_e32 v19, v32, v49
	v_add_u32_e32 v9, 2, v16
	v_fmac_f32_e32 v19, v31, v50
	v_lshlrev_b64 v[31:32], 3, v[9:10]
	v_add_co_u32_e32 v23, vcc, s12, v23
	v_addc_co_u32_e32 v24, vcc, v14, v24, vcc
	v_add_co_u32_e32 v47, vcc, s14, v31
	v_addc_co_u32_e32 v48, vcc, v15, v32, vcc
	global_load_dwordx4 v[29:32], v[23:24], off
	v_add_u32_e32 v9, -12, v7
	v_lshlrev_b64 v[49:50], 3, v[9:10]
	v_add_u32_e32 v9, 3, v16
	s_waitcnt vmcnt(1)
	v_fmac_f32_e32 v12, v43, v33
	v_fmac_f32_e32 v20, v44, v33
	;; [unrolled: 1-line block ×8, first 2 shown]
	v_fma_f32 v12, -v44, v34, v12
	v_fmac_f32_e32 v20, v43, v34
	v_fma_f32 v17, -v46, v34, v17
	v_fmac_f32_e32 v22, v45, v34
	v_fma_f32 v8, -v26, v34, v8
	v_fmac_f32_e32 v19, v25, v34
	v_fma_f32 v51, -v28, v34, v51
	v_fmac_f32_e32 v18, v27, v34
	global_load_dwordx2 v[33:34], v[47:48], off
	v_lshlrev_b64 v[27:28], 3, v[9:10]
	global_load_dwordx4 v[23:26], v[23:24], off offset:16
	v_add_co_u32_e32 v43, vcc, s12, v49
	v_addc_co_u32_e32 v44, vcc, v14, v50, vcc
	v_add_co_u32_e32 v45, vcc, s14, v27
	v_addc_co_u32_e32 v46, vcc, v15, v28, vcc
	v_add_u32_e32 v9, -8, v7
	v_lshlrev_b64 v[47:48], 3, v[9:10]
	v_add_u32_e32 v9, 4, v16
	s_waitcnt vmcnt(1)
	v_fmac_f32_e32 v12, v29, v33
	v_fmac_f32_e32 v20, v30, v33
	;; [unrolled: 1-line block ×4, first 2 shown]
	v_fma_f32 v12, -v30, v34, v12
	v_fmac_f32_e32 v20, v29, v34
	global_load_dwordx4 v[27:30], v[43:44], off
	s_waitcnt vmcnt(1)
	v_fmac_f32_e32 v8, v23, v33
	v_fmac_f32_e32 v19, v24, v33
	;; [unrolled: 1-line block ×4, first 2 shown]
	v_fma_f32 v17, -v32, v34, v17
	v_fmac_f32_e32 v22, v31, v34
	v_fma_f32 v8, -v24, v34, v8
	v_fmac_f32_e32 v19, v23, v34
	;; [unrolled: 2-line block ×3, first 2 shown]
	global_load_dwordx4 v[23:26], v[43:44], off offset:16
	global_load_dwordx2 v[33:34], v[45:46], off
	v_lshlrev_b64 v[31:32], 3, v[9:10]
	v_add_co_u32_e32 v43, vcc, s12, v47
	v_addc_co_u32_e32 v44, vcc, v14, v48, vcc
	v_add_u32_e32 v9, -4, v7
	v_add_co_u32_e32 v31, vcc, s14, v31
	v_addc_co_u32_e32 v32, vcc, v15, v32, vcc
	v_lshlrev_b64 v[45:46], 3, v[9:10]
	v_add_u32_e32 v9, 5, v16
	v_add_u32_e32 v7, 0x1c0, v7
	s_waitcnt vmcnt(0)
	v_fmac_f32_e32 v12, v27, v33
	v_fmac_f32_e32 v20, v28, v33
	;; [unrolled: 1-line block ×8, first 2 shown]
	v_fma_f32 v12, -v28, v34, v12
	v_fmac_f32_e32 v20, v27, v34
	v_fma_f32 v47, -v30, v34, v17
	v_fmac_f32_e32 v22, v29, v34
	global_load_dwordx4 v[27:30], v[43:44], off
	v_fma_f32 v51, -v24, v34, v8
	v_fmac_f32_e32 v19, v23, v34
	v_fma_f32 v52, -v26, v34, v49
	v_fmac_f32_e32 v18, v25, v34
	v_lshlrev_b64 v[33:34], 3, v[9:10]
	v_add_u32_e32 v9, 6, v16
	global_load_dwordx2 v[16:17], v[31:32], off
	global_load_dwordx4 v[23:26], v[43:44], off offset:16
	v_add_co_u32_e32 v43, vcc, s12, v45
	v_addc_co_u32_e32 v44, vcc, v14, v46, vcc
	v_lshlrev_b64 v[8:9], 3, v[9:10]
	v_add_co_u32_e32 v45, vcc, s14, v33
	v_addc_co_u32_e32 v46, vcc, v15, v34, vcc
	v_add_co_u32_e32 v8, vcc, s14, v8
	v_addc_co_u32_e32 v9, vcc, v15, v9, vcc
	v_cmp_ge_i32_e32 vcc, v11, v21
	s_or_b64 s[8:9], vcc, s[8:9]
	s_waitcnt vmcnt(1)
	v_fmac_f32_e32 v12, v27, v16
	v_fmac_f32_e32 v20, v28, v16
	;; [unrolled: 1-line block ×4, first 2 shown]
	v_fma_f32 v12, -v28, v17, v12
	v_fmac_f32_e32 v20, v27, v17
	v_fma_f32 v53, -v30, v17, v47
	v_fmac_f32_e32 v22, v29, v17
	global_load_dwordx4 v[27:30], v[43:44], off
	global_load_dwordx4 v[31:34], v[43:44], off offset:16
	global_load_dwordx2 v[47:48], v[45:46], off
	global_load_dwordx2 v[49:50], v[8:9], off
	s_waitcnt vmcnt(4)
	v_fmac_f32_e32 v51, v23, v16
	v_fmac_f32_e32 v19, v24, v16
	;; [unrolled: 1-line block ×4, first 2 shown]
	v_fma_f32 v8, -v24, v17, v51
	v_fmac_f32_e32 v19, v23, v17
	v_fma_f32 v9, -v26, v17, v52
	v_fmac_f32_e32 v18, v25, v17
	s_waitcnt vmcnt(1)
	v_fmac_f32_e32 v12, v27, v47
	v_fmac_f32_e32 v20, v28, v47
	;; [unrolled: 1-line block ×8, first 2 shown]
	v_fma_f32 v12, -v28, v48, v12
	v_fmac_f32_e32 v20, v27, v48
	v_fma_f32 v16, -v30, v48, v53
	v_fmac_f32_e32 v22, v29, v48
	;; [unrolled: 2-line block ×4, first 2 shown]
	s_waitcnt vmcnt(0)
	v_fmac_f32_e32 v12, v35, v49
	v_fmac_f32_e32 v20, v36, v49
	v_fmac_f32_e32 v16, v37, v49
	v_fmac_f32_e32 v22, v38, v49
	v_fmac_f32_e32 v8, v39, v49
	v_fmac_f32_e32 v19, v40, v49
	v_fmac_f32_e32 v9, v41, v49
	v_fmac_f32_e32 v18, v42, v49
	v_fma_f32 v25, -v36, v50, v12
	v_fmac_f32_e32 v20, v35, v50
	v_fma_f32 v26, -v38, v50, v16
	v_fmac_f32_e32 v22, v37, v50
	;; [unrolled: 2-line block ×4, first 2 shown]
	s_andn2_b64 exec, exec, s[8:9]
	s_cbranch_execnz .LBB101_7
; %bb.8:
	s_or_b64 exec, exec, s[8:9]
.LBB101_9:
	s_or_b64 exec, exec, s[6:7]
	s_cbranch_execz .LBB101_11
	s_branch .LBB101_16
.LBB101_10:
                                        ; implicit-def: $vgpr20
                                        ; implicit-def: $vgpr25
                                        ; implicit-def: $vgpr23
                                        ; implicit-def: $vgpr18
                                        ; implicit-def: $vgpr24
                                        ; implicit-def: $vgpr19
                                        ; implicit-def: $vgpr26
                                        ; implicit-def: $vgpr22
.LBB101_11:
	v_mov_b32_e32 v20, 0
	v_mov_b32_e32 v25, 0
	;; [unrolled: 1-line block ×8, first 2 shown]
	s_and_saveexec_b64 s[6:7], s[0:1]
	s_cbranch_execz .LBB101_15
; %bb.12:
	v_mad_u64_u32 v[8:9], s[0:1], v6, 28, 27
	v_mov_b32_e32 v11, 0
	s_mov_b64 s[0:1], 0
	v_mov_b32_e32 v27, s11
	v_mov_b32_e32 v28, s13
	;; [unrolled: 1-line block ×11, first 2 shown]
.LBB101_13:                             ; =>This Inner Loop Header: Depth=1
	v_ashrrev_i32_e32 v7, 31, v6
	v_lshlrev_b64 v[30:31], 2, v[6:7]
	v_subrev_u32_e32 v10, 27, v8
	v_add_co_u32_e32 v30, vcc, s10, v30
	v_addc_co_u32_e32 v31, vcc, v27, v31, vcc
	global_load_dword v7, v[30:31], off
	v_lshlrev_b64 v[32:33], 3, v[10:11]
	v_subrev_u32_e32 v12, 20, v8
	v_mov_b32_e32 v13, v11
	v_lshlrev_b64 v[12:13], 3, v[12:13]
	v_add_co_u32_e32 v34, vcc, s12, v32
	v_add_u32_e32 v14, -13, v8
	v_mov_b32_e32 v15, v11
	v_addc_co_u32_e32 v35, vcc, v28, v33, vcc
	v_lshlrev_b64 v[14:15], 3, v[14:15]
	v_add_co_u32_e32 v12, vcc, s12, v12
	v_add_u32_e32 v16, -6, v8
	v_mov_b32_e32 v17, v11
	v_addc_co_u32_e32 v13, vcc, v28, v13, vcc
	v_lshlrev_b64 v[16:17], 3, v[16:17]
	v_add_co_u32_e32 v14, vcc, s12, v14
	v_mov_b32_e32 v9, v11
	v_addc_co_u32_e32 v15, vcc, v28, v15, vcc
	v_lshlrev_b64 v[9:10], 3, v[8:9]
	v_add_co_u32_e32 v16, vcc, s12, v16
	v_addc_co_u32_e32 v17, vcc, v28, v17, vcc
	v_add_co_u32_e32 v36, vcc, s12, v9
	v_addc_co_u32_e32 v37, vcc, v28, v10, vcc
	v_mov_b32_e32 v10, v11
	v_add_u32_e32 v6, 16, v6
	s_waitcnt vmcnt(0)
	v_subrev_u32_e32 v7, s2, v7
	v_mul_lo_u32 v9, v7, 7
	v_lshlrev_b64 v[30:31], 3, v[9:10]
	v_add_u32_e32 v10, 1, v9
	v_add_co_u32_e32 v30, vcc, s14, v30
	v_lshlrev_b64 v[32:33], 3, v[10:11]
	v_addc_co_u32_e32 v31, vcc, v29, v31, vcc
	v_add_co_u32_e32 v38, vcc, s14, v32
	v_addc_co_u32_e32 v39, vcc, v29, v33, vcc
	global_load_dwordx2 v[32:33], v[12:13], off
	global_load_dwordx2 v[40:41], v[14:15], off
	;; [unrolled: 1-line block ×4, first 2 shown]
	v_subrev_u32_e32 v10, 19, v8
	s_waitcnt vmcnt(0)
	v_fmac_f32_e32 v26, v32, v44
	v_fmac_f32_e32 v22, v33, v44
	v_fma_f32 v7, -v33, v45, v26
	v_fmac_f32_e32 v22, v32, v45
	global_load_dwordx4 v[12:15], v[34:35], off
	global_load_dwordx4 v[30:33], v[34:35], off offset:16
	v_fmac_f32_e32 v24, v40, v44
	v_fmac_f32_e32 v19, v41, v44
	;; [unrolled: 1-line block ×3, first 2 shown]
	v_fma_f32 v41, -v41, v45, v24
	v_fmac_f32_e32 v19, v40, v45
	v_fma_f32 v40, -v43, v45, v23
	v_fmac_f32_e32 v18, v43, v44
	v_fmac_f32_e32 v18, v42, v45
	s_waitcnt vmcnt(1)
	v_fmac_f32_e32 v25, v12, v44
	v_fmac_f32_e32 v20, v13, v44
	v_fma_f32 v16, -v13, v45, v25
	v_fmac_f32_e32 v20, v12, v45
	global_load_dwordx2 v[12:13], v[38:39], off
	s_waitcnt vmcnt(0)
	v_fmac_f32_e32 v16, v14, v12
	v_fmac_f32_e32 v20, v15, v12
	v_fma_f32 v46, -v15, v13, v16
	v_fmac_f32_e32 v20, v14, v13
	v_lshlrev_b64 v[14:15], 3, v[10:11]
	v_add_u32_e32 v10, -12, v8
	v_add_co_u32_e32 v14, vcc, s12, v14
	v_lshlrev_b64 v[16:17], 3, v[10:11]
	v_addc_co_u32_e32 v15, vcc, v28, v15, vcc
	v_add_u32_e32 v10, -5, v8
	v_add_co_u32_e32 v16, vcc, s12, v16
	v_lshlrev_b64 v[23:24], 3, v[10:11]
	v_addc_co_u32_e32 v17, vcc, v28, v17, vcc
	v_add_co_u32_e32 v23, vcc, s12, v23
	v_addc_co_u32_e32 v24, vcc, v28, v24, vcc
	global_load_dwordx2 v[25:26], v[14:15], off
	global_load_dwordx2 v[34:35], v[16:17], off
	;; [unrolled: 1-line block ×3, first 2 shown]
	v_add_u32_e32 v10, 2, v9
	v_lshlrev_b64 v[14:15], 3, v[10:11]
	v_subrev_u32_e32 v10, 18, v8
	v_add_co_u32_e32 v14, vcc, s14, v14
	v_addc_co_u32_e32 v15, vcc, v29, v15, vcc
	s_waitcnt vmcnt(2)
	v_fmac_f32_e32 v7, v25, v12
	v_fmac_f32_e32 v22, v26, v12
	s_waitcnt vmcnt(1)
	v_fmac_f32_e32 v41, v34, v12
	v_fmac_f32_e32 v19, v35, v12
	;; [unrolled: 3-line block ×3, first 2 shown]
	v_fma_f32 v7, -v26, v13, v7
	v_fmac_f32_e32 v22, v25, v13
	v_fma_f32 v47, -v35, v13, v41
	v_fmac_f32_e32 v19, v34, v13
	;; [unrolled: 2-line block ×3, first 2 shown]
	v_lshlrev_b64 v[12:13], 3, v[10:11]
	v_add_u32_e32 v10, -11, v8
	v_add_co_u32_e32 v12, vcc, s12, v12
	v_lshlrev_b64 v[16:17], 3, v[10:11]
	v_addc_co_u32_e32 v13, vcc, v28, v13, vcc
	v_add_u32_e32 v10, -4, v8
	v_add_co_u32_e32 v16, vcc, s12, v16
	v_lshlrev_b64 v[23:24], 3, v[10:11]
	v_addc_co_u32_e32 v17, vcc, v28, v17, vcc
	v_add_u32_e32 v10, 3, v9
	v_add_co_u32_e32 v23, vcc, s12, v23
	v_lshlrev_b64 v[25:26], 3, v[10:11]
	v_addc_co_u32_e32 v24, vcc, v28, v24, vcc
	v_add_co_u32_e32 v25, vcc, s14, v25
	v_addc_co_u32_e32 v26, vcc, v29, v26, vcc
	global_load_dwordx2 v[38:39], v[14:15], off
	global_load_dwordx2 v[40:41], v[12:13], off
	;; [unrolled: 1-line block ×4, first 2 shown]
	v_subrev_u32_e32 v10, 17, v8
	global_load_dwordx2 v[14:15], v[25:26], off
	v_lshlrev_b64 v[34:35], 3, v[10:11]
	v_add_u32_e32 v10, -10, v8
	v_add_co_u32_e32 v34, vcc, s12, v34
	v_lshlrev_b64 v[12:13], 3, v[10:11]
	v_addc_co_u32_e32 v35, vcc, v28, v35, vcc
	v_add_u32_e32 v10, -3, v8
	v_add_co_u32_e32 v12, vcc, s12, v12
	v_addc_co_u32_e32 v13, vcc, v28, v13, vcc
	s_waitcnt vmcnt(4)
	v_fmac_f32_e32 v46, v30, v38
	v_fma_f32 v16, -v31, v39, v46
	v_fmac_f32_e32 v20, v31, v38
	s_waitcnt vmcnt(1)
	v_fmac_f32_e32 v18, v45, v38
	v_fmac_f32_e32 v48, v44, v38
	s_waitcnt vmcnt(0)
	v_fmac_f32_e32 v16, v32, v14
	v_fmac_f32_e32 v18, v44, v39
	v_fma_f32 v44, -v33, v15, v16
	v_lshlrev_b64 v[16:17], 3, v[10:11]
	v_subrev_u32_e32 v10, 23, v8
	v_add_co_u32_e32 v16, vcc, s12, v16
	v_lshlrev_b64 v[23:24], 3, v[10:11]
	v_fmac_f32_e32 v20, v30, v39
	v_addc_co_u32_e32 v17, vcc, v28, v17, vcc
	v_fmac_f32_e32 v7, v40, v38
	v_fmac_f32_e32 v22, v41, v38
	;; [unrolled: 1-line block ×5, first 2 shown]
	v_add_co_u32_e32 v23, vcc, s12, v23
	v_fma_f32 v7, -v41, v39, v7
	v_fmac_f32_e32 v22, v40, v39
	v_fma_f32 v43, -v43, v39, v47
	v_fmac_f32_e32 v19, v42, v39
	;; [unrolled: 2-line block ×3, first 2 shown]
	v_addc_co_u32_e32 v24, vcc, v28, v24, vcc
	global_load_dwordx2 v[30:31], v[34:35], off
	global_load_dwordx2 v[32:33], v[12:13], off
	;; [unrolled: 1-line block ×4, first 2 shown]
	v_add_u32_e32 v10, 4, v9
	v_lshlrev_b64 v[25:26], 3, v[10:11]
	v_add_u32_e32 v10, -16, v8
	v_add_co_u32_e32 v25, vcc, s14, v25
	v_addc_co_u32_e32 v26, vcc, v29, v26, vcc
	global_load_dwordx2 v[25:26], v[25:26], off
	v_lshlrev_b64 v[12:13], 3, v[10:11]
	v_add_u32_e32 v10, -9, v8
	v_add_co_u32_e32 v12, vcc, s12, v12
	v_addc_co_u32_e32 v13, vcc, v28, v13, vcc
	s_waitcnt vmcnt(4)
	v_fmac_f32_e32 v7, v30, v14
	v_fmac_f32_e32 v22, v31, v14
	s_waitcnt vmcnt(3)
	v_fmac_f32_e32 v43, v32, v14
	v_fmac_f32_e32 v19, v33, v14
	;; [unrolled: 3-line block ×3, first 2 shown]
	v_fma_f32 v7, -v31, v15, v7
	v_fmac_f32_e32 v22, v30, v15
	v_fma_f32 v43, -v33, v15, v43
	v_fmac_f32_e32 v19, v32, v15
	;; [unrolled: 2-line block ×3, first 2 shown]
	v_lshlrev_b64 v[14:15], 3, v[10:11]
	v_add_u32_e32 v10, -2, v8
	v_add_co_u32_e32 v14, vcc, s12, v14
	v_lshlrev_b64 v[16:17], 3, v[10:11]
	v_addc_co_u32_e32 v15, vcc, v28, v15, vcc
	v_subrev_u32_e32 v10, 22, v8
	v_add_co_u32_e32 v16, vcc, s12, v16
	v_lshlrev_b64 v[23:24], 3, v[10:11]
	v_addc_co_u32_e32 v17, vcc, v28, v17, vcc
	v_add_u32_e32 v10, 5, v9
	v_add_co_u32_e32 v23, vcc, s12, v23
	v_lshlrev_b64 v[30:31], 3, v[10:11]
	v_addc_co_u32_e32 v24, vcc, v28, v24, vcc
	v_add_co_u32_e32 v30, vcc, s14, v30
	v_addc_co_u32_e32 v31, vcc, v29, v31, vcc
	s_waitcnt vmcnt(0)
	v_fmac_f32_e32 v44, v40, v25
	v_fmac_f32_e32 v20, v41, v25
	v_fma_f32 v44, -v41, v26, v44
	v_fmac_f32_e32 v20, v40, v26
	global_load_dwordx2 v[32:33], v[12:13], off
	global_load_dwordx2 v[34:35], v[14:15], off
	;; [unrolled: 1-line block ×4, first 2 shown]
	v_add_u32_e32 v10, -15, v8
	global_load_dwordx2 v[30:31], v[30:31], off
	v_lshlrev_b64 v[12:13], 3, v[10:11]
	v_add_u32_e32 v10, -8, v8
	v_lshlrev_b64 v[14:15], 3, v[10:11]
	v_add_co_u32_e32 v12, vcc, s12, v12
	v_add_u32_e32 v10, -1, v8
	v_addc_co_u32_e32 v13, vcc, v28, v13, vcc
	v_add_co_u32_e32 v14, vcc, s12, v14
	v_lshlrev_b64 v[16:17], 3, v[10:11]
	v_addc_co_u32_e32 v15, vcc, v28, v15, vcc
	v_subrev_u32_e32 v10, 21, v8
	v_lshlrev_b64 v[23:24], 3, v[10:11]
	v_add_co_u32_e32 v16, vcc, s12, v16
	v_addc_co_u32_e32 v17, vcc, v28, v17, vcc
	v_add_co_u32_e32 v23, vcc, s12, v23
	v_addc_co_u32_e32 v24, vcc, v28, v24, vcc
	v_add_u32_e32 v10, 6, v9
	v_lshlrev_b64 v[9:10], 3, v[10:11]
	s_waitcnt vmcnt(4)
	v_fmac_f32_e32 v7, v32, v25
	s_waitcnt vmcnt(3)
	v_fmac_f32_e32 v43, v34, v25
	v_fmac_f32_e32 v19, v35, v25
	s_waitcnt vmcnt(2)
	v_fmac_f32_e32 v42, v38, v25
	;; [unrolled: 3-line block ×3, first 2 shown]
	v_fmac_f32_e32 v20, v41, v30
	v_fma_f32 v45, -v35, v26, v43
	v_fmac_f32_e32 v19, v34, v26
	v_fma_f32 v46, -v39, v26, v42
	;; [unrolled: 2-line block ×3, first 2 shown]
	v_fmac_f32_e32 v20, v40, v31
	global_load_dwordx2 v[34:35], v[12:13], off
	global_load_dwordx2 v[38:39], v[14:15], off
	;; [unrolled: 1-line block ×4, first 2 shown]
	v_fmac_f32_e32 v22, v33, v25
	v_add_co_u32_e32 v25, vcc, s14, v9
	v_fma_f32 v7, -v33, v26, v7
	v_fmac_f32_e32 v22, v32, v26
	v_addc_co_u32_e32 v26, vcc, v29, v10, vcc
	v_add_u32_e32 v10, -14, v8
	v_lshlrev_b64 v[9:10], 3, v[10:11]
	v_add_co_u32_e32 v32, vcc, s12, v9
	v_addc_co_u32_e32 v33, vcc, v28, v10, vcc
	v_add_u32_e32 v10, -7, v8
	v_lshlrev_b64 v[9:10], 3, v[10:11]
	v_add_u32_e32 v8, 0x1c0, v8
	v_add_co_u32_e32 v9, vcc, s12, v9
	v_addc_co_u32_e32 v10, vcc, v28, v10, vcc
	v_cmp_ge_i32_e32 vcc, v6, v21
	s_or_b64 s[0:1], vcc, s[0:1]
	s_waitcnt vmcnt(3)
	v_fmac_f32_e32 v7, v34, v30
	v_fmac_f32_e32 v22, v35, v30
	v_fma_f32 v7, -v35, v31, v7
	v_fmac_f32_e32 v22, v34, v31
	global_load_dwordx2 v[12:13], v[25:26], off
	global_load_dwordx2 v[14:15], v[32:33], off
	;; [unrolled: 1-line block ×4, first 2 shown]
	s_waitcnt vmcnt(6)
	v_fmac_f32_e32 v45, v38, v30
	v_fmac_f32_e32 v19, v39, v30
	s_waitcnt vmcnt(5)
	v_fmac_f32_e32 v46, v40, v30
	v_fmac_f32_e32 v18, v41, v30
	v_fma_f32 v23, -v39, v31, v45
	v_fmac_f32_e32 v19, v38, v31
	v_fma_f32 v9, -v41, v31, v46
	v_fmac_f32_e32 v18, v40, v31
	s_waitcnt vmcnt(3)
	v_fmac_f32_e32 v44, v42, v12
	v_fmac_f32_e32 v20, v43, v12
	s_waitcnt vmcnt(2)
	v_fmac_f32_e32 v7, v14, v12
	;; [unrolled: 3-line block ×4, first 2 shown]
	v_fmac_f32_e32 v18, v35, v12
	v_fma_f32 v25, -v43, v13, v44
	v_fmac_f32_e32 v20, v42, v13
	v_fma_f32 v26, -v15, v13, v7
	;; [unrolled: 2-line block ×4, first 2 shown]
	v_fmac_f32_e32 v18, v34, v13
	s_andn2_b64 exec, exec, s[0:1]
	s_cbranch_execnz .LBB101_13
; %bb.14:
	s_or_b64 exec, exec, s[0:1]
.LBB101_15:
	s_or_b64 exec, exec, s[6:7]
.LBB101_16:
	v_mov_b32_dpp v10, v26 row_shr:1 row_mask:0xf bank_mask:0xf
	v_add_f32_e32 v10, v26, v10
	v_mov_b32_dpp v6, v25 row_shr:1 row_mask:0xf bank_mask:0xf
	v_mov_b32_dpp v8, v20 row_shr:1 row_mask:0xf bank_mask:0xf
	v_mov_b32_dpp v11, v10 row_shr:2 row_mask:0xf bank_mask:0xf
	v_add_f32_e32 v10, v10, v11
	v_add_f32_e32 v6, v25, v6
	v_add_f32_e32 v8, v20, v8
	v_mov_b32_dpp v11, v10 row_shr:4 row_mask:0xf bank_mask:0xe
	v_add_f32_e32 v11, v10, v11
	v_mov_b32_dpp v10, v22 row_shr:1 row_mask:0xf bank_mask:0xf
	v_add_f32_e32 v10, v22, v10
	v_mov_b32_dpp v7, v6 row_shr:2 row_mask:0xf bank_mask:0xf
	v_mov_b32_dpp v9, v8 row_shr:2 row_mask:0xf bank_mask:0xf
	v_mov_b32_dpp v12, v10 row_shr:2 row_mask:0xf bank_mask:0xf
	v_add_f32_e32 v10, v10, v12
	v_add_f32_e32 v6, v6, v7
	v_add_f32_e32 v8, v8, v9
	v_mov_b32_dpp v12, v10 row_shr:4 row_mask:0xf bank_mask:0xe
	v_add_f32_e32 v14, v10, v12
	;; [unrolled: 10-line block ×3, first 2 shown]
	v_mov_b32_dpp v10, v19 row_shr:1 row_mask:0xf bank_mask:0xf
	v_add_f32_e32 v10, v19, v10
	v_mov_b32_dpp v7, v6 row_shr:8 row_mask:0xf bank_mask:0xc
	v_mov_b32_dpp v9, v8 row_shr:8 row_mask:0xf bank_mask:0xc
	;; [unrolled: 1-line block ×3, first 2 shown]
	v_add_f32_e32 v10, v10, v12
	v_mov_b32_dpp v13, v11 row_shr:8 row_mask:0xf bank_mask:0xc
	v_mov_b32_dpp v15, v14 row_shr:8 row_mask:0xf bank_mask:0xc
	;; [unrolled: 1-line block ×3, first 2 shown]
	v_add_f32_e32 v19, v10, v12
	v_mov_b32_dpp v10, v23 row_shr:1 row_mask:0xf bank_mask:0xf
	v_add_f32_e32 v10, v23, v10
	v_mov_b32_dpp v17, v16 row_shr:8 row_mask:0xf bank_mask:0xc
	v_mov_b32_dpp v20, v19 row_shr:8 row_mask:0xf bank_mask:0xc
	v_mov_b32_dpp v12, v10 row_shr:2 row_mask:0xf bank_mask:0xf
	v_add_f32_e32 v10, v10, v12
	v_cmp_eq_u32_e32 vcc, 15, v0
	s_nop 0
	v_mov_b32_dpp v12, v10 row_shr:4 row_mask:0xf bank_mask:0xe
	v_add_f32_e32 v21, v10, v12
	v_mov_b32_dpp v10, v18 row_shr:1 row_mask:0xf bank_mask:0xf
	v_add_f32_e32 v10, v18, v10
	v_mov_b32_dpp v22, v21 row_shr:8 row_mask:0xf bank_mask:0xc
	s_nop 0
	v_mov_b32_dpp v12, v10 row_shr:2 row_mask:0xf bank_mask:0xf
	v_add_f32_e32 v10, v10, v12
	s_nop 1
	v_mov_b32_dpp v12, v10 row_shr:4 row_mask:0xf bank_mask:0xe
	v_add_f32_e32 v18, v10, v12
	s_nop 1
	v_mov_b32_dpp v23, v18 row_shr:8 row_mask:0xf bank_mask:0xc
	s_and_b64 exec, exec, vcc
	s_cbranch_execz .LBB101_21
; %bb.17:
	s_load_dwordx2 s[2:3], s[4:5], 0x38
	v_cmp_eq_f32_e32 vcc, 0, v3
	v_cmp_eq_f32_e64 s[0:1], 0, v4
	v_add_f32_e32 v10, v6, v7
	v_add_f32_e32 v12, v8, v9
	;; [unrolled: 1-line block ×8, first 2 shown]
	s_and_b64 s[0:1], vcc, s[0:1]
	s_and_saveexec_b64 s[4:5], s[0:1]
	s_xor_b64 s[0:1], exec, s[4:5]
	s_cbranch_execz .LBB101_19
; %bb.18:
	v_lshlrev_b32_e32 v3, 2, v5
	v_ashrrev_i32_e32 v4, 31, v3
	v_lshlrev_b64 v[3:4], 3, v[3:4]
	s_waitcnt lgkmcnt(0)
	v_mov_b32_e32 v5, s3
	v_add_co_u32_e32 v17, vcc, s2, v3
	v_addc_co_u32_e32 v18, vcc, v5, v4, vcc
	v_mul_f32_e64 v3, v9, -v2
	v_mul_f32_e32 v4, v1, v9
	v_mul_f32_e64 v13, v12, -v2
	v_mul_f32_e32 v14, v1, v12
	;; [unrolled: 2-line block ×3, first 2 shown]
	v_fmac_f32_e32 v3, v1, v6
	v_fmac_f32_e32 v4, v2, v6
	v_mul_f32_e64 v5, v7, -v2
	v_mul_f32_e32 v6, v1, v7
	v_fmac_f32_e32 v13, v1, v10
	v_fmac_f32_e32 v14, v2, v10
	;; [unrolled: 1-line block ×6, first 2 shown]
	global_store_dwordx4 v[17:18], v[13:16], off
	global_store_dwordx4 v[17:18], v[3:6], off offset:16
                                        ; implicit-def: $vgpr5
                                        ; implicit-def: $vgpr10
                                        ; implicit-def: $vgpr12
                                        ; implicit-def: $vgpr8
                                        ; implicit-def: $vgpr11
                                        ; implicit-def: $vgpr6
                                        ; implicit-def: $vgpr9
                                        ; implicit-def: $vgpr0
                                        ; implicit-def: $vgpr7
                                        ; implicit-def: $vgpr1_vgpr2
                                        ; implicit-def: $vgpr3_vgpr4
.LBB101_19:
	s_andn2_saveexec_b64 s[0:1], s[0:1]
	s_cbranch_execz .LBB101_21
; %bb.20:
	v_lshlrev_b32_e32 v13, 2, v5
	v_ashrrev_i32_e32 v14, 31, v13
	v_lshlrev_b64 v[13:14], 3, v[13:14]
	s_waitcnt lgkmcnt(0)
	v_mov_b32_e32 v5, s3
	v_add_co_u32_e32 v25, vcc, s2, v13
	v_addc_co_u32_e32 v26, vcc, v5, v14, vcc
	global_load_dwordx4 v[13:16], v[25:26], off
	global_load_dwordx4 v[17:20], v[25:26], off offset:16
	v_mul_f32_e64 v5, v12, -v2
	v_mul_f32_e32 v22, v1, v12
	v_mul_f32_e64 v12, v11, -v2
	v_mul_f32_e32 v24, v1, v11
	;; [unrolled: 2-line block ×4, first 2 shown]
	v_fmac_f32_e32 v5, v1, v10
	v_fmac_f32_e32 v22, v2, v10
	;; [unrolled: 1-line block ×8, first 2 shown]
	s_waitcnt vmcnt(1)
	v_fmac_f32_e32 v5, v3, v13
	v_fmac_f32_e32 v22, v4, v13
	;; [unrolled: 1-line block ×4, first 2 shown]
	s_waitcnt vmcnt(0)
	v_fmac_f32_e32 v27, v3, v17
	v_fmac_f32_e32 v9, v4, v17
	;; [unrolled: 1-line block ×4, first 2 shown]
	v_fma_f32 v21, -v4, v14, v5
	v_fmac_f32_e32 v22, v3, v14
	v_fma_f32 v23, -v4, v16, v12
	v_fmac_f32_e32 v24, v3, v16
	;; [unrolled: 2-line block ×4, first 2 shown]
	global_store_dwordx4 v[25:26], v[21:24], off
	global_store_dwordx4 v[25:26], v[8:11], off offset:16
.LBB101_21:
	s_endpgm
	.section	.rodata,"a",@progbits
	.p2align	6, 0x0
	.amdhsa_kernel _ZN9rocsparseL19gebsrmvn_4xn_kernelILj128ELj7ELj16E21rocsparse_complex_numIfEEEvi20rocsparse_direction_NS_24const_host_device_scalarIT2_EEPKiS8_PKS5_SA_S6_PS5_21rocsparse_index_base_b
		.amdhsa_group_segment_fixed_size 0
		.amdhsa_private_segment_fixed_size 0
		.amdhsa_kernarg_size 72
		.amdhsa_user_sgpr_count 6
		.amdhsa_user_sgpr_private_segment_buffer 1
		.amdhsa_user_sgpr_dispatch_ptr 0
		.amdhsa_user_sgpr_queue_ptr 0
		.amdhsa_user_sgpr_kernarg_segment_ptr 1
		.amdhsa_user_sgpr_dispatch_id 0
		.amdhsa_user_sgpr_flat_scratch_init 0
		.amdhsa_user_sgpr_private_segment_size 0
		.amdhsa_uses_dynamic_stack 0
		.amdhsa_system_sgpr_private_segment_wavefront_offset 0
		.amdhsa_system_sgpr_workgroup_id_x 1
		.amdhsa_system_sgpr_workgroup_id_y 0
		.amdhsa_system_sgpr_workgroup_id_z 0
		.amdhsa_system_sgpr_workgroup_info 0
		.amdhsa_system_vgpr_workitem_id 0
		.amdhsa_next_free_vgpr 54
		.amdhsa_next_free_sgpr 16
		.amdhsa_reserve_vcc 1
		.amdhsa_reserve_flat_scratch 0
		.amdhsa_float_round_mode_32 0
		.amdhsa_float_round_mode_16_64 0
		.amdhsa_float_denorm_mode_32 3
		.amdhsa_float_denorm_mode_16_64 3
		.amdhsa_dx10_clamp 1
		.amdhsa_ieee_mode 1
		.amdhsa_fp16_overflow 0
		.amdhsa_exception_fp_ieee_invalid_op 0
		.amdhsa_exception_fp_denorm_src 0
		.amdhsa_exception_fp_ieee_div_zero 0
		.amdhsa_exception_fp_ieee_overflow 0
		.amdhsa_exception_fp_ieee_underflow 0
		.amdhsa_exception_fp_ieee_inexact 0
		.amdhsa_exception_int_div_zero 0
	.end_amdhsa_kernel
	.section	.text._ZN9rocsparseL19gebsrmvn_4xn_kernelILj128ELj7ELj16E21rocsparse_complex_numIfEEEvi20rocsparse_direction_NS_24const_host_device_scalarIT2_EEPKiS8_PKS5_SA_S6_PS5_21rocsparse_index_base_b,"axG",@progbits,_ZN9rocsparseL19gebsrmvn_4xn_kernelILj128ELj7ELj16E21rocsparse_complex_numIfEEEvi20rocsparse_direction_NS_24const_host_device_scalarIT2_EEPKiS8_PKS5_SA_S6_PS5_21rocsparse_index_base_b,comdat
.Lfunc_end101:
	.size	_ZN9rocsparseL19gebsrmvn_4xn_kernelILj128ELj7ELj16E21rocsparse_complex_numIfEEEvi20rocsparse_direction_NS_24const_host_device_scalarIT2_EEPKiS8_PKS5_SA_S6_PS5_21rocsparse_index_base_b, .Lfunc_end101-_ZN9rocsparseL19gebsrmvn_4xn_kernelILj128ELj7ELj16E21rocsparse_complex_numIfEEEvi20rocsparse_direction_NS_24const_host_device_scalarIT2_EEPKiS8_PKS5_SA_S6_PS5_21rocsparse_index_base_b
                                        ; -- End function
	.set _ZN9rocsparseL19gebsrmvn_4xn_kernelILj128ELj7ELj16E21rocsparse_complex_numIfEEEvi20rocsparse_direction_NS_24const_host_device_scalarIT2_EEPKiS8_PKS5_SA_S6_PS5_21rocsparse_index_base_b.num_vgpr, 54
	.set _ZN9rocsparseL19gebsrmvn_4xn_kernelILj128ELj7ELj16E21rocsparse_complex_numIfEEEvi20rocsparse_direction_NS_24const_host_device_scalarIT2_EEPKiS8_PKS5_SA_S6_PS5_21rocsparse_index_base_b.num_agpr, 0
	.set _ZN9rocsparseL19gebsrmvn_4xn_kernelILj128ELj7ELj16E21rocsparse_complex_numIfEEEvi20rocsparse_direction_NS_24const_host_device_scalarIT2_EEPKiS8_PKS5_SA_S6_PS5_21rocsparse_index_base_b.numbered_sgpr, 16
	.set _ZN9rocsparseL19gebsrmvn_4xn_kernelILj128ELj7ELj16E21rocsparse_complex_numIfEEEvi20rocsparse_direction_NS_24const_host_device_scalarIT2_EEPKiS8_PKS5_SA_S6_PS5_21rocsparse_index_base_b.num_named_barrier, 0
	.set _ZN9rocsparseL19gebsrmvn_4xn_kernelILj128ELj7ELj16E21rocsparse_complex_numIfEEEvi20rocsparse_direction_NS_24const_host_device_scalarIT2_EEPKiS8_PKS5_SA_S6_PS5_21rocsparse_index_base_b.private_seg_size, 0
	.set _ZN9rocsparseL19gebsrmvn_4xn_kernelILj128ELj7ELj16E21rocsparse_complex_numIfEEEvi20rocsparse_direction_NS_24const_host_device_scalarIT2_EEPKiS8_PKS5_SA_S6_PS5_21rocsparse_index_base_b.uses_vcc, 1
	.set _ZN9rocsparseL19gebsrmvn_4xn_kernelILj128ELj7ELj16E21rocsparse_complex_numIfEEEvi20rocsparse_direction_NS_24const_host_device_scalarIT2_EEPKiS8_PKS5_SA_S6_PS5_21rocsparse_index_base_b.uses_flat_scratch, 0
	.set _ZN9rocsparseL19gebsrmvn_4xn_kernelILj128ELj7ELj16E21rocsparse_complex_numIfEEEvi20rocsparse_direction_NS_24const_host_device_scalarIT2_EEPKiS8_PKS5_SA_S6_PS5_21rocsparse_index_base_b.has_dyn_sized_stack, 0
	.set _ZN9rocsparseL19gebsrmvn_4xn_kernelILj128ELj7ELj16E21rocsparse_complex_numIfEEEvi20rocsparse_direction_NS_24const_host_device_scalarIT2_EEPKiS8_PKS5_SA_S6_PS5_21rocsparse_index_base_b.has_recursion, 0
	.set _ZN9rocsparseL19gebsrmvn_4xn_kernelILj128ELj7ELj16E21rocsparse_complex_numIfEEEvi20rocsparse_direction_NS_24const_host_device_scalarIT2_EEPKiS8_PKS5_SA_S6_PS5_21rocsparse_index_base_b.has_indirect_call, 0
	.section	.AMDGPU.csdata,"",@progbits
; Kernel info:
; codeLenInByte = 4080
; TotalNumSgprs: 20
; NumVgprs: 54
; ScratchSize: 0
; MemoryBound: 0
; FloatMode: 240
; IeeeMode: 1
; LDSByteSize: 0 bytes/workgroup (compile time only)
; SGPRBlocks: 2
; VGPRBlocks: 13
; NumSGPRsForWavesPerEU: 20
; NumVGPRsForWavesPerEU: 54
; Occupancy: 4
; WaveLimiterHint : 1
; COMPUTE_PGM_RSRC2:SCRATCH_EN: 0
; COMPUTE_PGM_RSRC2:USER_SGPR: 6
; COMPUTE_PGM_RSRC2:TRAP_HANDLER: 0
; COMPUTE_PGM_RSRC2:TGID_X_EN: 1
; COMPUTE_PGM_RSRC2:TGID_Y_EN: 0
; COMPUTE_PGM_RSRC2:TGID_Z_EN: 0
; COMPUTE_PGM_RSRC2:TIDIG_COMP_CNT: 0
	.section	.text._ZN9rocsparseL19gebsrmvn_4xn_kernelILj128ELj7ELj32E21rocsparse_complex_numIfEEEvi20rocsparse_direction_NS_24const_host_device_scalarIT2_EEPKiS8_PKS5_SA_S6_PS5_21rocsparse_index_base_b,"axG",@progbits,_ZN9rocsparseL19gebsrmvn_4xn_kernelILj128ELj7ELj32E21rocsparse_complex_numIfEEEvi20rocsparse_direction_NS_24const_host_device_scalarIT2_EEPKiS8_PKS5_SA_S6_PS5_21rocsparse_index_base_b,comdat
	.globl	_ZN9rocsparseL19gebsrmvn_4xn_kernelILj128ELj7ELj32E21rocsparse_complex_numIfEEEvi20rocsparse_direction_NS_24const_host_device_scalarIT2_EEPKiS8_PKS5_SA_S6_PS5_21rocsparse_index_base_b ; -- Begin function _ZN9rocsparseL19gebsrmvn_4xn_kernelILj128ELj7ELj32E21rocsparse_complex_numIfEEEvi20rocsparse_direction_NS_24const_host_device_scalarIT2_EEPKiS8_PKS5_SA_S6_PS5_21rocsparse_index_base_b
	.p2align	8
	.type	_ZN9rocsparseL19gebsrmvn_4xn_kernelILj128ELj7ELj32E21rocsparse_complex_numIfEEEvi20rocsparse_direction_NS_24const_host_device_scalarIT2_EEPKiS8_PKS5_SA_S6_PS5_21rocsparse_index_base_b,@function
_ZN9rocsparseL19gebsrmvn_4xn_kernelILj128ELj7ELj32E21rocsparse_complex_numIfEEEvi20rocsparse_direction_NS_24const_host_device_scalarIT2_EEPKiS8_PKS5_SA_S6_PS5_21rocsparse_index_base_b: ; @_ZN9rocsparseL19gebsrmvn_4xn_kernelILj128ELj7ELj32E21rocsparse_complex_numIfEEEvi20rocsparse_direction_NS_24const_host_device_scalarIT2_EEPKiS8_PKS5_SA_S6_PS5_21rocsparse_index_base_b
; %bb.0:
	s_load_dwordx2 s[0:1], s[4:5], 0x8
	s_load_dwordx2 s[8:9], s[4:5], 0x30
	;; [unrolled: 1-line block ×3, first 2 shown]
	s_add_u32 s7, s4, 8
	s_addc_u32 s10, s5, 0
	s_add_u32 s11, s4, 48
	s_addc_u32 s12, s5, 0
	s_waitcnt lgkmcnt(0)
	s_bitcmp1_b32 s3, 0
	s_cselect_b32 s1, s10, s1
	s_cselect_b32 s0, s7, s0
	v_mov_b32_e32 v1, s0
	v_mov_b32_e32 v2, s1
	flat_load_dwordx2 v[1:2], v[1:2]
	s_cselect_b32 s0, s12, s9
	s_cselect_b32 s1, s11, s8
	v_mov_b32_e32 v3, s1
	v_mov_b32_e32 v4, s0
	flat_load_dwordx2 v[3:4], v[3:4]
	s_waitcnt vmcnt(0) lgkmcnt(0)
	v_cmp_eq_f32_e32 vcc, 0, v1
	v_cmp_eq_f32_e64 s[0:1], 0, v2
	s_and_b64 s[10:11], vcc, s[0:1]
	s_mov_b64 s[0:1], -1
	s_and_saveexec_b64 s[8:9], s[10:11]
; %bb.1:
	v_cmp_neq_f32_e32 vcc, 1.0, v3
	v_cmp_neq_f32_e64 s[0:1], 0, v4
	s_or_b64 s[0:1], vcc, s[0:1]
	s_orn2_b64 s[0:1], s[0:1], exec
; %bb.2:
	s_or_b64 exec, exec, s[8:9]
	s_and_saveexec_b64 s[8:9], s[0:1]
	s_cbranch_execz .LBB102_21
; %bb.3:
	s_load_dwordx2 s[0:1], s[4:5], 0x0
	v_lshrrev_b32_e32 v5, 5, v0
	v_lshl_or_b32 v5, s6, 2, v5
	s_waitcnt lgkmcnt(0)
	v_cmp_gt_i32_e32 vcc, s0, v5
	s_and_b64 exec, exec, vcc
	s_cbranch_execz .LBB102_21
; %bb.4:
	s_load_dwordx8 s[8:15], s[4:5], 0x10
	v_ashrrev_i32_e32 v6, 31, v5
	v_lshlrev_b64 v[6:7], 2, v[5:6]
	v_and_b32_e32 v0, 31, v0
	s_cmp_lg_u32 s1, 0
	s_waitcnt lgkmcnt(0)
	v_mov_b32_e32 v8, s9
	v_add_co_u32_e32 v6, vcc, s8, v6
	v_addc_co_u32_e32 v7, vcc, v8, v7, vcc
	global_load_dwordx2 v[6:7], v[6:7], off
	s_waitcnt vmcnt(0)
	v_subrev_u32_e32 v6, s2, v6
	v_subrev_u32_e32 v21, s2, v7
	v_add_u32_e32 v6, v6, v0
	v_cmp_lt_i32_e64 s[0:1], v6, v21
	s_cbranch_scc0 .LBB102_10
; %bb.5:
	v_mov_b32_e32 v20, 0
	v_mov_b32_e32 v25, 0
	;; [unrolled: 1-line block ×8, first 2 shown]
	s_and_saveexec_b64 s[6:7], s[0:1]
	s_cbranch_execz .LBB102_9
; %bb.6:
	v_mad_u64_u32 v[7:8], s[8:9], v6, 28, 24
	v_mov_b32_e32 v10, 0
	s_mov_b64 s[8:9], 0
	v_mov_b32_e32 v13, s11
	v_mov_b32_e32 v14, s13
	;; [unrolled: 1-line block ×12, first 2 shown]
.LBB102_7:                              ; =>This Inner Loop Header: Depth=1
	v_ashrrev_i32_e32 v12, 31, v11
	v_lshlrev_b64 v[27:28], 2, v[11:12]
	v_subrev_u32_e32 v9, 24, v7
	v_lshlrev_b64 v[29:30], 3, v[9:10]
	v_add_co_u32_e32 v35, vcc, s10, v27
	v_mov_b32_e32 v8, v10
	v_addc_co_u32_e32 v36, vcc, v13, v28, vcc
	v_lshlrev_b64 v[31:32], 3, v[7:8]
	v_add_co_u32_e32 v37, vcc, s12, v29
	v_addc_co_u32_e32 v38, vcc, v14, v30, vcc
	v_add_co_u32_e32 v43, vcc, s12, v31
	v_addc_co_u32_e32 v44, vcc, v14, v32, vcc
	global_load_dword v12, v[35:36], off
	global_load_dwordx4 v[27:30], v[37:38], off
	global_load_dwordx4 v[31:34], v[37:38], off offset:16
	v_subrev_u32_e32 v9, 20, v7
	v_lshlrev_b64 v[8:9], 3, v[9:10]
	v_mov_b32_e32 v17, v10
	v_add_co_u32_e32 v8, vcc, s12, v8
	global_load_dwordx4 v[35:38], v[43:44], off
	global_load_dwordx4 v[39:42], v[43:44], off offset:16
	v_addc_co_u32_e32 v9, vcc, v14, v9, vcc
	v_add_u32_e32 v11, 32, v11
	s_waitcnt vmcnt(4)
	v_subrev_u32_e32 v12, s2, v12
	v_mul_lo_u32 v16, v12, 7
	v_lshlrev_b64 v[43:44], 3, v[16:17]
	v_add_co_u32_e32 v47, vcc, s14, v43
	v_addc_co_u32_e32 v48, vcc, v15, v44, vcc
	global_load_dwordx4 v[43:46], v[8:9], off
	global_load_dwordx2 v[49:50], v[47:48], off
	s_waitcnt vmcnt(0)
	v_fmac_f32_e32 v25, v27, v49
	v_fmac_f32_e32 v20, v28, v49
	;; [unrolled: 1-line block ×4, first 2 shown]
	v_fma_f32 v12, -v28, v50, v25
	v_fmac_f32_e32 v20, v27, v50
	v_fma_f32 v17, -v30, v50, v26
	global_load_dwordx4 v[25:28], v[8:9], off offset:16
	v_add_u32_e32 v9, 1, v16
	v_fmac_f32_e32 v22, v29, v50
	v_lshlrev_b64 v[29:30], 3, v[9:10]
	v_fmac_f32_e32 v23, v33, v49
	v_add_co_u32_e32 v29, vcc, s14, v29
	v_fmac_f32_e32 v18, v34, v49
	v_addc_co_u32_e32 v30, vcc, v15, v30, vcc
	v_fma_f32 v51, -v34, v50, v23
	v_fmac_f32_e32 v18, v33, v50
	global_load_dwordx2 v[33:34], v[29:30], off
	v_add_u32_e32 v9, -16, v7
	v_fmac_f32_e32 v24, v31, v49
	v_fma_f32 v8, -v32, v50, v24
	v_lshlrev_b64 v[23:24], 3, v[9:10]
	v_fmac_f32_e32 v19, v32, v49
	v_add_u32_e32 v9, 2, v16
	v_fmac_f32_e32 v19, v31, v50
	v_lshlrev_b64 v[31:32], 3, v[9:10]
	v_add_co_u32_e32 v23, vcc, s12, v23
	v_addc_co_u32_e32 v24, vcc, v14, v24, vcc
	v_add_co_u32_e32 v47, vcc, s14, v31
	v_addc_co_u32_e32 v48, vcc, v15, v32, vcc
	global_load_dwordx4 v[29:32], v[23:24], off
	v_add_u32_e32 v9, -12, v7
	v_lshlrev_b64 v[49:50], 3, v[9:10]
	v_add_u32_e32 v9, 3, v16
	s_waitcnt vmcnt(1)
	v_fmac_f32_e32 v12, v43, v33
	v_fmac_f32_e32 v20, v44, v33
	v_fmac_f32_e32 v17, v45, v33
	v_fmac_f32_e32 v22, v46, v33
	v_fmac_f32_e32 v8, v25, v33
	v_fmac_f32_e32 v19, v26, v33
	v_fmac_f32_e32 v51, v27, v33
	v_fmac_f32_e32 v18, v28, v33
	v_fma_f32 v12, -v44, v34, v12
	v_fmac_f32_e32 v20, v43, v34
	v_fma_f32 v17, -v46, v34, v17
	v_fmac_f32_e32 v22, v45, v34
	;; [unrolled: 2-line block ×4, first 2 shown]
	global_load_dwordx2 v[33:34], v[47:48], off
	v_lshlrev_b64 v[27:28], 3, v[9:10]
	global_load_dwordx4 v[23:26], v[23:24], off offset:16
	v_add_co_u32_e32 v43, vcc, s12, v49
	v_addc_co_u32_e32 v44, vcc, v14, v50, vcc
	v_add_co_u32_e32 v45, vcc, s14, v27
	v_addc_co_u32_e32 v46, vcc, v15, v28, vcc
	v_add_u32_e32 v9, -8, v7
	v_lshlrev_b64 v[47:48], 3, v[9:10]
	v_add_u32_e32 v9, 4, v16
	s_waitcnt vmcnt(1)
	v_fmac_f32_e32 v12, v29, v33
	v_fmac_f32_e32 v20, v30, v33
	;; [unrolled: 1-line block ×4, first 2 shown]
	v_fma_f32 v12, -v30, v34, v12
	v_fmac_f32_e32 v20, v29, v34
	global_load_dwordx4 v[27:30], v[43:44], off
	s_waitcnt vmcnt(1)
	v_fmac_f32_e32 v8, v23, v33
	v_fmac_f32_e32 v19, v24, v33
	;; [unrolled: 1-line block ×4, first 2 shown]
	v_fma_f32 v17, -v32, v34, v17
	v_fmac_f32_e32 v22, v31, v34
	v_fma_f32 v8, -v24, v34, v8
	v_fmac_f32_e32 v19, v23, v34
	;; [unrolled: 2-line block ×3, first 2 shown]
	global_load_dwordx4 v[23:26], v[43:44], off offset:16
	global_load_dwordx2 v[33:34], v[45:46], off
	v_lshlrev_b64 v[31:32], 3, v[9:10]
	v_add_co_u32_e32 v43, vcc, s12, v47
	v_addc_co_u32_e32 v44, vcc, v14, v48, vcc
	v_add_u32_e32 v9, -4, v7
	v_add_co_u32_e32 v31, vcc, s14, v31
	v_addc_co_u32_e32 v32, vcc, v15, v32, vcc
	v_lshlrev_b64 v[45:46], 3, v[9:10]
	v_add_u32_e32 v9, 5, v16
	v_add_u32_e32 v7, 0x380, v7
	s_waitcnt vmcnt(0)
	v_fmac_f32_e32 v12, v27, v33
	v_fmac_f32_e32 v20, v28, v33
	;; [unrolled: 1-line block ×8, first 2 shown]
	v_fma_f32 v12, -v28, v34, v12
	v_fmac_f32_e32 v20, v27, v34
	v_fma_f32 v47, -v30, v34, v17
	v_fmac_f32_e32 v22, v29, v34
	global_load_dwordx4 v[27:30], v[43:44], off
	v_fma_f32 v51, -v24, v34, v8
	v_fmac_f32_e32 v19, v23, v34
	v_fma_f32 v52, -v26, v34, v49
	v_fmac_f32_e32 v18, v25, v34
	v_lshlrev_b64 v[33:34], 3, v[9:10]
	v_add_u32_e32 v9, 6, v16
	global_load_dwordx2 v[16:17], v[31:32], off
	global_load_dwordx4 v[23:26], v[43:44], off offset:16
	v_add_co_u32_e32 v43, vcc, s12, v45
	v_addc_co_u32_e32 v44, vcc, v14, v46, vcc
	v_lshlrev_b64 v[8:9], 3, v[9:10]
	v_add_co_u32_e32 v45, vcc, s14, v33
	v_addc_co_u32_e32 v46, vcc, v15, v34, vcc
	v_add_co_u32_e32 v8, vcc, s14, v8
	v_addc_co_u32_e32 v9, vcc, v15, v9, vcc
	v_cmp_ge_i32_e32 vcc, v11, v21
	s_or_b64 s[8:9], vcc, s[8:9]
	s_waitcnt vmcnt(1)
	v_fmac_f32_e32 v12, v27, v16
	v_fmac_f32_e32 v20, v28, v16
	;; [unrolled: 1-line block ×4, first 2 shown]
	v_fma_f32 v12, -v28, v17, v12
	v_fmac_f32_e32 v20, v27, v17
	v_fma_f32 v53, -v30, v17, v47
	v_fmac_f32_e32 v22, v29, v17
	global_load_dwordx4 v[27:30], v[43:44], off
	global_load_dwordx4 v[31:34], v[43:44], off offset:16
	global_load_dwordx2 v[47:48], v[45:46], off
	global_load_dwordx2 v[49:50], v[8:9], off
	s_waitcnt vmcnt(4)
	v_fmac_f32_e32 v51, v23, v16
	v_fmac_f32_e32 v19, v24, v16
	;; [unrolled: 1-line block ×4, first 2 shown]
	v_fma_f32 v8, -v24, v17, v51
	v_fmac_f32_e32 v19, v23, v17
	v_fma_f32 v9, -v26, v17, v52
	v_fmac_f32_e32 v18, v25, v17
	s_waitcnt vmcnt(1)
	v_fmac_f32_e32 v12, v27, v47
	v_fmac_f32_e32 v20, v28, v47
	;; [unrolled: 1-line block ×8, first 2 shown]
	v_fma_f32 v12, -v28, v48, v12
	v_fmac_f32_e32 v20, v27, v48
	v_fma_f32 v16, -v30, v48, v53
	v_fmac_f32_e32 v22, v29, v48
	;; [unrolled: 2-line block ×4, first 2 shown]
	s_waitcnt vmcnt(0)
	v_fmac_f32_e32 v12, v35, v49
	v_fmac_f32_e32 v20, v36, v49
	;; [unrolled: 1-line block ×8, first 2 shown]
	v_fma_f32 v25, -v36, v50, v12
	v_fmac_f32_e32 v20, v35, v50
	v_fma_f32 v26, -v38, v50, v16
	v_fmac_f32_e32 v22, v37, v50
	;; [unrolled: 2-line block ×4, first 2 shown]
	s_andn2_b64 exec, exec, s[8:9]
	s_cbranch_execnz .LBB102_7
; %bb.8:
	s_or_b64 exec, exec, s[8:9]
.LBB102_9:
	s_or_b64 exec, exec, s[6:7]
	s_cbranch_execz .LBB102_11
	s_branch .LBB102_16
.LBB102_10:
                                        ; implicit-def: $vgpr20
                                        ; implicit-def: $vgpr25
                                        ; implicit-def: $vgpr23
                                        ; implicit-def: $vgpr18
                                        ; implicit-def: $vgpr24
                                        ; implicit-def: $vgpr19
                                        ; implicit-def: $vgpr26
                                        ; implicit-def: $vgpr22
.LBB102_11:
	v_mov_b32_e32 v20, 0
	v_mov_b32_e32 v25, 0
	;; [unrolled: 1-line block ×8, first 2 shown]
	s_and_saveexec_b64 s[6:7], s[0:1]
	s_cbranch_execz .LBB102_15
; %bb.12:
	v_mad_u64_u32 v[8:9], s[0:1], v6, 28, 27
	v_mov_b32_e32 v11, 0
	s_mov_b64 s[0:1], 0
	v_mov_b32_e32 v27, s11
	v_mov_b32_e32 v28, s13
	;; [unrolled: 1-line block ×11, first 2 shown]
.LBB102_13:                             ; =>This Inner Loop Header: Depth=1
	v_ashrrev_i32_e32 v7, 31, v6
	v_lshlrev_b64 v[30:31], 2, v[6:7]
	v_subrev_u32_e32 v10, 27, v8
	v_add_co_u32_e32 v30, vcc, s10, v30
	v_addc_co_u32_e32 v31, vcc, v27, v31, vcc
	global_load_dword v7, v[30:31], off
	v_lshlrev_b64 v[32:33], 3, v[10:11]
	v_subrev_u32_e32 v12, 20, v8
	v_mov_b32_e32 v13, v11
	v_lshlrev_b64 v[12:13], 3, v[12:13]
	v_add_co_u32_e32 v34, vcc, s12, v32
	v_add_u32_e32 v14, -13, v8
	v_mov_b32_e32 v15, v11
	v_addc_co_u32_e32 v35, vcc, v28, v33, vcc
	v_lshlrev_b64 v[14:15], 3, v[14:15]
	v_add_co_u32_e32 v12, vcc, s12, v12
	v_add_u32_e32 v16, -6, v8
	v_mov_b32_e32 v17, v11
	v_addc_co_u32_e32 v13, vcc, v28, v13, vcc
	v_lshlrev_b64 v[16:17], 3, v[16:17]
	v_add_co_u32_e32 v14, vcc, s12, v14
	v_mov_b32_e32 v9, v11
	v_addc_co_u32_e32 v15, vcc, v28, v15, vcc
	v_lshlrev_b64 v[9:10], 3, v[8:9]
	v_add_co_u32_e32 v16, vcc, s12, v16
	v_addc_co_u32_e32 v17, vcc, v28, v17, vcc
	v_add_co_u32_e32 v36, vcc, s12, v9
	v_addc_co_u32_e32 v37, vcc, v28, v10, vcc
	v_mov_b32_e32 v10, v11
	v_add_u32_e32 v6, 32, v6
	s_waitcnt vmcnt(0)
	v_subrev_u32_e32 v7, s2, v7
	v_mul_lo_u32 v9, v7, 7
	v_lshlrev_b64 v[30:31], 3, v[9:10]
	v_add_u32_e32 v10, 1, v9
	v_add_co_u32_e32 v30, vcc, s14, v30
	v_lshlrev_b64 v[32:33], 3, v[10:11]
	v_addc_co_u32_e32 v31, vcc, v29, v31, vcc
	v_add_co_u32_e32 v38, vcc, s14, v32
	v_addc_co_u32_e32 v39, vcc, v29, v33, vcc
	global_load_dwordx2 v[32:33], v[12:13], off
	global_load_dwordx2 v[40:41], v[14:15], off
	;; [unrolled: 1-line block ×4, first 2 shown]
	v_subrev_u32_e32 v10, 19, v8
	s_waitcnt vmcnt(0)
	v_fmac_f32_e32 v26, v32, v44
	v_fmac_f32_e32 v22, v33, v44
	v_fma_f32 v7, -v33, v45, v26
	v_fmac_f32_e32 v22, v32, v45
	global_load_dwordx4 v[12:15], v[34:35], off
	global_load_dwordx4 v[30:33], v[34:35], off offset:16
	v_fmac_f32_e32 v24, v40, v44
	v_fmac_f32_e32 v19, v41, v44
	v_fmac_f32_e32 v23, v42, v44
	v_fma_f32 v41, -v41, v45, v24
	v_fmac_f32_e32 v19, v40, v45
	v_fma_f32 v40, -v43, v45, v23
	v_fmac_f32_e32 v18, v43, v44
	v_fmac_f32_e32 v18, v42, v45
	s_waitcnt vmcnt(1)
	v_fmac_f32_e32 v25, v12, v44
	v_fmac_f32_e32 v20, v13, v44
	v_fma_f32 v16, -v13, v45, v25
	v_fmac_f32_e32 v20, v12, v45
	global_load_dwordx2 v[12:13], v[38:39], off
	s_waitcnt vmcnt(0)
	v_fmac_f32_e32 v16, v14, v12
	v_fmac_f32_e32 v20, v15, v12
	v_fma_f32 v46, -v15, v13, v16
	v_fmac_f32_e32 v20, v14, v13
	v_lshlrev_b64 v[14:15], 3, v[10:11]
	v_add_u32_e32 v10, -12, v8
	v_add_co_u32_e32 v14, vcc, s12, v14
	v_lshlrev_b64 v[16:17], 3, v[10:11]
	v_addc_co_u32_e32 v15, vcc, v28, v15, vcc
	v_add_u32_e32 v10, -5, v8
	v_add_co_u32_e32 v16, vcc, s12, v16
	v_lshlrev_b64 v[23:24], 3, v[10:11]
	v_addc_co_u32_e32 v17, vcc, v28, v17, vcc
	v_add_co_u32_e32 v23, vcc, s12, v23
	v_addc_co_u32_e32 v24, vcc, v28, v24, vcc
	global_load_dwordx2 v[25:26], v[14:15], off
	global_load_dwordx2 v[34:35], v[16:17], off
	;; [unrolled: 1-line block ×3, first 2 shown]
	v_add_u32_e32 v10, 2, v9
	v_lshlrev_b64 v[14:15], 3, v[10:11]
	v_subrev_u32_e32 v10, 18, v8
	v_add_co_u32_e32 v14, vcc, s14, v14
	v_addc_co_u32_e32 v15, vcc, v29, v15, vcc
	s_waitcnt vmcnt(2)
	v_fmac_f32_e32 v7, v25, v12
	v_fmac_f32_e32 v22, v26, v12
	s_waitcnt vmcnt(1)
	v_fmac_f32_e32 v41, v34, v12
	v_fmac_f32_e32 v19, v35, v12
	;; [unrolled: 3-line block ×3, first 2 shown]
	v_fma_f32 v7, -v26, v13, v7
	v_fmac_f32_e32 v22, v25, v13
	v_fma_f32 v47, -v35, v13, v41
	v_fmac_f32_e32 v19, v34, v13
	;; [unrolled: 2-line block ×3, first 2 shown]
	v_lshlrev_b64 v[12:13], 3, v[10:11]
	v_add_u32_e32 v10, -11, v8
	v_add_co_u32_e32 v12, vcc, s12, v12
	v_lshlrev_b64 v[16:17], 3, v[10:11]
	v_addc_co_u32_e32 v13, vcc, v28, v13, vcc
	v_add_u32_e32 v10, -4, v8
	v_add_co_u32_e32 v16, vcc, s12, v16
	v_lshlrev_b64 v[23:24], 3, v[10:11]
	v_addc_co_u32_e32 v17, vcc, v28, v17, vcc
	v_add_u32_e32 v10, 3, v9
	v_add_co_u32_e32 v23, vcc, s12, v23
	v_lshlrev_b64 v[25:26], 3, v[10:11]
	v_addc_co_u32_e32 v24, vcc, v28, v24, vcc
	v_add_co_u32_e32 v25, vcc, s14, v25
	v_addc_co_u32_e32 v26, vcc, v29, v26, vcc
	global_load_dwordx2 v[38:39], v[14:15], off
	global_load_dwordx2 v[40:41], v[12:13], off
	;; [unrolled: 1-line block ×4, first 2 shown]
	v_subrev_u32_e32 v10, 17, v8
	global_load_dwordx2 v[14:15], v[25:26], off
	v_lshlrev_b64 v[34:35], 3, v[10:11]
	v_add_u32_e32 v10, -10, v8
	v_add_co_u32_e32 v34, vcc, s12, v34
	v_lshlrev_b64 v[12:13], 3, v[10:11]
	v_addc_co_u32_e32 v35, vcc, v28, v35, vcc
	v_add_u32_e32 v10, -3, v8
	v_add_co_u32_e32 v12, vcc, s12, v12
	v_addc_co_u32_e32 v13, vcc, v28, v13, vcc
	s_waitcnt vmcnt(4)
	v_fmac_f32_e32 v46, v30, v38
	v_fma_f32 v16, -v31, v39, v46
	v_fmac_f32_e32 v20, v31, v38
	s_waitcnt vmcnt(1)
	v_fmac_f32_e32 v18, v45, v38
	v_fmac_f32_e32 v48, v44, v38
	s_waitcnt vmcnt(0)
	v_fmac_f32_e32 v16, v32, v14
	v_fmac_f32_e32 v18, v44, v39
	v_fma_f32 v44, -v33, v15, v16
	v_lshlrev_b64 v[16:17], 3, v[10:11]
	v_subrev_u32_e32 v10, 23, v8
	v_add_co_u32_e32 v16, vcc, s12, v16
	v_lshlrev_b64 v[23:24], 3, v[10:11]
	v_fmac_f32_e32 v20, v30, v39
	v_addc_co_u32_e32 v17, vcc, v28, v17, vcc
	v_fmac_f32_e32 v7, v40, v38
	v_fmac_f32_e32 v22, v41, v38
	;; [unrolled: 1-line block ×5, first 2 shown]
	v_add_co_u32_e32 v23, vcc, s12, v23
	v_fma_f32 v7, -v41, v39, v7
	v_fmac_f32_e32 v22, v40, v39
	v_fma_f32 v43, -v43, v39, v47
	v_fmac_f32_e32 v19, v42, v39
	;; [unrolled: 2-line block ×3, first 2 shown]
	v_addc_co_u32_e32 v24, vcc, v28, v24, vcc
	global_load_dwordx2 v[30:31], v[34:35], off
	global_load_dwordx2 v[32:33], v[12:13], off
	;; [unrolled: 1-line block ×4, first 2 shown]
	v_add_u32_e32 v10, 4, v9
	v_lshlrev_b64 v[25:26], 3, v[10:11]
	v_add_u32_e32 v10, -16, v8
	v_add_co_u32_e32 v25, vcc, s14, v25
	v_addc_co_u32_e32 v26, vcc, v29, v26, vcc
	global_load_dwordx2 v[25:26], v[25:26], off
	v_lshlrev_b64 v[12:13], 3, v[10:11]
	v_add_u32_e32 v10, -9, v8
	v_add_co_u32_e32 v12, vcc, s12, v12
	v_addc_co_u32_e32 v13, vcc, v28, v13, vcc
	s_waitcnt vmcnt(4)
	v_fmac_f32_e32 v7, v30, v14
	v_fmac_f32_e32 v22, v31, v14
	s_waitcnt vmcnt(3)
	v_fmac_f32_e32 v43, v32, v14
	v_fmac_f32_e32 v19, v33, v14
	;; [unrolled: 3-line block ×3, first 2 shown]
	v_fma_f32 v7, -v31, v15, v7
	v_fmac_f32_e32 v22, v30, v15
	v_fma_f32 v43, -v33, v15, v43
	v_fmac_f32_e32 v19, v32, v15
	;; [unrolled: 2-line block ×3, first 2 shown]
	v_lshlrev_b64 v[14:15], 3, v[10:11]
	v_add_u32_e32 v10, -2, v8
	v_add_co_u32_e32 v14, vcc, s12, v14
	v_lshlrev_b64 v[16:17], 3, v[10:11]
	v_addc_co_u32_e32 v15, vcc, v28, v15, vcc
	v_subrev_u32_e32 v10, 22, v8
	v_add_co_u32_e32 v16, vcc, s12, v16
	v_lshlrev_b64 v[23:24], 3, v[10:11]
	v_addc_co_u32_e32 v17, vcc, v28, v17, vcc
	v_add_u32_e32 v10, 5, v9
	v_add_co_u32_e32 v23, vcc, s12, v23
	v_lshlrev_b64 v[30:31], 3, v[10:11]
	v_addc_co_u32_e32 v24, vcc, v28, v24, vcc
	v_add_co_u32_e32 v30, vcc, s14, v30
	v_addc_co_u32_e32 v31, vcc, v29, v31, vcc
	s_waitcnt vmcnt(0)
	v_fmac_f32_e32 v44, v40, v25
	v_fmac_f32_e32 v20, v41, v25
	v_fma_f32 v44, -v41, v26, v44
	v_fmac_f32_e32 v20, v40, v26
	global_load_dwordx2 v[32:33], v[12:13], off
	global_load_dwordx2 v[34:35], v[14:15], off
	;; [unrolled: 1-line block ×4, first 2 shown]
	v_add_u32_e32 v10, -15, v8
	global_load_dwordx2 v[30:31], v[30:31], off
	v_lshlrev_b64 v[12:13], 3, v[10:11]
	v_add_u32_e32 v10, -8, v8
	v_lshlrev_b64 v[14:15], 3, v[10:11]
	v_add_co_u32_e32 v12, vcc, s12, v12
	v_add_u32_e32 v10, -1, v8
	v_addc_co_u32_e32 v13, vcc, v28, v13, vcc
	v_add_co_u32_e32 v14, vcc, s12, v14
	v_lshlrev_b64 v[16:17], 3, v[10:11]
	v_addc_co_u32_e32 v15, vcc, v28, v15, vcc
	v_subrev_u32_e32 v10, 21, v8
	v_lshlrev_b64 v[23:24], 3, v[10:11]
	v_add_co_u32_e32 v16, vcc, s12, v16
	v_addc_co_u32_e32 v17, vcc, v28, v17, vcc
	v_add_co_u32_e32 v23, vcc, s12, v23
	v_addc_co_u32_e32 v24, vcc, v28, v24, vcc
	v_add_u32_e32 v10, 6, v9
	v_lshlrev_b64 v[9:10], 3, v[10:11]
	s_waitcnt vmcnt(4)
	v_fmac_f32_e32 v7, v32, v25
	s_waitcnt vmcnt(3)
	v_fmac_f32_e32 v43, v34, v25
	v_fmac_f32_e32 v19, v35, v25
	s_waitcnt vmcnt(2)
	v_fmac_f32_e32 v42, v38, v25
	;; [unrolled: 3-line block ×3, first 2 shown]
	v_fmac_f32_e32 v20, v41, v30
	v_fma_f32 v45, -v35, v26, v43
	v_fmac_f32_e32 v19, v34, v26
	v_fma_f32 v46, -v39, v26, v42
	;; [unrolled: 2-line block ×3, first 2 shown]
	v_fmac_f32_e32 v20, v40, v31
	global_load_dwordx2 v[34:35], v[12:13], off
	global_load_dwordx2 v[38:39], v[14:15], off
	;; [unrolled: 1-line block ×4, first 2 shown]
	v_fmac_f32_e32 v22, v33, v25
	v_add_co_u32_e32 v25, vcc, s14, v9
	v_fma_f32 v7, -v33, v26, v7
	v_fmac_f32_e32 v22, v32, v26
	v_addc_co_u32_e32 v26, vcc, v29, v10, vcc
	v_add_u32_e32 v10, -14, v8
	v_lshlrev_b64 v[9:10], 3, v[10:11]
	v_add_co_u32_e32 v32, vcc, s12, v9
	v_addc_co_u32_e32 v33, vcc, v28, v10, vcc
	v_add_u32_e32 v10, -7, v8
	v_lshlrev_b64 v[9:10], 3, v[10:11]
	v_add_u32_e32 v8, 0x380, v8
	v_add_co_u32_e32 v9, vcc, s12, v9
	v_addc_co_u32_e32 v10, vcc, v28, v10, vcc
	v_cmp_ge_i32_e32 vcc, v6, v21
	s_or_b64 s[0:1], vcc, s[0:1]
	s_waitcnt vmcnt(3)
	v_fmac_f32_e32 v7, v34, v30
	v_fmac_f32_e32 v22, v35, v30
	v_fma_f32 v7, -v35, v31, v7
	v_fmac_f32_e32 v22, v34, v31
	global_load_dwordx2 v[12:13], v[25:26], off
	global_load_dwordx2 v[14:15], v[32:33], off
	;; [unrolled: 1-line block ×4, first 2 shown]
	s_waitcnt vmcnt(6)
	v_fmac_f32_e32 v45, v38, v30
	v_fmac_f32_e32 v19, v39, v30
	s_waitcnt vmcnt(5)
	v_fmac_f32_e32 v46, v40, v30
	v_fmac_f32_e32 v18, v41, v30
	v_fma_f32 v23, -v39, v31, v45
	v_fmac_f32_e32 v19, v38, v31
	v_fma_f32 v9, -v41, v31, v46
	v_fmac_f32_e32 v18, v40, v31
	s_waitcnt vmcnt(3)
	v_fmac_f32_e32 v44, v42, v12
	v_fmac_f32_e32 v20, v43, v12
	s_waitcnt vmcnt(2)
	v_fmac_f32_e32 v7, v14, v12
	;; [unrolled: 3-line block ×4, first 2 shown]
	v_fmac_f32_e32 v18, v35, v12
	v_fma_f32 v25, -v43, v13, v44
	v_fmac_f32_e32 v20, v42, v13
	v_fma_f32 v26, -v15, v13, v7
	;; [unrolled: 2-line block ×4, first 2 shown]
	v_fmac_f32_e32 v18, v34, v13
	s_andn2_b64 exec, exec, s[0:1]
	s_cbranch_execnz .LBB102_13
; %bb.14:
	s_or_b64 exec, exec, s[0:1]
.LBB102_15:
	s_or_b64 exec, exec, s[6:7]
.LBB102_16:
	v_mov_b32_dpp v10, v26 row_shr:1 row_mask:0xf bank_mask:0xf
	v_add_f32_e32 v10, v26, v10
	v_mov_b32_dpp v6, v25 row_shr:1 row_mask:0xf bank_mask:0xf
	v_mov_b32_dpp v8, v20 row_shr:1 row_mask:0xf bank_mask:0xf
	;; [unrolled: 1-line block ×3, first 2 shown]
	v_add_f32_e32 v10, v10, v11
	v_add_f32_e32 v6, v25, v6
	;; [unrolled: 1-line block ×3, first 2 shown]
	v_mov_b32_dpp v11, v10 row_shr:4 row_mask:0xf bank_mask:0xe
	v_add_f32_e32 v10, v10, v11
	v_mov_b32_dpp v7, v6 row_shr:2 row_mask:0xf bank_mask:0xf
	v_mov_b32_dpp v9, v8 row_shr:2 row_mask:0xf bank_mask:0xf
	;; [unrolled: 1-line block ×3, first 2 shown]
	v_add_f32_e32 v11, v10, v11
	v_mov_b32_dpp v10, v22 row_shr:1 row_mask:0xf bank_mask:0xf
	v_add_f32_e32 v10, v22, v10
	v_add_f32_e32 v6, v6, v7
	v_add_f32_e32 v8, v8, v9
	v_mov_b32_dpp v12, v10 row_shr:2 row_mask:0xf bank_mask:0xf
	v_add_f32_e32 v10, v10, v12
	v_mov_b32_dpp v7, v6 row_shr:4 row_mask:0xf bank_mask:0xe
	v_mov_b32_dpp v9, v8 row_shr:4 row_mask:0xf bank_mask:0xe
	;; [unrolled: 1-line block ×3, first 2 shown]
	v_add_f32_e32 v10, v10, v12
	v_add_f32_e32 v6, v6, v7
	;; [unrolled: 1-line block ×3, first 2 shown]
	v_mov_b32_dpp v12, v10 row_shr:8 row_mask:0xf bank_mask:0xc
	v_add_f32_e32 v14, v10, v12
	v_mov_b32_dpp v10, v24 row_shr:1 row_mask:0xf bank_mask:0xf
	v_add_f32_e32 v10, v24, v10
	v_mov_b32_dpp v7, v6 row_shr:8 row_mask:0xf bank_mask:0xc
	v_mov_b32_dpp v9, v8 row_shr:8 row_mask:0xf bank_mask:0xc
	;; [unrolled: 1-line block ×3, first 2 shown]
	v_add_f32_e32 v10, v10, v12
	v_add_f32_e32 v6, v6, v7
	;; [unrolled: 1-line block ×3, first 2 shown]
	v_mov_b32_dpp v12, v10 row_shr:4 row_mask:0xf bank_mask:0xe
	v_add_f32_e32 v10, v10, v12
	v_mov_b32_dpp v7, v6 row_bcast:15 row_mask:0xa bank_mask:0xf
	v_mov_b32_dpp v9, v8 row_bcast:15 row_mask:0xa bank_mask:0xf
	v_mov_b32_dpp v12, v10 row_shr:8 row_mask:0xf bank_mask:0xc
	v_add_f32_e32 v16, v10, v12
	v_mov_b32_dpp v10, v19 row_shr:1 row_mask:0xf bank_mask:0xf
	v_add_f32_e32 v10, v19, v10
	v_mov_b32_dpp v13, v11 row_bcast:15 row_mask:0xa bank_mask:0xf
	v_mov_b32_dpp v15, v14 row_bcast:15 row_mask:0xa bank_mask:0xf
	v_mov_b32_dpp v12, v10 row_shr:2 row_mask:0xf bank_mask:0xf
	v_add_f32_e32 v10, v10, v12
	v_mov_b32_dpp v17, v16 row_bcast:15 row_mask:0xa bank_mask:0xf
	v_cmp_eq_u32_e32 vcc, 31, v0
	v_mov_b32_dpp v12, v10 row_shr:4 row_mask:0xf bank_mask:0xe
	v_add_f32_e32 v10, v10, v12
	s_nop 1
	v_mov_b32_dpp v12, v10 row_shr:8 row_mask:0xf bank_mask:0xc
	v_add_f32_e32 v19, v10, v12
	v_mov_b32_dpp v10, v23 row_shr:1 row_mask:0xf bank_mask:0xf
	v_add_f32_e32 v10, v23, v10
	v_mov_b32_dpp v20, v19 row_bcast:15 row_mask:0xa bank_mask:0xf
	s_nop 0
	v_mov_b32_dpp v12, v10 row_shr:2 row_mask:0xf bank_mask:0xf
	v_add_f32_e32 v10, v10, v12
	s_nop 1
	v_mov_b32_dpp v12, v10 row_shr:4 row_mask:0xf bank_mask:0xe
	v_add_f32_e32 v10, v10, v12
	;; [unrolled: 3-line block ×3, first 2 shown]
	v_mov_b32_dpp v10, v18 row_shr:1 row_mask:0xf bank_mask:0xf
	v_add_f32_e32 v10, v18, v10
	v_mov_b32_dpp v22, v21 row_bcast:15 row_mask:0xa bank_mask:0xf
	s_nop 0
	v_mov_b32_dpp v12, v10 row_shr:2 row_mask:0xf bank_mask:0xf
	v_add_f32_e32 v10, v10, v12
	s_nop 1
	v_mov_b32_dpp v12, v10 row_shr:4 row_mask:0xf bank_mask:0xe
	v_add_f32_e32 v10, v10, v12
	;; [unrolled: 3-line block ×3, first 2 shown]
	s_nop 1
	v_mov_b32_dpp v23, v18 row_bcast:15 row_mask:0xa bank_mask:0xf
	s_and_b64 exec, exec, vcc
	s_cbranch_execz .LBB102_21
; %bb.17:
	s_load_dwordx2 s[2:3], s[4:5], 0x38
	v_cmp_eq_f32_e32 vcc, 0, v3
	v_cmp_eq_f32_e64 s[0:1], 0, v4
	v_add_f32_e32 v10, v6, v7
	v_add_f32_e32 v12, v8, v9
	;; [unrolled: 1-line block ×8, first 2 shown]
	s_and_b64 s[0:1], vcc, s[0:1]
	s_and_saveexec_b64 s[4:5], s[0:1]
	s_xor_b64 s[0:1], exec, s[4:5]
	s_cbranch_execz .LBB102_19
; %bb.18:
	v_lshlrev_b32_e32 v3, 2, v5
	v_ashrrev_i32_e32 v4, 31, v3
	v_lshlrev_b64 v[3:4], 3, v[3:4]
	s_waitcnt lgkmcnt(0)
	v_mov_b32_e32 v5, s3
	v_add_co_u32_e32 v17, vcc, s2, v3
	v_addc_co_u32_e32 v18, vcc, v5, v4, vcc
	v_mul_f32_e64 v3, v9, -v2
	v_mul_f32_e32 v4, v1, v9
	v_mul_f32_e64 v13, v12, -v2
	v_mul_f32_e32 v14, v1, v12
	;; [unrolled: 2-line block ×3, first 2 shown]
	v_fmac_f32_e32 v3, v1, v6
	v_fmac_f32_e32 v4, v2, v6
	v_mul_f32_e64 v5, v7, -v2
	v_mul_f32_e32 v6, v1, v7
	v_fmac_f32_e32 v13, v1, v10
	v_fmac_f32_e32 v14, v2, v10
	;; [unrolled: 1-line block ×6, first 2 shown]
	global_store_dwordx4 v[17:18], v[13:16], off
	global_store_dwordx4 v[17:18], v[3:6], off offset:16
                                        ; implicit-def: $vgpr5
                                        ; implicit-def: $vgpr10
                                        ; implicit-def: $vgpr12
                                        ; implicit-def: $vgpr8
                                        ; implicit-def: $vgpr11
                                        ; implicit-def: $vgpr6
                                        ; implicit-def: $vgpr9
                                        ; implicit-def: $vgpr0
                                        ; implicit-def: $vgpr7
                                        ; implicit-def: $vgpr1_vgpr2
                                        ; implicit-def: $vgpr3_vgpr4
.LBB102_19:
	s_andn2_saveexec_b64 s[0:1], s[0:1]
	s_cbranch_execz .LBB102_21
; %bb.20:
	v_lshlrev_b32_e32 v13, 2, v5
	v_ashrrev_i32_e32 v14, 31, v13
	v_lshlrev_b64 v[13:14], 3, v[13:14]
	s_waitcnt lgkmcnt(0)
	v_mov_b32_e32 v5, s3
	v_add_co_u32_e32 v25, vcc, s2, v13
	v_addc_co_u32_e32 v26, vcc, v5, v14, vcc
	global_load_dwordx4 v[13:16], v[25:26], off
	global_load_dwordx4 v[17:20], v[25:26], off offset:16
	v_mul_f32_e64 v5, v12, -v2
	v_mul_f32_e32 v22, v1, v12
	v_mul_f32_e64 v12, v11, -v2
	v_mul_f32_e32 v24, v1, v11
	;; [unrolled: 2-line block ×4, first 2 shown]
	v_fmac_f32_e32 v5, v1, v10
	v_fmac_f32_e32 v22, v2, v10
	;; [unrolled: 1-line block ×8, first 2 shown]
	s_waitcnt vmcnt(1)
	v_fmac_f32_e32 v5, v3, v13
	v_fmac_f32_e32 v22, v4, v13
	;; [unrolled: 1-line block ×4, first 2 shown]
	s_waitcnt vmcnt(0)
	v_fmac_f32_e32 v27, v3, v17
	v_fmac_f32_e32 v9, v4, v17
	;; [unrolled: 1-line block ×4, first 2 shown]
	v_fma_f32 v21, -v4, v14, v5
	v_fmac_f32_e32 v22, v3, v14
	v_fma_f32 v23, -v4, v16, v12
	v_fmac_f32_e32 v24, v3, v16
	;; [unrolled: 2-line block ×4, first 2 shown]
	global_store_dwordx4 v[25:26], v[21:24], off
	global_store_dwordx4 v[25:26], v[8:11], off offset:16
.LBB102_21:
	s_endpgm
	.section	.rodata,"a",@progbits
	.p2align	6, 0x0
	.amdhsa_kernel _ZN9rocsparseL19gebsrmvn_4xn_kernelILj128ELj7ELj32E21rocsparse_complex_numIfEEEvi20rocsparse_direction_NS_24const_host_device_scalarIT2_EEPKiS8_PKS5_SA_S6_PS5_21rocsparse_index_base_b
		.amdhsa_group_segment_fixed_size 0
		.amdhsa_private_segment_fixed_size 0
		.amdhsa_kernarg_size 72
		.amdhsa_user_sgpr_count 6
		.amdhsa_user_sgpr_private_segment_buffer 1
		.amdhsa_user_sgpr_dispatch_ptr 0
		.amdhsa_user_sgpr_queue_ptr 0
		.amdhsa_user_sgpr_kernarg_segment_ptr 1
		.amdhsa_user_sgpr_dispatch_id 0
		.amdhsa_user_sgpr_flat_scratch_init 0
		.amdhsa_user_sgpr_private_segment_size 0
		.amdhsa_uses_dynamic_stack 0
		.amdhsa_system_sgpr_private_segment_wavefront_offset 0
		.amdhsa_system_sgpr_workgroup_id_x 1
		.amdhsa_system_sgpr_workgroup_id_y 0
		.amdhsa_system_sgpr_workgroup_id_z 0
		.amdhsa_system_sgpr_workgroup_info 0
		.amdhsa_system_vgpr_workitem_id 0
		.amdhsa_next_free_vgpr 54
		.amdhsa_next_free_sgpr 16
		.amdhsa_reserve_vcc 1
		.amdhsa_reserve_flat_scratch 0
		.amdhsa_float_round_mode_32 0
		.amdhsa_float_round_mode_16_64 0
		.amdhsa_float_denorm_mode_32 3
		.amdhsa_float_denorm_mode_16_64 3
		.amdhsa_dx10_clamp 1
		.amdhsa_ieee_mode 1
		.amdhsa_fp16_overflow 0
		.amdhsa_exception_fp_ieee_invalid_op 0
		.amdhsa_exception_fp_denorm_src 0
		.amdhsa_exception_fp_ieee_div_zero 0
		.amdhsa_exception_fp_ieee_overflow 0
		.amdhsa_exception_fp_ieee_underflow 0
		.amdhsa_exception_fp_ieee_inexact 0
		.amdhsa_exception_int_div_zero 0
	.end_amdhsa_kernel
	.section	.text._ZN9rocsparseL19gebsrmvn_4xn_kernelILj128ELj7ELj32E21rocsparse_complex_numIfEEEvi20rocsparse_direction_NS_24const_host_device_scalarIT2_EEPKiS8_PKS5_SA_S6_PS5_21rocsparse_index_base_b,"axG",@progbits,_ZN9rocsparseL19gebsrmvn_4xn_kernelILj128ELj7ELj32E21rocsparse_complex_numIfEEEvi20rocsparse_direction_NS_24const_host_device_scalarIT2_EEPKiS8_PKS5_SA_S6_PS5_21rocsparse_index_base_b,comdat
.Lfunc_end102:
	.size	_ZN9rocsparseL19gebsrmvn_4xn_kernelILj128ELj7ELj32E21rocsparse_complex_numIfEEEvi20rocsparse_direction_NS_24const_host_device_scalarIT2_EEPKiS8_PKS5_SA_S6_PS5_21rocsparse_index_base_b, .Lfunc_end102-_ZN9rocsparseL19gebsrmvn_4xn_kernelILj128ELj7ELj32E21rocsparse_complex_numIfEEEvi20rocsparse_direction_NS_24const_host_device_scalarIT2_EEPKiS8_PKS5_SA_S6_PS5_21rocsparse_index_base_b
                                        ; -- End function
	.set _ZN9rocsparseL19gebsrmvn_4xn_kernelILj128ELj7ELj32E21rocsparse_complex_numIfEEEvi20rocsparse_direction_NS_24const_host_device_scalarIT2_EEPKiS8_PKS5_SA_S6_PS5_21rocsparse_index_base_b.num_vgpr, 54
	.set _ZN9rocsparseL19gebsrmvn_4xn_kernelILj128ELj7ELj32E21rocsparse_complex_numIfEEEvi20rocsparse_direction_NS_24const_host_device_scalarIT2_EEPKiS8_PKS5_SA_S6_PS5_21rocsparse_index_base_b.num_agpr, 0
	.set _ZN9rocsparseL19gebsrmvn_4xn_kernelILj128ELj7ELj32E21rocsparse_complex_numIfEEEvi20rocsparse_direction_NS_24const_host_device_scalarIT2_EEPKiS8_PKS5_SA_S6_PS5_21rocsparse_index_base_b.numbered_sgpr, 16
	.set _ZN9rocsparseL19gebsrmvn_4xn_kernelILj128ELj7ELj32E21rocsparse_complex_numIfEEEvi20rocsparse_direction_NS_24const_host_device_scalarIT2_EEPKiS8_PKS5_SA_S6_PS5_21rocsparse_index_base_b.num_named_barrier, 0
	.set _ZN9rocsparseL19gebsrmvn_4xn_kernelILj128ELj7ELj32E21rocsparse_complex_numIfEEEvi20rocsparse_direction_NS_24const_host_device_scalarIT2_EEPKiS8_PKS5_SA_S6_PS5_21rocsparse_index_base_b.private_seg_size, 0
	.set _ZN9rocsparseL19gebsrmvn_4xn_kernelILj128ELj7ELj32E21rocsparse_complex_numIfEEEvi20rocsparse_direction_NS_24const_host_device_scalarIT2_EEPKiS8_PKS5_SA_S6_PS5_21rocsparse_index_base_b.uses_vcc, 1
	.set _ZN9rocsparseL19gebsrmvn_4xn_kernelILj128ELj7ELj32E21rocsparse_complex_numIfEEEvi20rocsparse_direction_NS_24const_host_device_scalarIT2_EEPKiS8_PKS5_SA_S6_PS5_21rocsparse_index_base_b.uses_flat_scratch, 0
	.set _ZN9rocsparseL19gebsrmvn_4xn_kernelILj128ELj7ELj32E21rocsparse_complex_numIfEEEvi20rocsparse_direction_NS_24const_host_device_scalarIT2_EEPKiS8_PKS5_SA_S6_PS5_21rocsparse_index_base_b.has_dyn_sized_stack, 0
	.set _ZN9rocsparseL19gebsrmvn_4xn_kernelILj128ELj7ELj32E21rocsparse_complex_numIfEEEvi20rocsparse_direction_NS_24const_host_device_scalarIT2_EEPKiS8_PKS5_SA_S6_PS5_21rocsparse_index_base_b.has_recursion, 0
	.set _ZN9rocsparseL19gebsrmvn_4xn_kernelILj128ELj7ELj32E21rocsparse_complex_numIfEEEvi20rocsparse_direction_NS_24const_host_device_scalarIT2_EEPKiS8_PKS5_SA_S6_PS5_21rocsparse_index_base_b.has_indirect_call, 0
	.section	.AMDGPU.csdata,"",@progbits
; Kernel info:
; codeLenInByte = 4192
; TotalNumSgprs: 20
; NumVgprs: 54
; ScratchSize: 0
; MemoryBound: 0
; FloatMode: 240
; IeeeMode: 1
; LDSByteSize: 0 bytes/workgroup (compile time only)
; SGPRBlocks: 2
; VGPRBlocks: 13
; NumSGPRsForWavesPerEU: 20
; NumVGPRsForWavesPerEU: 54
; Occupancy: 4
; WaveLimiterHint : 1
; COMPUTE_PGM_RSRC2:SCRATCH_EN: 0
; COMPUTE_PGM_RSRC2:USER_SGPR: 6
; COMPUTE_PGM_RSRC2:TRAP_HANDLER: 0
; COMPUTE_PGM_RSRC2:TGID_X_EN: 1
; COMPUTE_PGM_RSRC2:TGID_Y_EN: 0
; COMPUTE_PGM_RSRC2:TGID_Z_EN: 0
; COMPUTE_PGM_RSRC2:TIDIG_COMP_CNT: 0
	.section	.text._ZN9rocsparseL19gebsrmvn_4xn_kernelILj128ELj7ELj64E21rocsparse_complex_numIfEEEvi20rocsparse_direction_NS_24const_host_device_scalarIT2_EEPKiS8_PKS5_SA_S6_PS5_21rocsparse_index_base_b,"axG",@progbits,_ZN9rocsparseL19gebsrmvn_4xn_kernelILj128ELj7ELj64E21rocsparse_complex_numIfEEEvi20rocsparse_direction_NS_24const_host_device_scalarIT2_EEPKiS8_PKS5_SA_S6_PS5_21rocsparse_index_base_b,comdat
	.globl	_ZN9rocsparseL19gebsrmvn_4xn_kernelILj128ELj7ELj64E21rocsparse_complex_numIfEEEvi20rocsparse_direction_NS_24const_host_device_scalarIT2_EEPKiS8_PKS5_SA_S6_PS5_21rocsparse_index_base_b ; -- Begin function _ZN9rocsparseL19gebsrmvn_4xn_kernelILj128ELj7ELj64E21rocsparse_complex_numIfEEEvi20rocsparse_direction_NS_24const_host_device_scalarIT2_EEPKiS8_PKS5_SA_S6_PS5_21rocsparse_index_base_b
	.p2align	8
	.type	_ZN9rocsparseL19gebsrmvn_4xn_kernelILj128ELj7ELj64E21rocsparse_complex_numIfEEEvi20rocsparse_direction_NS_24const_host_device_scalarIT2_EEPKiS8_PKS5_SA_S6_PS5_21rocsparse_index_base_b,@function
_ZN9rocsparseL19gebsrmvn_4xn_kernelILj128ELj7ELj64E21rocsparse_complex_numIfEEEvi20rocsparse_direction_NS_24const_host_device_scalarIT2_EEPKiS8_PKS5_SA_S6_PS5_21rocsparse_index_base_b: ; @_ZN9rocsparseL19gebsrmvn_4xn_kernelILj128ELj7ELj64E21rocsparse_complex_numIfEEEvi20rocsparse_direction_NS_24const_host_device_scalarIT2_EEPKiS8_PKS5_SA_S6_PS5_21rocsparse_index_base_b
; %bb.0:
	s_load_dwordx2 s[0:1], s[4:5], 0x8
	s_load_dwordx2 s[8:9], s[4:5], 0x30
	;; [unrolled: 1-line block ×3, first 2 shown]
	s_add_u32 s7, s4, 8
	s_addc_u32 s10, s5, 0
	s_add_u32 s11, s4, 48
	s_addc_u32 s12, s5, 0
	s_waitcnt lgkmcnt(0)
	s_bitcmp1_b32 s3, 0
	s_cselect_b32 s1, s10, s1
	s_cselect_b32 s0, s7, s0
	v_mov_b32_e32 v1, s0
	v_mov_b32_e32 v2, s1
	flat_load_dwordx2 v[1:2], v[1:2]
	s_cselect_b32 s0, s12, s9
	s_cselect_b32 s1, s11, s8
	v_mov_b32_e32 v3, s1
	v_mov_b32_e32 v4, s0
	flat_load_dwordx2 v[3:4], v[3:4]
	s_waitcnt vmcnt(0) lgkmcnt(0)
	v_cmp_eq_f32_e32 vcc, 0, v1
	v_cmp_eq_f32_e64 s[0:1], 0, v2
	s_and_b64 s[10:11], vcc, s[0:1]
	s_mov_b64 s[0:1], -1
	s_and_saveexec_b64 s[8:9], s[10:11]
; %bb.1:
	v_cmp_neq_f32_e32 vcc, 1.0, v3
	v_cmp_neq_f32_e64 s[0:1], 0, v4
	s_or_b64 s[0:1], vcc, s[0:1]
	s_orn2_b64 s[0:1], s[0:1], exec
; %bb.2:
	s_or_b64 exec, exec, s[8:9]
	s_and_saveexec_b64 s[8:9], s[0:1]
	s_cbranch_execz .LBB103_21
; %bb.3:
	s_load_dwordx2 s[0:1], s[4:5], 0x0
	v_lshrrev_b32_e32 v5, 6, v0
	v_lshl_or_b32 v5, s6, 1, v5
	s_waitcnt lgkmcnt(0)
	v_cmp_gt_i32_e32 vcc, s0, v5
	s_and_b64 exec, exec, vcc
	s_cbranch_execz .LBB103_21
; %bb.4:
	s_load_dwordx8 s[8:15], s[4:5], 0x10
	v_ashrrev_i32_e32 v6, 31, v5
	v_lshlrev_b64 v[6:7], 2, v[5:6]
	v_and_b32_e32 v0, 63, v0
	s_cmp_lg_u32 s1, 0
	s_waitcnt lgkmcnt(0)
	v_mov_b32_e32 v8, s9
	v_add_co_u32_e32 v6, vcc, s8, v6
	v_addc_co_u32_e32 v7, vcc, v8, v7, vcc
	global_load_dwordx2 v[6:7], v[6:7], off
	s_waitcnt vmcnt(0)
	v_subrev_u32_e32 v6, s2, v6
	v_subrev_u32_e32 v22, s2, v7
	v_add_u32_e32 v6, v6, v0
	v_cmp_lt_i32_e64 s[0:1], v6, v22
	s_cbranch_scc0 .LBB103_10
; %bb.5:
	v_mov_b32_e32 v20, 0
	v_mov_b32_e32 v25, 0
	;; [unrolled: 1-line block ×8, first 2 shown]
	s_and_saveexec_b64 s[6:7], s[0:1]
	s_cbranch_execz .LBB103_9
; %bb.6:
	v_mad_u64_u32 v[7:8], s[8:9], v6, 28, 24
	v_mov_b32_e32 v10, 0
	s_mov_b64 s[8:9], 0
	v_mov_b32_e32 v13, s11
	v_mov_b32_e32 v14, s13
	;; [unrolled: 1-line block ×12, first 2 shown]
.LBB103_7:                              ; =>This Inner Loop Header: Depth=1
	v_ashrrev_i32_e32 v12, 31, v11
	v_lshlrev_b64 v[27:28], 2, v[11:12]
	v_subrev_u32_e32 v9, 24, v7
	v_lshlrev_b64 v[29:30], 3, v[9:10]
	v_add_co_u32_e32 v35, vcc, s10, v27
	v_mov_b32_e32 v8, v10
	v_addc_co_u32_e32 v36, vcc, v13, v28, vcc
	v_lshlrev_b64 v[31:32], 3, v[7:8]
	v_add_co_u32_e32 v37, vcc, s12, v29
	v_addc_co_u32_e32 v38, vcc, v14, v30, vcc
	v_add_co_u32_e32 v43, vcc, s12, v31
	v_addc_co_u32_e32 v44, vcc, v14, v32, vcc
	global_load_dword v12, v[35:36], off
	global_load_dwordx4 v[27:30], v[37:38], off
	global_load_dwordx4 v[31:34], v[37:38], off offset:16
	v_subrev_u32_e32 v9, 20, v7
	v_lshlrev_b64 v[8:9], 3, v[9:10]
	v_mov_b32_e32 v17, v10
	v_add_co_u32_e32 v8, vcc, s12, v8
	global_load_dwordx4 v[35:38], v[43:44], off
	global_load_dwordx4 v[39:42], v[43:44], off offset:16
	v_addc_co_u32_e32 v9, vcc, v14, v9, vcc
	v_add_u32_e32 v11, 64, v11
	s_waitcnt vmcnt(4)
	v_subrev_u32_e32 v12, s2, v12
	v_mul_lo_u32 v16, v12, 7
	v_lshlrev_b64 v[43:44], 3, v[16:17]
	v_add_co_u32_e32 v47, vcc, s14, v43
	v_addc_co_u32_e32 v48, vcc, v15, v44, vcc
	global_load_dwordx4 v[43:46], v[8:9], off
	global_load_dwordx2 v[49:50], v[47:48], off
	s_waitcnt vmcnt(0)
	v_fmac_f32_e32 v25, v27, v49
	v_fmac_f32_e32 v20, v28, v49
	;; [unrolled: 1-line block ×4, first 2 shown]
	v_fma_f32 v12, -v28, v50, v25
	v_fmac_f32_e32 v20, v27, v50
	v_fma_f32 v17, -v30, v50, v26
	global_load_dwordx4 v[25:28], v[8:9], off offset:16
	v_add_u32_e32 v9, 1, v16
	v_fmac_f32_e32 v21, v29, v50
	v_lshlrev_b64 v[29:30], 3, v[9:10]
	v_fmac_f32_e32 v23, v33, v49
	v_add_co_u32_e32 v29, vcc, s14, v29
	v_fmac_f32_e32 v18, v34, v49
	v_addc_co_u32_e32 v30, vcc, v15, v30, vcc
	v_fma_f32 v51, -v34, v50, v23
	v_fmac_f32_e32 v18, v33, v50
	global_load_dwordx2 v[33:34], v[29:30], off
	v_add_u32_e32 v9, -16, v7
	v_fmac_f32_e32 v24, v31, v49
	v_fma_f32 v8, -v32, v50, v24
	v_lshlrev_b64 v[23:24], 3, v[9:10]
	v_fmac_f32_e32 v19, v32, v49
	v_add_u32_e32 v9, 2, v16
	v_fmac_f32_e32 v19, v31, v50
	v_lshlrev_b64 v[31:32], 3, v[9:10]
	v_add_co_u32_e32 v23, vcc, s12, v23
	v_addc_co_u32_e32 v24, vcc, v14, v24, vcc
	v_add_co_u32_e32 v47, vcc, s14, v31
	v_addc_co_u32_e32 v48, vcc, v15, v32, vcc
	global_load_dwordx4 v[29:32], v[23:24], off
	v_add_u32_e32 v9, -12, v7
	v_lshlrev_b64 v[49:50], 3, v[9:10]
	v_add_u32_e32 v9, 3, v16
	s_waitcnt vmcnt(1)
	v_fmac_f32_e32 v12, v43, v33
	v_fmac_f32_e32 v20, v44, v33
	;; [unrolled: 1-line block ×8, first 2 shown]
	v_fma_f32 v12, -v44, v34, v12
	v_fmac_f32_e32 v20, v43, v34
	v_fma_f32 v17, -v46, v34, v17
	v_fmac_f32_e32 v21, v45, v34
	;; [unrolled: 2-line block ×4, first 2 shown]
	global_load_dwordx2 v[33:34], v[47:48], off
	v_lshlrev_b64 v[27:28], 3, v[9:10]
	global_load_dwordx4 v[23:26], v[23:24], off offset:16
	v_add_co_u32_e32 v43, vcc, s12, v49
	v_addc_co_u32_e32 v44, vcc, v14, v50, vcc
	v_add_co_u32_e32 v45, vcc, s14, v27
	v_addc_co_u32_e32 v46, vcc, v15, v28, vcc
	v_add_u32_e32 v9, -8, v7
	v_lshlrev_b64 v[47:48], 3, v[9:10]
	v_add_u32_e32 v9, 4, v16
	s_waitcnt vmcnt(1)
	v_fmac_f32_e32 v12, v29, v33
	v_fmac_f32_e32 v20, v30, v33
	;; [unrolled: 1-line block ×4, first 2 shown]
	v_fma_f32 v12, -v30, v34, v12
	v_fmac_f32_e32 v20, v29, v34
	global_load_dwordx4 v[27:30], v[43:44], off
	s_waitcnt vmcnt(1)
	v_fmac_f32_e32 v8, v23, v33
	v_fmac_f32_e32 v19, v24, v33
	;; [unrolled: 1-line block ×4, first 2 shown]
	v_fma_f32 v17, -v32, v34, v17
	v_fmac_f32_e32 v21, v31, v34
	v_fma_f32 v8, -v24, v34, v8
	v_fmac_f32_e32 v19, v23, v34
	;; [unrolled: 2-line block ×3, first 2 shown]
	global_load_dwordx4 v[23:26], v[43:44], off offset:16
	global_load_dwordx2 v[33:34], v[45:46], off
	v_lshlrev_b64 v[31:32], 3, v[9:10]
	v_add_co_u32_e32 v43, vcc, s12, v47
	v_addc_co_u32_e32 v44, vcc, v14, v48, vcc
	v_add_u32_e32 v9, -4, v7
	v_add_co_u32_e32 v31, vcc, s14, v31
	v_addc_co_u32_e32 v32, vcc, v15, v32, vcc
	v_lshlrev_b64 v[45:46], 3, v[9:10]
	v_add_u32_e32 v9, 5, v16
	v_add_u32_e32 v7, 0x700, v7
	s_waitcnt vmcnt(0)
	v_fmac_f32_e32 v12, v27, v33
	v_fmac_f32_e32 v20, v28, v33
	;; [unrolled: 1-line block ×8, first 2 shown]
	v_fma_f32 v12, -v28, v34, v12
	v_fmac_f32_e32 v20, v27, v34
	v_fma_f32 v47, -v30, v34, v17
	v_fmac_f32_e32 v21, v29, v34
	global_load_dwordx4 v[27:30], v[43:44], off
	v_fma_f32 v51, -v24, v34, v8
	v_fmac_f32_e32 v19, v23, v34
	v_fma_f32 v52, -v26, v34, v49
	v_fmac_f32_e32 v18, v25, v34
	v_lshlrev_b64 v[33:34], 3, v[9:10]
	v_add_u32_e32 v9, 6, v16
	global_load_dwordx2 v[16:17], v[31:32], off
	global_load_dwordx4 v[23:26], v[43:44], off offset:16
	v_add_co_u32_e32 v43, vcc, s12, v45
	v_addc_co_u32_e32 v44, vcc, v14, v46, vcc
	v_lshlrev_b64 v[8:9], 3, v[9:10]
	v_add_co_u32_e32 v45, vcc, s14, v33
	v_addc_co_u32_e32 v46, vcc, v15, v34, vcc
	v_add_co_u32_e32 v8, vcc, s14, v8
	v_addc_co_u32_e32 v9, vcc, v15, v9, vcc
	v_cmp_ge_i32_e32 vcc, v11, v22
	s_or_b64 s[8:9], vcc, s[8:9]
	s_waitcnt vmcnt(1)
	v_fmac_f32_e32 v12, v27, v16
	v_fmac_f32_e32 v20, v28, v16
	;; [unrolled: 1-line block ×4, first 2 shown]
	v_fma_f32 v12, -v28, v17, v12
	v_fmac_f32_e32 v20, v27, v17
	v_fma_f32 v53, -v30, v17, v47
	v_fmac_f32_e32 v21, v29, v17
	global_load_dwordx4 v[27:30], v[43:44], off
	global_load_dwordx4 v[31:34], v[43:44], off offset:16
	global_load_dwordx2 v[47:48], v[45:46], off
	global_load_dwordx2 v[49:50], v[8:9], off
	s_waitcnt vmcnt(4)
	v_fmac_f32_e32 v51, v23, v16
	v_fmac_f32_e32 v19, v24, v16
	;; [unrolled: 1-line block ×4, first 2 shown]
	v_fma_f32 v8, -v24, v17, v51
	v_fmac_f32_e32 v19, v23, v17
	v_fma_f32 v9, -v26, v17, v52
	v_fmac_f32_e32 v18, v25, v17
	s_waitcnt vmcnt(1)
	v_fmac_f32_e32 v12, v27, v47
	v_fmac_f32_e32 v20, v28, v47
	;; [unrolled: 1-line block ×8, first 2 shown]
	v_fma_f32 v12, -v28, v48, v12
	v_fmac_f32_e32 v20, v27, v48
	v_fma_f32 v16, -v30, v48, v53
	v_fmac_f32_e32 v21, v29, v48
	;; [unrolled: 2-line block ×4, first 2 shown]
	s_waitcnt vmcnt(0)
	v_fmac_f32_e32 v12, v35, v49
	v_fmac_f32_e32 v20, v36, v49
	;; [unrolled: 1-line block ×8, first 2 shown]
	v_fma_f32 v25, -v36, v50, v12
	v_fmac_f32_e32 v20, v35, v50
	v_fma_f32 v26, -v38, v50, v16
	v_fmac_f32_e32 v21, v37, v50
	;; [unrolled: 2-line block ×4, first 2 shown]
	s_andn2_b64 exec, exec, s[8:9]
	s_cbranch_execnz .LBB103_7
; %bb.8:
	s_or_b64 exec, exec, s[8:9]
.LBB103_9:
	s_or_b64 exec, exec, s[6:7]
	s_cbranch_execz .LBB103_11
	s_branch .LBB103_16
.LBB103_10:
                                        ; implicit-def: $vgpr20
                                        ; implicit-def: $vgpr25
                                        ; implicit-def: $vgpr23
                                        ; implicit-def: $vgpr18
                                        ; implicit-def: $vgpr24
                                        ; implicit-def: $vgpr19
                                        ; implicit-def: $vgpr26
                                        ; implicit-def: $vgpr21
.LBB103_11:
	v_mov_b32_e32 v20, 0
	v_mov_b32_e32 v25, 0
	v_mov_b32_e32 v23, 0
	v_mov_b32_e32 v18, 0
	v_mov_b32_e32 v24, 0
	v_mov_b32_e32 v19, 0
	v_mov_b32_e32 v26, 0
	v_mov_b32_e32 v21, 0
	s_and_saveexec_b64 s[6:7], s[0:1]
	s_cbranch_execz .LBB103_15
; %bb.12:
	v_mad_u64_u32 v[8:9], s[0:1], v6, 28, 27
	v_mov_b32_e32 v11, 0
	s_mov_b64 s[0:1], 0
	v_mov_b32_e32 v27, s11
	v_mov_b32_e32 v28, s13
	;; [unrolled: 1-line block ×11, first 2 shown]
.LBB103_13:                             ; =>This Inner Loop Header: Depth=1
	v_ashrrev_i32_e32 v7, 31, v6
	v_lshlrev_b64 v[30:31], 2, v[6:7]
	v_subrev_u32_e32 v10, 27, v8
	v_add_co_u32_e32 v30, vcc, s10, v30
	v_addc_co_u32_e32 v31, vcc, v27, v31, vcc
	global_load_dword v7, v[30:31], off
	v_lshlrev_b64 v[32:33], 3, v[10:11]
	v_subrev_u32_e32 v12, 20, v8
	v_mov_b32_e32 v13, v11
	v_lshlrev_b64 v[12:13], 3, v[12:13]
	v_add_co_u32_e32 v34, vcc, s12, v32
	v_add_u32_e32 v14, -13, v8
	v_mov_b32_e32 v15, v11
	v_addc_co_u32_e32 v35, vcc, v28, v33, vcc
	v_lshlrev_b64 v[14:15], 3, v[14:15]
	v_add_co_u32_e32 v12, vcc, s12, v12
	v_add_u32_e32 v16, -6, v8
	v_mov_b32_e32 v17, v11
	v_addc_co_u32_e32 v13, vcc, v28, v13, vcc
	v_lshlrev_b64 v[16:17], 3, v[16:17]
	v_add_co_u32_e32 v14, vcc, s12, v14
	v_mov_b32_e32 v9, v11
	v_addc_co_u32_e32 v15, vcc, v28, v15, vcc
	v_lshlrev_b64 v[9:10], 3, v[8:9]
	v_add_co_u32_e32 v16, vcc, s12, v16
	v_addc_co_u32_e32 v17, vcc, v28, v17, vcc
	v_add_co_u32_e32 v36, vcc, s12, v9
	v_addc_co_u32_e32 v37, vcc, v28, v10, vcc
	v_mov_b32_e32 v10, v11
	v_add_u32_e32 v6, 64, v6
	s_waitcnt vmcnt(0)
	v_subrev_u32_e32 v7, s2, v7
	v_mul_lo_u32 v9, v7, 7
	v_lshlrev_b64 v[30:31], 3, v[9:10]
	v_add_u32_e32 v10, 1, v9
	v_add_co_u32_e32 v30, vcc, s14, v30
	v_lshlrev_b64 v[32:33], 3, v[10:11]
	v_addc_co_u32_e32 v31, vcc, v29, v31, vcc
	v_add_co_u32_e32 v38, vcc, s14, v32
	v_addc_co_u32_e32 v39, vcc, v29, v33, vcc
	global_load_dwordx2 v[32:33], v[12:13], off
	global_load_dwordx2 v[40:41], v[14:15], off
	;; [unrolled: 1-line block ×4, first 2 shown]
	v_subrev_u32_e32 v10, 19, v8
	s_waitcnt vmcnt(0)
	v_fmac_f32_e32 v26, v32, v44
	v_fmac_f32_e32 v21, v33, v44
	v_fma_f32 v7, -v33, v45, v26
	v_fmac_f32_e32 v21, v32, v45
	global_load_dwordx4 v[12:15], v[34:35], off
	global_load_dwordx4 v[30:33], v[34:35], off offset:16
	v_fmac_f32_e32 v24, v40, v44
	v_fmac_f32_e32 v19, v41, v44
	;; [unrolled: 1-line block ×3, first 2 shown]
	v_fma_f32 v41, -v41, v45, v24
	v_fmac_f32_e32 v19, v40, v45
	v_fma_f32 v40, -v43, v45, v23
	v_fmac_f32_e32 v18, v43, v44
	v_fmac_f32_e32 v18, v42, v45
	s_waitcnt vmcnt(1)
	v_fmac_f32_e32 v25, v12, v44
	v_fmac_f32_e32 v20, v13, v44
	v_fma_f32 v16, -v13, v45, v25
	v_fmac_f32_e32 v20, v12, v45
	global_load_dwordx2 v[12:13], v[38:39], off
	s_waitcnt vmcnt(0)
	v_fmac_f32_e32 v16, v14, v12
	v_fmac_f32_e32 v20, v15, v12
	v_fma_f32 v46, -v15, v13, v16
	v_fmac_f32_e32 v20, v14, v13
	v_lshlrev_b64 v[14:15], 3, v[10:11]
	v_add_u32_e32 v10, -12, v8
	v_add_co_u32_e32 v14, vcc, s12, v14
	v_lshlrev_b64 v[16:17], 3, v[10:11]
	v_addc_co_u32_e32 v15, vcc, v28, v15, vcc
	v_add_u32_e32 v10, -5, v8
	v_add_co_u32_e32 v16, vcc, s12, v16
	v_lshlrev_b64 v[23:24], 3, v[10:11]
	v_addc_co_u32_e32 v17, vcc, v28, v17, vcc
	v_add_co_u32_e32 v23, vcc, s12, v23
	v_addc_co_u32_e32 v24, vcc, v28, v24, vcc
	global_load_dwordx2 v[25:26], v[14:15], off
	global_load_dwordx2 v[34:35], v[16:17], off
	;; [unrolled: 1-line block ×3, first 2 shown]
	v_add_u32_e32 v10, 2, v9
	v_lshlrev_b64 v[14:15], 3, v[10:11]
	v_subrev_u32_e32 v10, 18, v8
	v_add_co_u32_e32 v14, vcc, s14, v14
	v_addc_co_u32_e32 v15, vcc, v29, v15, vcc
	s_waitcnt vmcnt(2)
	v_fmac_f32_e32 v7, v25, v12
	v_fmac_f32_e32 v21, v26, v12
	s_waitcnt vmcnt(1)
	v_fmac_f32_e32 v41, v34, v12
	v_fmac_f32_e32 v19, v35, v12
	;; [unrolled: 3-line block ×3, first 2 shown]
	v_fma_f32 v7, -v26, v13, v7
	v_fmac_f32_e32 v21, v25, v13
	v_fma_f32 v47, -v35, v13, v41
	v_fmac_f32_e32 v19, v34, v13
	;; [unrolled: 2-line block ×3, first 2 shown]
	v_lshlrev_b64 v[12:13], 3, v[10:11]
	v_add_u32_e32 v10, -11, v8
	v_add_co_u32_e32 v12, vcc, s12, v12
	v_lshlrev_b64 v[16:17], 3, v[10:11]
	v_addc_co_u32_e32 v13, vcc, v28, v13, vcc
	v_add_u32_e32 v10, -4, v8
	v_add_co_u32_e32 v16, vcc, s12, v16
	v_lshlrev_b64 v[23:24], 3, v[10:11]
	v_addc_co_u32_e32 v17, vcc, v28, v17, vcc
	v_add_u32_e32 v10, 3, v9
	v_add_co_u32_e32 v23, vcc, s12, v23
	v_lshlrev_b64 v[25:26], 3, v[10:11]
	v_addc_co_u32_e32 v24, vcc, v28, v24, vcc
	v_add_co_u32_e32 v25, vcc, s14, v25
	v_addc_co_u32_e32 v26, vcc, v29, v26, vcc
	global_load_dwordx2 v[38:39], v[14:15], off
	global_load_dwordx2 v[40:41], v[12:13], off
	;; [unrolled: 1-line block ×4, first 2 shown]
	v_subrev_u32_e32 v10, 17, v8
	global_load_dwordx2 v[14:15], v[25:26], off
	v_lshlrev_b64 v[34:35], 3, v[10:11]
	v_add_u32_e32 v10, -10, v8
	v_add_co_u32_e32 v34, vcc, s12, v34
	v_lshlrev_b64 v[12:13], 3, v[10:11]
	v_addc_co_u32_e32 v35, vcc, v28, v35, vcc
	v_add_u32_e32 v10, -3, v8
	v_add_co_u32_e32 v12, vcc, s12, v12
	v_addc_co_u32_e32 v13, vcc, v28, v13, vcc
	s_waitcnt vmcnt(4)
	v_fmac_f32_e32 v46, v30, v38
	v_fma_f32 v16, -v31, v39, v46
	v_fmac_f32_e32 v20, v31, v38
	s_waitcnt vmcnt(1)
	v_fmac_f32_e32 v18, v45, v38
	v_fmac_f32_e32 v48, v44, v38
	s_waitcnt vmcnt(0)
	v_fmac_f32_e32 v16, v32, v14
	v_fmac_f32_e32 v18, v44, v39
	v_fma_f32 v44, -v33, v15, v16
	v_lshlrev_b64 v[16:17], 3, v[10:11]
	v_subrev_u32_e32 v10, 23, v8
	v_add_co_u32_e32 v16, vcc, s12, v16
	v_lshlrev_b64 v[23:24], 3, v[10:11]
	v_fmac_f32_e32 v20, v30, v39
	v_addc_co_u32_e32 v17, vcc, v28, v17, vcc
	v_fmac_f32_e32 v7, v40, v38
	v_fmac_f32_e32 v21, v41, v38
	;; [unrolled: 1-line block ×5, first 2 shown]
	v_add_co_u32_e32 v23, vcc, s12, v23
	v_fma_f32 v7, -v41, v39, v7
	v_fmac_f32_e32 v21, v40, v39
	v_fma_f32 v43, -v43, v39, v47
	v_fmac_f32_e32 v19, v42, v39
	;; [unrolled: 2-line block ×3, first 2 shown]
	v_addc_co_u32_e32 v24, vcc, v28, v24, vcc
	global_load_dwordx2 v[30:31], v[34:35], off
	global_load_dwordx2 v[32:33], v[12:13], off
	;; [unrolled: 1-line block ×4, first 2 shown]
	v_add_u32_e32 v10, 4, v9
	v_lshlrev_b64 v[25:26], 3, v[10:11]
	v_add_u32_e32 v10, -16, v8
	v_add_co_u32_e32 v25, vcc, s14, v25
	v_addc_co_u32_e32 v26, vcc, v29, v26, vcc
	global_load_dwordx2 v[25:26], v[25:26], off
	v_lshlrev_b64 v[12:13], 3, v[10:11]
	v_add_u32_e32 v10, -9, v8
	v_add_co_u32_e32 v12, vcc, s12, v12
	v_addc_co_u32_e32 v13, vcc, v28, v13, vcc
	s_waitcnt vmcnt(4)
	v_fmac_f32_e32 v7, v30, v14
	v_fmac_f32_e32 v21, v31, v14
	s_waitcnt vmcnt(3)
	v_fmac_f32_e32 v43, v32, v14
	v_fmac_f32_e32 v19, v33, v14
	;; [unrolled: 3-line block ×3, first 2 shown]
	v_fma_f32 v7, -v31, v15, v7
	v_fmac_f32_e32 v21, v30, v15
	v_fma_f32 v43, -v33, v15, v43
	v_fmac_f32_e32 v19, v32, v15
	;; [unrolled: 2-line block ×3, first 2 shown]
	v_lshlrev_b64 v[14:15], 3, v[10:11]
	v_add_u32_e32 v10, -2, v8
	v_add_co_u32_e32 v14, vcc, s12, v14
	v_lshlrev_b64 v[16:17], 3, v[10:11]
	v_addc_co_u32_e32 v15, vcc, v28, v15, vcc
	v_subrev_u32_e32 v10, 22, v8
	v_add_co_u32_e32 v16, vcc, s12, v16
	v_lshlrev_b64 v[23:24], 3, v[10:11]
	v_addc_co_u32_e32 v17, vcc, v28, v17, vcc
	v_add_u32_e32 v10, 5, v9
	v_add_co_u32_e32 v23, vcc, s12, v23
	v_lshlrev_b64 v[30:31], 3, v[10:11]
	v_addc_co_u32_e32 v24, vcc, v28, v24, vcc
	v_add_co_u32_e32 v30, vcc, s14, v30
	v_addc_co_u32_e32 v31, vcc, v29, v31, vcc
	s_waitcnt vmcnt(0)
	v_fmac_f32_e32 v44, v40, v25
	v_fmac_f32_e32 v20, v41, v25
	v_fma_f32 v44, -v41, v26, v44
	v_fmac_f32_e32 v20, v40, v26
	global_load_dwordx2 v[32:33], v[12:13], off
	global_load_dwordx2 v[34:35], v[14:15], off
	;; [unrolled: 1-line block ×4, first 2 shown]
	v_add_u32_e32 v10, -15, v8
	global_load_dwordx2 v[30:31], v[30:31], off
	v_lshlrev_b64 v[12:13], 3, v[10:11]
	v_add_u32_e32 v10, -8, v8
	v_lshlrev_b64 v[14:15], 3, v[10:11]
	v_add_co_u32_e32 v12, vcc, s12, v12
	v_add_u32_e32 v10, -1, v8
	v_addc_co_u32_e32 v13, vcc, v28, v13, vcc
	v_add_co_u32_e32 v14, vcc, s12, v14
	v_lshlrev_b64 v[16:17], 3, v[10:11]
	v_addc_co_u32_e32 v15, vcc, v28, v15, vcc
	v_subrev_u32_e32 v10, 21, v8
	v_lshlrev_b64 v[23:24], 3, v[10:11]
	v_add_co_u32_e32 v16, vcc, s12, v16
	v_addc_co_u32_e32 v17, vcc, v28, v17, vcc
	v_add_co_u32_e32 v23, vcc, s12, v23
	v_addc_co_u32_e32 v24, vcc, v28, v24, vcc
	v_add_u32_e32 v10, 6, v9
	v_lshlrev_b64 v[9:10], 3, v[10:11]
	s_waitcnt vmcnt(4)
	v_fmac_f32_e32 v7, v32, v25
	s_waitcnt vmcnt(3)
	v_fmac_f32_e32 v43, v34, v25
	v_fmac_f32_e32 v19, v35, v25
	s_waitcnt vmcnt(2)
	v_fmac_f32_e32 v42, v38, v25
	v_fmac_f32_e32 v18, v39, v25
	s_waitcnt vmcnt(0)
	v_fmac_f32_e32 v44, v40, v30
	v_fmac_f32_e32 v20, v41, v30
	v_fma_f32 v45, -v35, v26, v43
	v_fmac_f32_e32 v19, v34, v26
	v_fma_f32 v46, -v39, v26, v42
	;; [unrolled: 2-line block ×3, first 2 shown]
	v_fmac_f32_e32 v20, v40, v31
	global_load_dwordx2 v[34:35], v[12:13], off
	global_load_dwordx2 v[38:39], v[14:15], off
	;; [unrolled: 1-line block ×4, first 2 shown]
	v_fmac_f32_e32 v21, v33, v25
	v_add_co_u32_e32 v25, vcc, s14, v9
	v_fma_f32 v7, -v33, v26, v7
	v_fmac_f32_e32 v21, v32, v26
	v_addc_co_u32_e32 v26, vcc, v29, v10, vcc
	v_add_u32_e32 v10, -14, v8
	v_lshlrev_b64 v[9:10], 3, v[10:11]
	v_add_co_u32_e32 v32, vcc, s12, v9
	v_addc_co_u32_e32 v33, vcc, v28, v10, vcc
	v_add_u32_e32 v10, -7, v8
	v_lshlrev_b64 v[9:10], 3, v[10:11]
	v_add_u32_e32 v8, 0x700, v8
	v_add_co_u32_e32 v9, vcc, s12, v9
	v_addc_co_u32_e32 v10, vcc, v28, v10, vcc
	v_cmp_ge_i32_e32 vcc, v6, v22
	s_or_b64 s[0:1], vcc, s[0:1]
	s_waitcnt vmcnt(3)
	v_fmac_f32_e32 v7, v34, v30
	v_fmac_f32_e32 v21, v35, v30
	v_fma_f32 v7, -v35, v31, v7
	v_fmac_f32_e32 v21, v34, v31
	global_load_dwordx2 v[12:13], v[25:26], off
	global_load_dwordx2 v[14:15], v[32:33], off
	;; [unrolled: 1-line block ×4, first 2 shown]
	s_waitcnt vmcnt(6)
	v_fmac_f32_e32 v45, v38, v30
	v_fmac_f32_e32 v19, v39, v30
	s_waitcnt vmcnt(5)
	v_fmac_f32_e32 v46, v40, v30
	v_fmac_f32_e32 v18, v41, v30
	v_fma_f32 v23, -v39, v31, v45
	v_fmac_f32_e32 v19, v38, v31
	v_fma_f32 v9, -v41, v31, v46
	v_fmac_f32_e32 v18, v40, v31
	s_waitcnt vmcnt(3)
	v_fmac_f32_e32 v44, v42, v12
	v_fmac_f32_e32 v20, v43, v12
	s_waitcnt vmcnt(2)
	v_fmac_f32_e32 v7, v14, v12
	v_fmac_f32_e32 v21, v15, v12
	s_waitcnt vmcnt(1)
	v_fmac_f32_e32 v23, v16, v12
	v_fmac_f32_e32 v19, v17, v12
	s_waitcnt vmcnt(0)
	v_fmac_f32_e32 v9, v34, v12
	v_fmac_f32_e32 v18, v35, v12
	v_fma_f32 v25, -v43, v13, v44
	v_fmac_f32_e32 v20, v42, v13
	v_fma_f32 v26, -v15, v13, v7
	;; [unrolled: 2-line block ×4, first 2 shown]
	v_fmac_f32_e32 v18, v34, v13
	s_andn2_b64 exec, exec, s[0:1]
	s_cbranch_execnz .LBB103_13
; %bb.14:
	s_or_b64 exec, exec, s[0:1]
.LBB103_15:
	s_or_b64 exec, exec, s[6:7]
.LBB103_16:
	v_mov_b32_dpp v10, v26 row_shr:1 row_mask:0xf bank_mask:0xf
	v_add_f32_e32 v10, v26, v10
	v_mov_b32_dpp v6, v25 row_shr:1 row_mask:0xf bank_mask:0xf
	v_mov_b32_dpp v8, v20 row_shr:1 row_mask:0xf bank_mask:0xf
	;; [unrolled: 1-line block ×3, first 2 shown]
	v_add_f32_e32 v10, v10, v11
	v_add_f32_e32 v6, v25, v6
	;; [unrolled: 1-line block ×3, first 2 shown]
	v_mov_b32_dpp v11, v10 row_shr:4 row_mask:0xf bank_mask:0xe
	v_add_f32_e32 v10, v10, v11
	v_mov_b32_dpp v7, v6 row_shr:2 row_mask:0xf bank_mask:0xf
	v_mov_b32_dpp v9, v8 row_shr:2 row_mask:0xf bank_mask:0xf
	;; [unrolled: 1-line block ×3, first 2 shown]
	v_add_f32_e32 v10, v10, v11
	v_add_f32_e32 v6, v6, v7
	;; [unrolled: 1-line block ×3, first 2 shown]
	v_mov_b32_dpp v11, v10 row_bcast:15 row_mask:0xa bank_mask:0xf
	v_add_f32_e32 v11, v10, v11
	v_mov_b32_dpp v10, v21 row_shr:1 row_mask:0xf bank_mask:0xf
	v_add_f32_e32 v10, v21, v10
	v_mov_b32_dpp v7, v6 row_shr:4 row_mask:0xf bank_mask:0xe
	v_mov_b32_dpp v9, v8 row_shr:4 row_mask:0xf bank_mask:0xe
	;; [unrolled: 1-line block ×3, first 2 shown]
	v_add_f32_e32 v10, v10, v12
	v_add_f32_e32 v6, v6, v7
	;; [unrolled: 1-line block ×3, first 2 shown]
	v_mov_b32_dpp v12, v10 row_shr:4 row_mask:0xf bank_mask:0xe
	v_add_f32_e32 v10, v10, v12
	v_mov_b32_dpp v7, v6 row_shr:8 row_mask:0xf bank_mask:0xc
	v_mov_b32_dpp v9, v8 row_shr:8 row_mask:0xf bank_mask:0xc
	;; [unrolled: 1-line block ×3, first 2 shown]
	v_add_f32_e32 v10, v10, v12
	v_add_f32_e32 v6, v6, v7
	;; [unrolled: 1-line block ×3, first 2 shown]
	v_mov_b32_dpp v12, v10 row_bcast:15 row_mask:0xa bank_mask:0xf
	v_add_f32_e32 v14, v10, v12
	v_mov_b32_dpp v10, v24 row_shr:1 row_mask:0xf bank_mask:0xf
	v_add_f32_e32 v10, v24, v10
	v_mov_b32_dpp v7, v6 row_bcast:15 row_mask:0xa bank_mask:0xf
	v_mov_b32_dpp v9, v8 row_bcast:15 row_mask:0xa bank_mask:0xf
	v_mov_b32_dpp v12, v10 row_shr:2 row_mask:0xf bank_mask:0xf
	v_add_f32_e32 v10, v10, v12
	v_add_f32_e32 v6, v6, v7
	;; [unrolled: 1-line block ×3, first 2 shown]
	v_mov_b32_dpp v12, v10 row_shr:4 row_mask:0xf bank_mask:0xe
	v_add_f32_e32 v10, v10, v12
	v_mov_b32_dpp v7, v6 row_bcast:31 row_mask:0xc bank_mask:0xf
	v_mov_b32_dpp v9, v8 row_bcast:31 row_mask:0xc bank_mask:0xf
	v_mov_b32_dpp v12, v10 row_shr:8 row_mask:0xf bank_mask:0xc
	v_add_f32_e32 v10, v10, v12
	v_mov_b32_dpp v13, v11 row_bcast:31 row_mask:0xc bank_mask:0xf
	v_mov_b32_dpp v15, v14 row_bcast:31 row_mask:0xc bank_mask:0xf
	;; [unrolled: 1-line block ×3, first 2 shown]
	v_add_f32_e32 v16, v10, v12
	v_mov_b32_dpp v10, v19 row_shr:1 row_mask:0xf bank_mask:0xf
	v_add_f32_e32 v10, v19, v10
	v_mov_b32_dpp v17, v16 row_bcast:31 row_mask:0xc bank_mask:0xf
	v_cmp_eq_u32_e32 vcc, 63, v0
	v_mov_b32_dpp v12, v10 row_shr:2 row_mask:0xf bank_mask:0xf
	v_add_f32_e32 v10, v10, v12
	s_nop 1
	v_mov_b32_dpp v12, v10 row_shr:4 row_mask:0xf bank_mask:0xe
	v_add_f32_e32 v10, v10, v12
	s_nop 1
	;; [unrolled: 3-line block ×3, first 2 shown]
	v_mov_b32_dpp v12, v10 row_bcast:15 row_mask:0xa bank_mask:0xf
	v_add_f32_e32 v19, v10, v12
	v_mov_b32_dpp v10, v23 row_shr:1 row_mask:0xf bank_mask:0xf
	v_add_f32_e32 v10, v23, v10
	v_mov_b32_dpp v20, v19 row_bcast:31 row_mask:0xc bank_mask:0xf
	s_nop 0
	v_mov_b32_dpp v12, v10 row_shr:2 row_mask:0xf bank_mask:0xf
	v_add_f32_e32 v10, v10, v12
	s_nop 1
	v_mov_b32_dpp v12, v10 row_shr:4 row_mask:0xf bank_mask:0xe
	v_add_f32_e32 v10, v10, v12
	;; [unrolled: 3-line block ×3, first 2 shown]
	s_nop 1
	v_mov_b32_dpp v12, v10 row_bcast:15 row_mask:0xa bank_mask:0xf
	v_add_f32_e32 v21, v10, v12
	v_mov_b32_dpp v10, v18 row_shr:1 row_mask:0xf bank_mask:0xf
	v_add_f32_e32 v10, v18, v10
	v_mov_b32_dpp v22, v21 row_bcast:31 row_mask:0xc bank_mask:0xf
	s_nop 0
	v_mov_b32_dpp v12, v10 row_shr:2 row_mask:0xf bank_mask:0xf
	v_add_f32_e32 v10, v10, v12
	s_nop 1
	v_mov_b32_dpp v12, v10 row_shr:4 row_mask:0xf bank_mask:0xe
	v_add_f32_e32 v10, v10, v12
	;; [unrolled: 3-line block ×3, first 2 shown]
	s_nop 1
	v_mov_b32_dpp v12, v10 row_bcast:15 row_mask:0xa bank_mask:0xf
	v_add_f32_e32 v18, v10, v12
	s_nop 1
	v_mov_b32_dpp v23, v18 row_bcast:31 row_mask:0xc bank_mask:0xf
	s_and_b64 exec, exec, vcc
	s_cbranch_execz .LBB103_21
; %bb.17:
	s_load_dwordx2 s[2:3], s[4:5], 0x38
	v_cmp_eq_f32_e32 vcc, 0, v3
	v_cmp_eq_f32_e64 s[0:1], 0, v4
	v_add_f32_e32 v10, v6, v7
	v_add_f32_e32 v12, v8, v9
	;; [unrolled: 1-line block ×8, first 2 shown]
	s_and_b64 s[0:1], vcc, s[0:1]
	s_and_saveexec_b64 s[4:5], s[0:1]
	s_xor_b64 s[0:1], exec, s[4:5]
	s_cbranch_execz .LBB103_19
; %bb.18:
	v_lshlrev_b32_e32 v3, 2, v5
	v_ashrrev_i32_e32 v4, 31, v3
	v_lshlrev_b64 v[3:4], 3, v[3:4]
	s_waitcnt lgkmcnt(0)
	v_mov_b32_e32 v5, s3
	v_add_co_u32_e32 v17, vcc, s2, v3
	v_addc_co_u32_e32 v18, vcc, v5, v4, vcc
	v_mul_f32_e64 v3, v9, -v2
	v_mul_f32_e32 v4, v1, v9
	v_mul_f32_e64 v13, v12, -v2
	v_mul_f32_e32 v14, v1, v12
	;; [unrolled: 2-line block ×3, first 2 shown]
	v_fmac_f32_e32 v3, v1, v6
	v_fmac_f32_e32 v4, v2, v6
	v_mul_f32_e64 v5, v7, -v2
	v_mul_f32_e32 v6, v1, v7
	v_fmac_f32_e32 v13, v1, v10
	v_fmac_f32_e32 v14, v2, v10
	;; [unrolled: 1-line block ×6, first 2 shown]
	global_store_dwordx4 v[17:18], v[13:16], off
	global_store_dwordx4 v[17:18], v[3:6], off offset:16
                                        ; implicit-def: $vgpr5
                                        ; implicit-def: $vgpr10
                                        ; implicit-def: $vgpr12
                                        ; implicit-def: $vgpr8
                                        ; implicit-def: $vgpr11
                                        ; implicit-def: $vgpr6
                                        ; implicit-def: $vgpr9
                                        ; implicit-def: $vgpr0
                                        ; implicit-def: $vgpr7
                                        ; implicit-def: $vgpr1_vgpr2
                                        ; implicit-def: $vgpr3_vgpr4
.LBB103_19:
	s_andn2_saveexec_b64 s[0:1], s[0:1]
	s_cbranch_execz .LBB103_21
; %bb.20:
	v_lshlrev_b32_e32 v13, 2, v5
	v_ashrrev_i32_e32 v14, 31, v13
	v_lshlrev_b64 v[13:14], 3, v[13:14]
	s_waitcnt lgkmcnt(0)
	v_mov_b32_e32 v5, s3
	v_add_co_u32_e32 v25, vcc, s2, v13
	v_addc_co_u32_e32 v26, vcc, v5, v14, vcc
	global_load_dwordx4 v[13:16], v[25:26], off
	global_load_dwordx4 v[17:20], v[25:26], off offset:16
	v_mul_f32_e64 v5, v12, -v2
	v_mul_f32_e32 v22, v1, v12
	v_mul_f32_e64 v12, v11, -v2
	v_mul_f32_e32 v24, v1, v11
	;; [unrolled: 2-line block ×4, first 2 shown]
	v_fmac_f32_e32 v5, v1, v10
	v_fmac_f32_e32 v22, v2, v10
	v_fmac_f32_e32 v12, v1, v8
	v_fmac_f32_e32 v24, v2, v8
	v_fmac_f32_e32 v27, v1, v6
	v_fmac_f32_e32 v9, v2, v6
	v_fmac_f32_e32 v28, v1, v0
	v_fmac_f32_e32 v11, v2, v0
	s_waitcnt vmcnt(1)
	v_fmac_f32_e32 v5, v3, v13
	v_fmac_f32_e32 v22, v4, v13
	;; [unrolled: 1-line block ×4, first 2 shown]
	s_waitcnt vmcnt(0)
	v_fmac_f32_e32 v27, v3, v17
	v_fmac_f32_e32 v9, v4, v17
	;; [unrolled: 1-line block ×4, first 2 shown]
	v_fma_f32 v21, -v4, v14, v5
	v_fmac_f32_e32 v22, v3, v14
	v_fma_f32 v23, -v4, v16, v12
	v_fmac_f32_e32 v24, v3, v16
	;; [unrolled: 2-line block ×4, first 2 shown]
	global_store_dwordx4 v[25:26], v[21:24], off
	global_store_dwordx4 v[25:26], v[8:11], off offset:16
.LBB103_21:
	s_endpgm
	.section	.rodata,"a",@progbits
	.p2align	6, 0x0
	.amdhsa_kernel _ZN9rocsparseL19gebsrmvn_4xn_kernelILj128ELj7ELj64E21rocsparse_complex_numIfEEEvi20rocsparse_direction_NS_24const_host_device_scalarIT2_EEPKiS8_PKS5_SA_S6_PS5_21rocsparse_index_base_b
		.amdhsa_group_segment_fixed_size 0
		.amdhsa_private_segment_fixed_size 0
		.amdhsa_kernarg_size 72
		.amdhsa_user_sgpr_count 6
		.amdhsa_user_sgpr_private_segment_buffer 1
		.amdhsa_user_sgpr_dispatch_ptr 0
		.amdhsa_user_sgpr_queue_ptr 0
		.amdhsa_user_sgpr_kernarg_segment_ptr 1
		.amdhsa_user_sgpr_dispatch_id 0
		.amdhsa_user_sgpr_flat_scratch_init 0
		.amdhsa_user_sgpr_private_segment_size 0
		.amdhsa_uses_dynamic_stack 0
		.amdhsa_system_sgpr_private_segment_wavefront_offset 0
		.amdhsa_system_sgpr_workgroup_id_x 1
		.amdhsa_system_sgpr_workgroup_id_y 0
		.amdhsa_system_sgpr_workgroup_id_z 0
		.amdhsa_system_sgpr_workgroup_info 0
		.amdhsa_system_vgpr_workitem_id 0
		.amdhsa_next_free_vgpr 54
		.amdhsa_next_free_sgpr 16
		.amdhsa_reserve_vcc 1
		.amdhsa_reserve_flat_scratch 0
		.amdhsa_float_round_mode_32 0
		.amdhsa_float_round_mode_16_64 0
		.amdhsa_float_denorm_mode_32 3
		.amdhsa_float_denorm_mode_16_64 3
		.amdhsa_dx10_clamp 1
		.amdhsa_ieee_mode 1
		.amdhsa_fp16_overflow 0
		.amdhsa_exception_fp_ieee_invalid_op 0
		.amdhsa_exception_fp_denorm_src 0
		.amdhsa_exception_fp_ieee_div_zero 0
		.amdhsa_exception_fp_ieee_overflow 0
		.amdhsa_exception_fp_ieee_underflow 0
		.amdhsa_exception_fp_ieee_inexact 0
		.amdhsa_exception_int_div_zero 0
	.end_amdhsa_kernel
	.section	.text._ZN9rocsparseL19gebsrmvn_4xn_kernelILj128ELj7ELj64E21rocsparse_complex_numIfEEEvi20rocsparse_direction_NS_24const_host_device_scalarIT2_EEPKiS8_PKS5_SA_S6_PS5_21rocsparse_index_base_b,"axG",@progbits,_ZN9rocsparseL19gebsrmvn_4xn_kernelILj128ELj7ELj64E21rocsparse_complex_numIfEEEvi20rocsparse_direction_NS_24const_host_device_scalarIT2_EEPKiS8_PKS5_SA_S6_PS5_21rocsparse_index_base_b,comdat
.Lfunc_end103:
	.size	_ZN9rocsparseL19gebsrmvn_4xn_kernelILj128ELj7ELj64E21rocsparse_complex_numIfEEEvi20rocsparse_direction_NS_24const_host_device_scalarIT2_EEPKiS8_PKS5_SA_S6_PS5_21rocsparse_index_base_b, .Lfunc_end103-_ZN9rocsparseL19gebsrmvn_4xn_kernelILj128ELj7ELj64E21rocsparse_complex_numIfEEEvi20rocsparse_direction_NS_24const_host_device_scalarIT2_EEPKiS8_PKS5_SA_S6_PS5_21rocsparse_index_base_b
                                        ; -- End function
	.set _ZN9rocsparseL19gebsrmvn_4xn_kernelILj128ELj7ELj64E21rocsparse_complex_numIfEEEvi20rocsparse_direction_NS_24const_host_device_scalarIT2_EEPKiS8_PKS5_SA_S6_PS5_21rocsparse_index_base_b.num_vgpr, 54
	.set _ZN9rocsparseL19gebsrmvn_4xn_kernelILj128ELj7ELj64E21rocsparse_complex_numIfEEEvi20rocsparse_direction_NS_24const_host_device_scalarIT2_EEPKiS8_PKS5_SA_S6_PS5_21rocsparse_index_base_b.num_agpr, 0
	.set _ZN9rocsparseL19gebsrmvn_4xn_kernelILj128ELj7ELj64E21rocsparse_complex_numIfEEEvi20rocsparse_direction_NS_24const_host_device_scalarIT2_EEPKiS8_PKS5_SA_S6_PS5_21rocsparse_index_base_b.numbered_sgpr, 16
	.set _ZN9rocsparseL19gebsrmvn_4xn_kernelILj128ELj7ELj64E21rocsparse_complex_numIfEEEvi20rocsparse_direction_NS_24const_host_device_scalarIT2_EEPKiS8_PKS5_SA_S6_PS5_21rocsparse_index_base_b.num_named_barrier, 0
	.set _ZN9rocsparseL19gebsrmvn_4xn_kernelILj128ELj7ELj64E21rocsparse_complex_numIfEEEvi20rocsparse_direction_NS_24const_host_device_scalarIT2_EEPKiS8_PKS5_SA_S6_PS5_21rocsparse_index_base_b.private_seg_size, 0
	.set _ZN9rocsparseL19gebsrmvn_4xn_kernelILj128ELj7ELj64E21rocsparse_complex_numIfEEEvi20rocsparse_direction_NS_24const_host_device_scalarIT2_EEPKiS8_PKS5_SA_S6_PS5_21rocsparse_index_base_b.uses_vcc, 1
	.set _ZN9rocsparseL19gebsrmvn_4xn_kernelILj128ELj7ELj64E21rocsparse_complex_numIfEEEvi20rocsparse_direction_NS_24const_host_device_scalarIT2_EEPKiS8_PKS5_SA_S6_PS5_21rocsparse_index_base_b.uses_flat_scratch, 0
	.set _ZN9rocsparseL19gebsrmvn_4xn_kernelILj128ELj7ELj64E21rocsparse_complex_numIfEEEvi20rocsparse_direction_NS_24const_host_device_scalarIT2_EEPKiS8_PKS5_SA_S6_PS5_21rocsparse_index_base_b.has_dyn_sized_stack, 0
	.set _ZN9rocsparseL19gebsrmvn_4xn_kernelILj128ELj7ELj64E21rocsparse_complex_numIfEEEvi20rocsparse_direction_NS_24const_host_device_scalarIT2_EEPKiS8_PKS5_SA_S6_PS5_21rocsparse_index_base_b.has_recursion, 0
	.set _ZN9rocsparseL19gebsrmvn_4xn_kernelILj128ELj7ELj64E21rocsparse_complex_numIfEEEvi20rocsparse_direction_NS_24const_host_device_scalarIT2_EEPKiS8_PKS5_SA_S6_PS5_21rocsparse_index_base_b.has_indirect_call, 0
	.section	.AMDGPU.csdata,"",@progbits
; Kernel info:
; codeLenInByte = 4304
; TotalNumSgprs: 20
; NumVgprs: 54
; ScratchSize: 0
; MemoryBound: 0
; FloatMode: 240
; IeeeMode: 1
; LDSByteSize: 0 bytes/workgroup (compile time only)
; SGPRBlocks: 2
; VGPRBlocks: 13
; NumSGPRsForWavesPerEU: 20
; NumVGPRsForWavesPerEU: 54
; Occupancy: 4
; WaveLimiterHint : 1
; COMPUTE_PGM_RSRC2:SCRATCH_EN: 0
; COMPUTE_PGM_RSRC2:USER_SGPR: 6
; COMPUTE_PGM_RSRC2:TRAP_HANDLER: 0
; COMPUTE_PGM_RSRC2:TGID_X_EN: 1
; COMPUTE_PGM_RSRC2:TGID_Y_EN: 0
; COMPUTE_PGM_RSRC2:TGID_Z_EN: 0
; COMPUTE_PGM_RSRC2:TIDIG_COMP_CNT: 0
	.section	.text._ZN9rocsparseL19gebsrmvn_4xn_kernelILj128ELj8ELj4E21rocsparse_complex_numIfEEEvi20rocsparse_direction_NS_24const_host_device_scalarIT2_EEPKiS8_PKS5_SA_S6_PS5_21rocsparse_index_base_b,"axG",@progbits,_ZN9rocsparseL19gebsrmvn_4xn_kernelILj128ELj8ELj4E21rocsparse_complex_numIfEEEvi20rocsparse_direction_NS_24const_host_device_scalarIT2_EEPKiS8_PKS5_SA_S6_PS5_21rocsparse_index_base_b,comdat
	.globl	_ZN9rocsparseL19gebsrmvn_4xn_kernelILj128ELj8ELj4E21rocsparse_complex_numIfEEEvi20rocsparse_direction_NS_24const_host_device_scalarIT2_EEPKiS8_PKS5_SA_S6_PS5_21rocsparse_index_base_b ; -- Begin function _ZN9rocsparseL19gebsrmvn_4xn_kernelILj128ELj8ELj4E21rocsparse_complex_numIfEEEvi20rocsparse_direction_NS_24const_host_device_scalarIT2_EEPKiS8_PKS5_SA_S6_PS5_21rocsparse_index_base_b
	.p2align	8
	.type	_ZN9rocsparseL19gebsrmvn_4xn_kernelILj128ELj8ELj4E21rocsparse_complex_numIfEEEvi20rocsparse_direction_NS_24const_host_device_scalarIT2_EEPKiS8_PKS5_SA_S6_PS5_21rocsparse_index_base_b,@function
_ZN9rocsparseL19gebsrmvn_4xn_kernelILj128ELj8ELj4E21rocsparse_complex_numIfEEEvi20rocsparse_direction_NS_24const_host_device_scalarIT2_EEPKiS8_PKS5_SA_S6_PS5_21rocsparse_index_base_b: ; @_ZN9rocsparseL19gebsrmvn_4xn_kernelILj128ELj8ELj4E21rocsparse_complex_numIfEEEvi20rocsparse_direction_NS_24const_host_device_scalarIT2_EEPKiS8_PKS5_SA_S6_PS5_21rocsparse_index_base_b
; %bb.0:
	s_load_dwordx2 s[0:1], s[4:5], 0x8
	s_load_dwordx2 s[8:9], s[4:5], 0x30
	;; [unrolled: 1-line block ×3, first 2 shown]
	s_add_u32 s7, s4, 8
	s_addc_u32 s10, s5, 0
	s_add_u32 s11, s4, 48
	s_addc_u32 s12, s5, 0
	s_waitcnt lgkmcnt(0)
	s_bitcmp1_b32 s3, 0
	s_cselect_b32 s1, s10, s1
	s_cselect_b32 s0, s7, s0
	v_mov_b32_e32 v1, s0
	v_mov_b32_e32 v2, s1
	flat_load_dwordx2 v[1:2], v[1:2]
	s_cselect_b32 s0, s12, s9
	s_cselect_b32 s1, s11, s8
	v_mov_b32_e32 v3, s1
	v_mov_b32_e32 v4, s0
	flat_load_dwordx2 v[3:4], v[3:4]
	s_waitcnt vmcnt(0) lgkmcnt(0)
	v_cmp_eq_f32_e32 vcc, 0, v1
	v_cmp_eq_f32_e64 s[0:1], 0, v2
	s_and_b64 s[10:11], vcc, s[0:1]
	s_mov_b64 s[0:1], -1
	s_and_saveexec_b64 s[8:9], s[10:11]
; %bb.1:
	v_cmp_neq_f32_e32 vcc, 1.0, v3
	v_cmp_neq_f32_e64 s[0:1], 0, v4
	s_or_b64 s[0:1], vcc, s[0:1]
	s_orn2_b64 s[0:1], s[0:1], exec
; %bb.2:
	s_or_b64 exec, exec, s[8:9]
	s_and_saveexec_b64 s[8:9], s[0:1]
	s_cbranch_execz .LBB104_21
; %bb.3:
	s_load_dwordx2 s[0:1], s[4:5], 0x0
	v_lshrrev_b32_e32 v5, 2, v0
	v_lshl_or_b32 v5, s6, 5, v5
	s_waitcnt lgkmcnt(0)
	v_cmp_gt_i32_e32 vcc, s0, v5
	s_and_b64 exec, exec, vcc
	s_cbranch_execz .LBB104_21
; %bb.4:
	s_load_dwordx8 s[8:15], s[4:5], 0x10
	v_ashrrev_i32_e32 v6, 31, v5
	v_lshlrev_b64 v[6:7], 2, v[5:6]
	v_and_b32_e32 v0, 3, v0
	s_cmp_lg_u32 s1, 0
	s_waitcnt lgkmcnt(0)
	v_mov_b32_e32 v8, s9
	v_add_co_u32_e32 v6, vcc, s8, v6
	v_addc_co_u32_e32 v7, vcc, v8, v7, vcc
	global_load_dwordx2 v[6:7], v[6:7], off
	s_waitcnt vmcnt(0)
	v_subrev_u32_e32 v6, s2, v6
	v_subrev_u32_e32 v14, s2, v7
	v_add_u32_e32 v6, v6, v0
	v_cmp_lt_i32_e64 s[0:1], v6, v14
	s_cbranch_scc0 .LBB104_10
; %bb.5:
	v_mov_b32_e32 v13, 0
	v_mov_b32_e32 v20, 0
	;; [unrolled: 1-line block ×8, first 2 shown]
	s_and_saveexec_b64 s[6:7], s[0:1]
	s_cbranch_execz .LBB104_9
; %bb.6:
	v_mov_b32_e32 v8, 0
	v_lshlrev_b32_e32 v7, 5, v6
	s_mov_b64 s[8:9], 0
	v_mov_b32_e32 v17, s11
	v_mov_b32_e32 v18, s13
	;; [unrolled: 1-line block ×12, first 2 shown]
.LBB104_7:                              ; =>This Inner Loop Header: Depth=1
	v_lshlrev_b64 v[24:25], 3, v[7:8]
	v_ashrrev_i32_e32 v10, 31, v9
	v_lshlrev_b64 v[27:28], 2, v[9:10]
	v_add_co_u32_e32 v10, vcc, s12, v24
	v_addc_co_u32_e32 v11, vcc, v18, v25, vcc
	v_add_co_u32_e32 v24, vcc, s10, v27
	v_addc_co_u32_e32 v25, vcc, v17, v28, vcc
	global_load_dword v24, v[24:25], off
	v_mov_b32_e32 v26, v8
	v_add_u32_e32 v9, 4, v9
	v_add_u32_e32 v7, 0x80, v7
	s_waitcnt vmcnt(0)
	v_subrev_u32_e32 v24, s2, v24
	v_lshlrev_b32_e32 v25, 3, v24
	v_lshlrev_b64 v[24:25], 3, v[25:26]
	v_add_co_u32_e32 v32, vcc, s14, v24
	v_addc_co_u32_e32 v33, vcc, v19, v25, vcc
	global_load_dwordx4 v[24:27], v[10:11], off
	global_load_dwordx4 v[28:31], v[32:33], off
	v_cmp_ge_i32_e32 vcc, v9, v14
	s_or_b64 s[8:9], vcc, s[8:9]
	s_waitcnt vmcnt(0)
	v_fmac_f32_e32 v20, v24, v28
	v_fmac_f32_e32 v13, v25, v28
	v_fmac_f32_e32 v22, v26, v28
	v_fmac_f32_e32 v16, v27, v28
	v_fma_f32 v34, -v25, v29, v20
	v_fmac_f32_e32 v13, v24, v29
	v_fma_f32 v35, -v27, v29, v22
	v_fmac_f32_e32 v16, v26, v29
	global_load_dwordx4 v[24:27], v[10:11], off offset:16
	s_waitcnt vmcnt(0)
	v_fmac_f32_e32 v23, v24, v28
	v_fmac_f32_e32 v15, v25, v28
	;; [unrolled: 1-line block ×3, first 2 shown]
	v_fma_f32 v25, -v25, v29, v23
	v_fmac_f32_e32 v15, v24, v29
	v_fma_f32 v24, -v27, v29, v21
	global_load_dwordx4 v[20:23], v[10:11], off offset:32
	v_fmac_f32_e32 v12, v27, v28
	v_fmac_f32_e32 v12, v26, v29
	s_waitcnt vmcnt(0)
	v_fmac_f32_e32 v34, v20, v30
	v_fmac_f32_e32 v13, v21, v30
	;; [unrolled: 1-line block ×4, first 2 shown]
	v_fma_f32 v28, -v21, v31, v34
	v_fmac_f32_e32 v13, v20, v31
	v_fma_f32 v29, -v23, v31, v35
	v_fmac_f32_e32 v16, v22, v31
	global_load_dwordx4 v[20:23], v[10:11], off offset:48
	s_waitcnt vmcnt(0)
	v_fmac_f32_e32 v25, v20, v30
	v_fmac_f32_e32 v15, v21, v30
	;; [unrolled: 1-line block ×4, first 2 shown]
	v_fma_f32 v30, -v21, v31, v25
	v_fmac_f32_e32 v15, v20, v31
	v_fma_f32 v34, -v23, v31, v24
	v_fmac_f32_e32 v12, v22, v31
	global_load_dwordx4 v[20:23], v[10:11], off offset:64
	global_load_dwordx4 v[24:27], v[32:33], off offset:16
	s_waitcnt vmcnt(0)
	v_fmac_f32_e32 v28, v20, v24
	v_fmac_f32_e32 v13, v21, v24
	v_fmac_f32_e32 v29, v22, v24
	v_fmac_f32_e32 v16, v23, v24
	v_fma_f32 v28, -v21, v25, v28
	v_fmac_f32_e32 v13, v20, v25
	v_fma_f32 v29, -v23, v25, v29
	v_fmac_f32_e32 v16, v22, v25
	global_load_dwordx4 v[20:23], v[10:11], off offset:80
	s_waitcnt vmcnt(0)
	v_fmac_f32_e32 v30, v20, v24
	v_fmac_f32_e32 v15, v21, v24
	v_fmac_f32_e32 v34, v22, v24
	v_fmac_f32_e32 v12, v23, v24
	v_fma_f32 v24, -v21, v25, v30
	v_fmac_f32_e32 v15, v20, v25
	v_fma_f32 v30, -v23, v25, v34
	v_fmac_f32_e32 v12, v22, v25
	;; [unrolled: 10-line block ×4, first 2 shown]
	global_load_dwordx4 v[20:23], v[10:11], off offset:128
	global_load_dwordx4 v[24:27], v[32:33], off offset:32
	s_waitcnt vmcnt(0)
	v_fmac_f32_e32 v28, v20, v24
	v_fmac_f32_e32 v13, v21, v24
	v_fmac_f32_e32 v29, v22, v24
	v_fmac_f32_e32 v16, v23, v24
	v_fma_f32 v28, -v21, v25, v28
	v_fmac_f32_e32 v13, v20, v25
	v_fma_f32 v29, -v23, v25, v29
	v_fmac_f32_e32 v16, v22, v25
	global_load_dwordx4 v[20:23], v[10:11], off offset:144
	s_waitcnt vmcnt(0)
	v_fmac_f32_e32 v31, v20, v24
	v_fmac_f32_e32 v15, v21, v24
	v_fmac_f32_e32 v30, v22, v24
	v_fmac_f32_e32 v12, v23, v24
	v_fma_f32 v24, -v21, v25, v31
	v_fmac_f32_e32 v15, v20, v25
	v_fma_f32 v30, -v23, v25, v30
	v_fmac_f32_e32 v12, v22, v25
	;; [unrolled: 10-line block ×4, first 2 shown]
	global_load_dwordx4 v[20:23], v[10:11], off offset:192
	global_load_dwordx4 v[24:27], v[32:33], off offset:48
	s_waitcnt vmcnt(0)
	v_fmac_f32_e32 v28, v20, v24
	v_fmac_f32_e32 v13, v21, v24
	;; [unrolled: 1-line block ×4, first 2 shown]
	v_fma_f32 v28, -v21, v25, v28
	v_fmac_f32_e32 v13, v20, v25
	v_fma_f32 v29, -v23, v25, v29
	v_fmac_f32_e32 v16, v22, v25
	global_load_dwordx4 v[20:23], v[10:11], off offset:208
	s_waitcnt vmcnt(0)
	v_fmac_f32_e32 v31, v20, v24
	v_fmac_f32_e32 v30, v22, v24
	;; [unrolled: 1-line block ×4, first 2 shown]
	v_fma_f32 v32, -v21, v25, v31
	v_fma_f32 v33, -v23, v25, v30
	v_fmac_f32_e32 v12, v22, v25
	global_load_dwordx4 v[21:24], v[10:11], off offset:224
	v_fmac_f32_e32 v15, v20, v25
	s_waitcnt vmcnt(0)
	v_fmac_f32_e32 v28, v21, v26
	v_fmac_f32_e32 v29, v23, v26
	v_fmac_f32_e32 v13, v22, v26
	v_fma_f32 v20, -v22, v27, v28
	v_fma_f32 v22, -v24, v27, v29
	global_load_dwordx4 v[28:31], v[10:11], off offset:240
	v_fmac_f32_e32 v16, v24, v26
	v_fmac_f32_e32 v13, v21, v27
	;; [unrolled: 1-line block ×3, first 2 shown]
	s_waitcnt vmcnt(0)
	v_fmac_f32_e32 v32, v28, v26
	v_fmac_f32_e32 v15, v29, v26
	;; [unrolled: 1-line block ×4, first 2 shown]
	v_fma_f32 v23, -v29, v27, v32
	v_fmac_f32_e32 v15, v28, v27
	v_fma_f32 v21, -v31, v27, v33
	v_fmac_f32_e32 v12, v30, v27
	s_andn2_b64 exec, exec, s[8:9]
	s_cbranch_execnz .LBB104_7
; %bb.8:
	s_or_b64 exec, exec, s[8:9]
.LBB104_9:
	s_or_b64 exec, exec, s[6:7]
	s_cbranch_execz .LBB104_11
	s_branch .LBB104_16
.LBB104_10:
                                        ; implicit-def: $vgpr13
                                        ; implicit-def: $vgpr20
                                        ; implicit-def: $vgpr21
                                        ; implicit-def: $vgpr12
                                        ; implicit-def: $vgpr23
                                        ; implicit-def: $vgpr15
                                        ; implicit-def: $vgpr22
                                        ; implicit-def: $vgpr16
.LBB104_11:
	v_mov_b32_e32 v13, 0
	v_mov_b32_e32 v20, 0
	;; [unrolled: 1-line block ×8, first 2 shown]
	s_and_saveexec_b64 s[6:7], s[0:1]
	s_cbranch_execz .LBB104_15
; %bb.12:
	v_mov_b32_e32 v9, 0
	v_lshlrev_b32_e32 v8, 5, v6
	s_mov_b64 s[0:1], 0
	v_mov_b32_e32 v10, s11
	v_mov_b32_e32 v11, s13
	;; [unrolled: 1-line block ×11, first 2 shown]
.LBB104_13:                             ; =>This Inner Loop Header: Depth=1
	v_lshlrev_b64 v[18:19], 3, v[8:9]
	v_ashrrev_i32_e32 v7, 31, v6
	v_lshlrev_b64 v[24:25], 2, v[6:7]
	v_add_co_u32_e32 v52, vcc, s12, v18
	v_addc_co_u32_e32 v53, vcc, v11, v19, vcc
	v_add_co_u32_e32 v18, vcc, s10, v24
	v_addc_co_u32_e32 v19, vcc, v10, v25, vcc
	global_load_dwordx4 v[24:27], v[52:53], off
	global_load_dwordx4 v[28:31], v[52:53], off offset:16
	global_load_dword v7, v[18:19], off
	v_mov_b32_e32 v33, v9
	v_add_u32_e32 v6, 4, v6
	v_add_u32_e32 v8, 0x80, v8
	s_waitcnt vmcnt(0)
	v_subrev_u32_e32 v7, s2, v7
	v_lshlrev_b32_e32 v32, 3, v7
	v_lshlrev_b64 v[18:19], 3, v[32:33]
	v_add_co_u32_e32 v54, vcc, s14, v18
	v_addc_co_u32_e32 v55, vcc, v17, v19, vcc
	global_load_dwordx4 v[32:35], v[54:55], off
	global_load_dwordx4 v[36:39], v[54:55], off offset:16
	v_cmp_ge_i32_e32 vcc, v6, v14
	s_or_b64 s[0:1], vcc, s[0:1]
	s_waitcnt vmcnt(1)
	v_fmac_f32_e32 v20, v24, v32
	v_fmac_f32_e32 v13, v25, v32
	v_fma_f32 v7, -v25, v33, v20
	v_fmac_f32_e32 v13, v24, v33
	v_fmac_f32_e32 v7, v26, v34
	;; [unrolled: 1-line block ×3, first 2 shown]
	v_fma_f32 v7, -v27, v35, v7
	v_fmac_f32_e32 v13, v26, v35
	global_load_dwordx4 v[24:27], v[52:53], off offset:64
	global_load_dwordx4 v[40:43], v[52:53], off offset:80
	s_waitcnt vmcnt(2)
	v_fmac_f32_e32 v7, v28, v36
	v_fmac_f32_e32 v13, v29, v36
	v_fma_f32 v7, -v29, v37, v7
	v_fmac_f32_e32 v13, v28, v37
	v_fmac_f32_e32 v7, v30, v38
	;; [unrolled: 1-line block ×3, first 2 shown]
	v_fma_f32 v7, -v31, v39, v7
	v_fmac_f32_e32 v13, v30, v39
	s_waitcnt vmcnt(1)
	v_fmac_f32_e32 v22, v24, v32
	v_fmac_f32_e32 v16, v25, v32
	v_fma_f32 v18, -v25, v33, v22
	v_fmac_f32_e32 v16, v24, v33
	v_fmac_f32_e32 v18, v26, v34
	;; [unrolled: 1-line block ×3, first 2 shown]
	v_fma_f32 v18, -v27, v35, v18
	v_fmac_f32_e32 v16, v26, v35
	global_load_dwordx4 v[24:27], v[52:53], off offset:128
	global_load_dwordx4 v[44:47], v[52:53], off offset:144
	s_waitcnt vmcnt(2)
	v_fmac_f32_e32 v18, v40, v36
	v_fma_f32 v18, -v41, v37, v18
	v_fmac_f32_e32 v16, v41, v36
	v_fmac_f32_e32 v18, v42, v38
	;; [unrolled: 1-line block ×3, first 2 shown]
	v_fma_f32 v40, -v43, v39, v18
	v_fmac_f32_e32 v16, v43, v38
	v_fmac_f32_e32 v16, v42, v39
	s_waitcnt vmcnt(1)
	v_fmac_f32_e32 v23, v24, v32
	v_fmac_f32_e32 v15, v25, v32
	v_fma_f32 v19, -v25, v33, v23
	v_fmac_f32_e32 v15, v24, v33
	global_load_dwordx4 v[22:25], v[52:53], off offset:192
	global_load_dwordx4 v[48:51], v[52:53], off offset:208
	v_fmac_f32_e32 v19, v26, v34
	v_fmac_f32_e32 v15, v27, v34
	v_fma_f32 v19, -v27, v35, v19
	v_fmac_f32_e32 v15, v26, v35
	s_waitcnt vmcnt(2)
	v_fmac_f32_e32 v19, v44, v36
	v_fmac_f32_e32 v15, v45, v36
	v_fma_f32 v18, -v45, v37, v19
	v_fmac_f32_e32 v15, v44, v37
	v_fmac_f32_e32 v18, v46, v38
	;; [unrolled: 1-line block ×3, first 2 shown]
	v_fma_f32 v42, -v47, v39, v18
	v_fmac_f32_e32 v15, v46, v39
	s_waitcnt vmcnt(1)
	v_fmac_f32_e32 v21, v22, v32
	v_fma_f32 v20, -v23, v33, v21
	v_fmac_f32_e32 v12, v23, v32
	v_fmac_f32_e32 v20, v24, v34
	;; [unrolled: 1-line block ×3, first 2 shown]
	v_fma_f32 v22, -v25, v35, v20
	s_waitcnt vmcnt(0)
	v_fmac_f32_e32 v22, v48, v36
	v_fma_f32 v22, -v49, v37, v22
	v_fmac_f32_e32 v12, v25, v34
	global_load_dwordx4 v[18:21], v[52:53], off offset:32
	v_fmac_f32_e32 v22, v50, v38
	v_fmac_f32_e32 v12, v24, v35
	v_fma_f32 v46, -v51, v39, v22
	global_load_dwordx4 v[22:25], v[52:53], off offset:48
	global_load_dwordx4 v[26:29], v[54:55], off offset:32
	;; [unrolled: 1-line block ×3, first 2 shown]
	v_fmac_f32_e32 v12, v49, v36
	v_fmac_f32_e32 v12, v48, v37
	;; [unrolled: 1-line block ×4, first 2 shown]
	s_waitcnt vmcnt(1)
	v_fmac_f32_e32 v7, v18, v26
	v_fmac_f32_e32 v13, v19, v26
	v_fma_f32 v7, -v19, v27, v7
	v_fmac_f32_e32 v13, v18, v27
	v_fmac_f32_e32 v7, v20, v28
	;; [unrolled: 1-line block ×3, first 2 shown]
	v_fma_f32 v7, -v21, v29, v7
	v_fmac_f32_e32 v13, v20, v29
	global_load_dwordx4 v[18:21], v[52:53], off offset:96
	global_load_dwordx4 v[34:37], v[52:53], off offset:112
	s_waitcnt vmcnt(2)
	v_fmac_f32_e32 v7, v22, v30
	v_fma_f32 v7, -v23, v31, v7
	v_fmac_f32_e32 v13, v23, v30
	v_fmac_f32_e32 v7, v24, v32
	;; [unrolled: 1-line block ×5, first 2 shown]
	s_waitcnt vmcnt(1)
	v_fmac_f32_e32 v40, v18, v26
	v_fmac_f32_e32 v16, v19, v26
	v_fma_f32 v19, -v19, v27, v40
	v_fmac_f32_e32 v16, v18, v27
	v_fmac_f32_e32 v19, v20, v28
	;; [unrolled: 1-line block ×3, first 2 shown]
	v_fma_f32 v47, -v21, v29, v19
	v_fmac_f32_e32 v16, v20, v29
	global_load_dwordx4 v[18:21], v[52:53], off offset:160
	global_load_dwordx4 v[38:41], v[52:53], off offset:176
	s_waitcnt vmcnt(2)
	v_fmac_f32_e32 v47, v34, v30
	v_fmac_f32_e32 v16, v35, v30
	;; [unrolled: 1-line block ×5, first 2 shown]
	s_waitcnt vmcnt(1)
	v_fmac_f32_e32 v42, v18, v26
	v_fmac_f32_e32 v15, v19, v26
	v_fma_f32 v19, -v19, v27, v42
	v_fmac_f32_e32 v15, v18, v27
	v_fmac_f32_e32 v19, v20, v28
	;; [unrolled: 1-line block ×3, first 2 shown]
	v_fma_f32 v48, -v21, v29, v19
	v_fmac_f32_e32 v15, v20, v29
	global_load_dwordx4 v[18:21], v[52:53], off offset:224
	global_load_dwordx4 v[42:45], v[52:53], off offset:240
	s_waitcnt vmcnt(2)
	v_fmac_f32_e32 v48, v38, v30
	v_fmac_f32_e32 v15, v39, v30
	;; [unrolled: 1-line block ×5, first 2 shown]
	s_waitcnt vmcnt(1)
	v_fmac_f32_e32 v46, v18, v26
	v_fmac_f32_e32 v12, v19, v26
	v_fma_f32 v19, -v19, v27, v46
	v_fmac_f32_e32 v12, v18, v27
	v_fmac_f32_e32 v19, v20, v28
	;; [unrolled: 1-line block ×3, first 2 shown]
	v_fma_f32 v18, -v21, v29, v19
	v_fmac_f32_e32 v12, v20, v29
	s_waitcnt vmcnt(0)
	v_fmac_f32_e32 v18, v42, v30
	v_fmac_f32_e32 v12, v43, v30
	v_fma_f32 v20, -v25, v33, v7
	v_fma_f32 v7, -v35, v31, v47
	;; [unrolled: 1-line block ×4, first 2 shown]
	v_fmac_f32_e32 v12, v42, v31
	v_fmac_f32_e32 v7, v36, v32
	;; [unrolled: 1-line block ×5, first 2 shown]
	v_fma_f32 v22, -v37, v33, v7
	v_fma_f32 v23, -v41, v33, v19
	;; [unrolled: 1-line block ×3, first 2 shown]
	v_fmac_f32_e32 v12, v44, v33
	s_andn2_b64 exec, exec, s[0:1]
	s_cbranch_execnz .LBB104_13
; %bb.14:
	s_or_b64 exec, exec, s[0:1]
.LBB104_15:
	s_or_b64 exec, exec, s[6:7]
.LBB104_16:
	v_mov_b32_dpp v10, v22 row_shr:1 row_mask:0xf bank_mask:0xf
	v_add_f32_e32 v11, v22, v10
	v_mov_b32_dpp v6, v20 row_shr:1 row_mask:0xf bank_mask:0xf
	v_mov_b32_dpp v10, v16 row_shr:1 row_mask:0xf bank_mask:0xf
	v_add_f32_e32 v14, v16, v10
	v_add_f32_e32 v6, v20, v6
	v_mov_b32_dpp v10, v23 row_shr:1 row_mask:0xf bank_mask:0xf
	v_add_f32_e32 v17, v23, v10
	v_mov_b32_dpp v8, v13 row_shr:1 row_mask:0xf bank_mask:0xf
	v_mov_b32_dpp v10, v15 row_shr:1 row_mask:0xf bank_mask:0xf
	v_add_f32_e32 v15, v15, v10
	v_add_f32_e32 v8, v13, v8
	v_mov_b32_dpp v10, v21 row_shr:1 row_mask:0xf bank_mask:0xf
	v_add_f32_e32 v20, v21, v10
	v_mov_b32_dpp v7, v6 row_shr:2 row_mask:0xf bank_mask:0xf
	v_mov_b32_dpp v10, v12 row_shr:1 row_mask:0xf bank_mask:0xf
	v_add_f32_e32 v22, v12, v10
	v_mov_b32_dpp v9, v8 row_shr:2 row_mask:0xf bank_mask:0xf
	v_mov_b32_dpp v13, v11 row_shr:2 row_mask:0xf bank_mask:0xf
	;; [unrolled: 1-line block ×7, first 2 shown]
	v_cmp_eq_u32_e32 vcc, 3, v0
	s_and_b64 exec, exec, vcc
	s_cbranch_execz .LBB104_21
; %bb.17:
	s_load_dwordx2 s[2:3], s[4:5], 0x38
	v_cmp_eq_f32_e32 vcc, 0, v3
	v_cmp_eq_f32_e64 s[0:1], 0, v4
	v_add_f32_e32 v10, v6, v7
	v_add_f32_e32 v12, v8, v9
	;; [unrolled: 1-line block ×8, first 2 shown]
	s_and_b64 s[0:1], vcc, s[0:1]
	s_and_saveexec_b64 s[4:5], s[0:1]
	s_xor_b64 s[0:1], exec, s[4:5]
	s_cbranch_execz .LBB104_19
; %bb.18:
	v_lshlrev_b32_e32 v3, 2, v5
	v_ashrrev_i32_e32 v4, 31, v3
	v_lshlrev_b64 v[3:4], 3, v[3:4]
	s_waitcnt lgkmcnt(0)
	v_mov_b32_e32 v5, s3
	v_add_co_u32_e32 v17, vcc, s2, v3
	v_addc_co_u32_e32 v18, vcc, v5, v4, vcc
	v_mul_f32_e64 v3, v9, -v2
	v_mul_f32_e32 v4, v1, v9
	v_mul_f32_e64 v13, v12, -v2
	v_mul_f32_e32 v14, v1, v12
	;; [unrolled: 2-line block ×3, first 2 shown]
	v_fmac_f32_e32 v3, v1, v6
	v_fmac_f32_e32 v4, v2, v6
	v_mul_f32_e64 v5, v7, -v2
	v_mul_f32_e32 v6, v1, v7
	v_fmac_f32_e32 v13, v1, v10
	v_fmac_f32_e32 v14, v2, v10
	;; [unrolled: 1-line block ×6, first 2 shown]
	global_store_dwordx4 v[17:18], v[13:16], off
	global_store_dwordx4 v[17:18], v[3:6], off offset:16
                                        ; implicit-def: $vgpr5
                                        ; implicit-def: $vgpr10
                                        ; implicit-def: $vgpr12
                                        ; implicit-def: $vgpr8
                                        ; implicit-def: $vgpr11
                                        ; implicit-def: $vgpr6
                                        ; implicit-def: $vgpr9
                                        ; implicit-def: $vgpr0
                                        ; implicit-def: $vgpr7
                                        ; implicit-def: $vgpr1_vgpr2
                                        ; implicit-def: $vgpr3_vgpr4
.LBB104_19:
	s_andn2_saveexec_b64 s[0:1], s[0:1]
	s_cbranch_execz .LBB104_21
; %bb.20:
	v_lshlrev_b32_e32 v13, 2, v5
	v_ashrrev_i32_e32 v14, 31, v13
	v_lshlrev_b64 v[13:14], 3, v[13:14]
	s_waitcnt lgkmcnt(0)
	v_mov_b32_e32 v5, s3
	v_add_co_u32_e32 v25, vcc, s2, v13
	v_addc_co_u32_e32 v26, vcc, v5, v14, vcc
	global_load_dwordx4 v[13:16], v[25:26], off
	global_load_dwordx4 v[17:20], v[25:26], off offset:16
	v_mul_f32_e64 v5, v12, -v2
	v_mul_f32_e32 v22, v1, v12
	v_mul_f32_e64 v12, v11, -v2
	v_mul_f32_e32 v24, v1, v11
	;; [unrolled: 2-line block ×4, first 2 shown]
	v_fmac_f32_e32 v5, v1, v10
	v_fmac_f32_e32 v22, v2, v10
	v_fmac_f32_e32 v12, v1, v8
	v_fmac_f32_e32 v24, v2, v8
	v_fmac_f32_e32 v27, v1, v6
	v_fmac_f32_e32 v9, v2, v6
	v_fmac_f32_e32 v28, v1, v0
	v_fmac_f32_e32 v11, v2, v0
	s_waitcnt vmcnt(1)
	v_fmac_f32_e32 v5, v3, v13
	v_fmac_f32_e32 v22, v4, v13
	;; [unrolled: 1-line block ×4, first 2 shown]
	s_waitcnt vmcnt(0)
	v_fmac_f32_e32 v27, v3, v17
	v_fmac_f32_e32 v9, v4, v17
	v_fmac_f32_e32 v28, v3, v19
	v_fmac_f32_e32 v11, v4, v19
	v_fma_f32 v21, -v4, v14, v5
	v_fmac_f32_e32 v22, v3, v14
	v_fma_f32 v23, -v4, v16, v12
	v_fmac_f32_e32 v24, v3, v16
	;; [unrolled: 2-line block ×4, first 2 shown]
	global_store_dwordx4 v[25:26], v[21:24], off
	global_store_dwordx4 v[25:26], v[8:11], off offset:16
.LBB104_21:
	s_endpgm
	.section	.rodata,"a",@progbits
	.p2align	6, 0x0
	.amdhsa_kernel _ZN9rocsparseL19gebsrmvn_4xn_kernelILj128ELj8ELj4E21rocsparse_complex_numIfEEEvi20rocsparse_direction_NS_24const_host_device_scalarIT2_EEPKiS8_PKS5_SA_S6_PS5_21rocsparse_index_base_b
		.amdhsa_group_segment_fixed_size 0
		.amdhsa_private_segment_fixed_size 0
		.amdhsa_kernarg_size 72
		.amdhsa_user_sgpr_count 6
		.amdhsa_user_sgpr_private_segment_buffer 1
		.amdhsa_user_sgpr_dispatch_ptr 0
		.amdhsa_user_sgpr_queue_ptr 0
		.amdhsa_user_sgpr_kernarg_segment_ptr 1
		.amdhsa_user_sgpr_dispatch_id 0
		.amdhsa_user_sgpr_flat_scratch_init 0
		.amdhsa_user_sgpr_private_segment_size 0
		.amdhsa_uses_dynamic_stack 0
		.amdhsa_system_sgpr_private_segment_wavefront_offset 0
		.amdhsa_system_sgpr_workgroup_id_x 1
		.amdhsa_system_sgpr_workgroup_id_y 0
		.amdhsa_system_sgpr_workgroup_id_z 0
		.amdhsa_system_sgpr_workgroup_info 0
		.amdhsa_system_vgpr_workitem_id 0
		.amdhsa_next_free_vgpr 56
		.amdhsa_next_free_sgpr 16
		.amdhsa_reserve_vcc 1
		.amdhsa_reserve_flat_scratch 0
		.amdhsa_float_round_mode_32 0
		.amdhsa_float_round_mode_16_64 0
		.amdhsa_float_denorm_mode_32 3
		.amdhsa_float_denorm_mode_16_64 3
		.amdhsa_dx10_clamp 1
		.amdhsa_ieee_mode 1
		.amdhsa_fp16_overflow 0
		.amdhsa_exception_fp_ieee_invalid_op 0
		.amdhsa_exception_fp_denorm_src 0
		.amdhsa_exception_fp_ieee_div_zero 0
		.amdhsa_exception_fp_ieee_overflow 0
		.amdhsa_exception_fp_ieee_underflow 0
		.amdhsa_exception_fp_ieee_inexact 0
		.amdhsa_exception_int_div_zero 0
	.end_amdhsa_kernel
	.section	.text._ZN9rocsparseL19gebsrmvn_4xn_kernelILj128ELj8ELj4E21rocsparse_complex_numIfEEEvi20rocsparse_direction_NS_24const_host_device_scalarIT2_EEPKiS8_PKS5_SA_S6_PS5_21rocsparse_index_base_b,"axG",@progbits,_ZN9rocsparseL19gebsrmvn_4xn_kernelILj128ELj8ELj4E21rocsparse_complex_numIfEEEvi20rocsparse_direction_NS_24const_host_device_scalarIT2_EEPKiS8_PKS5_SA_S6_PS5_21rocsparse_index_base_b,comdat
.Lfunc_end104:
	.size	_ZN9rocsparseL19gebsrmvn_4xn_kernelILj128ELj8ELj4E21rocsparse_complex_numIfEEEvi20rocsparse_direction_NS_24const_host_device_scalarIT2_EEPKiS8_PKS5_SA_S6_PS5_21rocsparse_index_base_b, .Lfunc_end104-_ZN9rocsparseL19gebsrmvn_4xn_kernelILj128ELj8ELj4E21rocsparse_complex_numIfEEEvi20rocsparse_direction_NS_24const_host_device_scalarIT2_EEPKiS8_PKS5_SA_S6_PS5_21rocsparse_index_base_b
                                        ; -- End function
	.set _ZN9rocsparseL19gebsrmvn_4xn_kernelILj128ELj8ELj4E21rocsparse_complex_numIfEEEvi20rocsparse_direction_NS_24const_host_device_scalarIT2_EEPKiS8_PKS5_SA_S6_PS5_21rocsparse_index_base_b.num_vgpr, 56
	.set _ZN9rocsparseL19gebsrmvn_4xn_kernelILj128ELj8ELj4E21rocsparse_complex_numIfEEEvi20rocsparse_direction_NS_24const_host_device_scalarIT2_EEPKiS8_PKS5_SA_S6_PS5_21rocsparse_index_base_b.num_agpr, 0
	.set _ZN9rocsparseL19gebsrmvn_4xn_kernelILj128ELj8ELj4E21rocsparse_complex_numIfEEEvi20rocsparse_direction_NS_24const_host_device_scalarIT2_EEPKiS8_PKS5_SA_S6_PS5_21rocsparse_index_base_b.numbered_sgpr, 16
	.set _ZN9rocsparseL19gebsrmvn_4xn_kernelILj128ELj8ELj4E21rocsparse_complex_numIfEEEvi20rocsparse_direction_NS_24const_host_device_scalarIT2_EEPKiS8_PKS5_SA_S6_PS5_21rocsparse_index_base_b.num_named_barrier, 0
	.set _ZN9rocsparseL19gebsrmvn_4xn_kernelILj128ELj8ELj4E21rocsparse_complex_numIfEEEvi20rocsparse_direction_NS_24const_host_device_scalarIT2_EEPKiS8_PKS5_SA_S6_PS5_21rocsparse_index_base_b.private_seg_size, 0
	.set _ZN9rocsparseL19gebsrmvn_4xn_kernelILj128ELj8ELj4E21rocsparse_complex_numIfEEEvi20rocsparse_direction_NS_24const_host_device_scalarIT2_EEPKiS8_PKS5_SA_S6_PS5_21rocsparse_index_base_b.uses_vcc, 1
	.set _ZN9rocsparseL19gebsrmvn_4xn_kernelILj128ELj8ELj4E21rocsparse_complex_numIfEEEvi20rocsparse_direction_NS_24const_host_device_scalarIT2_EEPKiS8_PKS5_SA_S6_PS5_21rocsparse_index_base_b.uses_flat_scratch, 0
	.set _ZN9rocsparseL19gebsrmvn_4xn_kernelILj128ELj8ELj4E21rocsparse_complex_numIfEEEvi20rocsparse_direction_NS_24const_host_device_scalarIT2_EEPKiS8_PKS5_SA_S6_PS5_21rocsparse_index_base_b.has_dyn_sized_stack, 0
	.set _ZN9rocsparseL19gebsrmvn_4xn_kernelILj128ELj8ELj4E21rocsparse_complex_numIfEEEvi20rocsparse_direction_NS_24const_host_device_scalarIT2_EEPKiS8_PKS5_SA_S6_PS5_21rocsparse_index_base_b.has_recursion, 0
	.set _ZN9rocsparseL19gebsrmvn_4xn_kernelILj128ELj8ELj4E21rocsparse_complex_numIfEEEvi20rocsparse_direction_NS_24const_host_device_scalarIT2_EEPKiS8_PKS5_SA_S6_PS5_21rocsparse_index_base_b.has_indirect_call, 0
	.section	.AMDGPU.csdata,"",@progbits
; Kernel info:
; codeLenInByte = 3040
; TotalNumSgprs: 20
; NumVgprs: 56
; ScratchSize: 0
; MemoryBound: 0
; FloatMode: 240
; IeeeMode: 1
; LDSByteSize: 0 bytes/workgroup (compile time only)
; SGPRBlocks: 2
; VGPRBlocks: 13
; NumSGPRsForWavesPerEU: 20
; NumVGPRsForWavesPerEU: 56
; Occupancy: 4
; WaveLimiterHint : 1
; COMPUTE_PGM_RSRC2:SCRATCH_EN: 0
; COMPUTE_PGM_RSRC2:USER_SGPR: 6
; COMPUTE_PGM_RSRC2:TRAP_HANDLER: 0
; COMPUTE_PGM_RSRC2:TGID_X_EN: 1
; COMPUTE_PGM_RSRC2:TGID_Y_EN: 0
; COMPUTE_PGM_RSRC2:TGID_Z_EN: 0
; COMPUTE_PGM_RSRC2:TIDIG_COMP_CNT: 0
	.section	.text._ZN9rocsparseL19gebsrmvn_4xn_kernelILj128ELj8ELj8E21rocsparse_complex_numIfEEEvi20rocsparse_direction_NS_24const_host_device_scalarIT2_EEPKiS8_PKS5_SA_S6_PS5_21rocsparse_index_base_b,"axG",@progbits,_ZN9rocsparseL19gebsrmvn_4xn_kernelILj128ELj8ELj8E21rocsparse_complex_numIfEEEvi20rocsparse_direction_NS_24const_host_device_scalarIT2_EEPKiS8_PKS5_SA_S6_PS5_21rocsparse_index_base_b,comdat
	.globl	_ZN9rocsparseL19gebsrmvn_4xn_kernelILj128ELj8ELj8E21rocsparse_complex_numIfEEEvi20rocsparse_direction_NS_24const_host_device_scalarIT2_EEPKiS8_PKS5_SA_S6_PS5_21rocsparse_index_base_b ; -- Begin function _ZN9rocsparseL19gebsrmvn_4xn_kernelILj128ELj8ELj8E21rocsparse_complex_numIfEEEvi20rocsparse_direction_NS_24const_host_device_scalarIT2_EEPKiS8_PKS5_SA_S6_PS5_21rocsparse_index_base_b
	.p2align	8
	.type	_ZN9rocsparseL19gebsrmvn_4xn_kernelILj128ELj8ELj8E21rocsparse_complex_numIfEEEvi20rocsparse_direction_NS_24const_host_device_scalarIT2_EEPKiS8_PKS5_SA_S6_PS5_21rocsparse_index_base_b,@function
_ZN9rocsparseL19gebsrmvn_4xn_kernelILj128ELj8ELj8E21rocsparse_complex_numIfEEEvi20rocsparse_direction_NS_24const_host_device_scalarIT2_EEPKiS8_PKS5_SA_S6_PS5_21rocsparse_index_base_b: ; @_ZN9rocsparseL19gebsrmvn_4xn_kernelILj128ELj8ELj8E21rocsparse_complex_numIfEEEvi20rocsparse_direction_NS_24const_host_device_scalarIT2_EEPKiS8_PKS5_SA_S6_PS5_21rocsparse_index_base_b
; %bb.0:
	s_load_dwordx2 s[0:1], s[4:5], 0x8
	s_load_dwordx2 s[8:9], s[4:5], 0x30
	;; [unrolled: 1-line block ×3, first 2 shown]
	s_add_u32 s7, s4, 8
	s_addc_u32 s10, s5, 0
	s_add_u32 s11, s4, 48
	s_addc_u32 s12, s5, 0
	s_waitcnt lgkmcnt(0)
	s_bitcmp1_b32 s3, 0
	s_cselect_b32 s1, s10, s1
	s_cselect_b32 s0, s7, s0
	v_mov_b32_e32 v1, s0
	v_mov_b32_e32 v2, s1
	flat_load_dwordx2 v[1:2], v[1:2]
	s_cselect_b32 s0, s12, s9
	s_cselect_b32 s1, s11, s8
	v_mov_b32_e32 v3, s1
	v_mov_b32_e32 v4, s0
	flat_load_dwordx2 v[3:4], v[3:4]
	s_waitcnt vmcnt(0) lgkmcnt(0)
	v_cmp_eq_f32_e32 vcc, 0, v1
	v_cmp_eq_f32_e64 s[0:1], 0, v2
	s_and_b64 s[10:11], vcc, s[0:1]
	s_mov_b64 s[0:1], -1
	s_and_saveexec_b64 s[8:9], s[10:11]
; %bb.1:
	v_cmp_neq_f32_e32 vcc, 1.0, v3
	v_cmp_neq_f32_e64 s[0:1], 0, v4
	s_or_b64 s[0:1], vcc, s[0:1]
	s_orn2_b64 s[0:1], s[0:1], exec
; %bb.2:
	s_or_b64 exec, exec, s[8:9]
	s_and_saveexec_b64 s[8:9], s[0:1]
	s_cbranch_execz .LBB105_21
; %bb.3:
	s_load_dwordx2 s[0:1], s[4:5], 0x0
	v_lshrrev_b32_e32 v5, 3, v0
	v_lshl_or_b32 v5, s6, 4, v5
	s_waitcnt lgkmcnt(0)
	v_cmp_gt_i32_e32 vcc, s0, v5
	s_and_b64 exec, exec, vcc
	s_cbranch_execz .LBB105_21
; %bb.4:
	s_load_dwordx8 s[8:15], s[4:5], 0x10
	v_ashrrev_i32_e32 v6, 31, v5
	v_lshlrev_b64 v[6:7], 2, v[5:6]
	v_and_b32_e32 v0, 7, v0
	s_cmp_lg_u32 s1, 0
	s_waitcnt lgkmcnt(0)
	v_mov_b32_e32 v8, s9
	v_add_co_u32_e32 v6, vcc, s8, v6
	v_addc_co_u32_e32 v7, vcc, v8, v7, vcc
	global_load_dwordx2 v[6:7], v[6:7], off
	s_waitcnt vmcnt(0)
	v_subrev_u32_e32 v6, s2, v6
	v_subrev_u32_e32 v15, s2, v7
	v_add_u32_e32 v6, v6, v0
	v_cmp_lt_i32_e64 s[0:1], v6, v15
	s_cbranch_scc0 .LBB105_10
; %bb.5:
	v_mov_b32_e32 v13, 0
	v_mov_b32_e32 v21, 0
	;; [unrolled: 1-line block ×8, first 2 shown]
	s_and_saveexec_b64 s[6:7], s[0:1]
	s_cbranch_execz .LBB105_9
; %bb.6:
	v_mov_b32_e32 v8, 0
	v_lshlrev_b32_e32 v7, 5, v6
	s_mov_b64 s[8:9], 0
	v_mov_b32_e32 v17, s11
	v_mov_b32_e32 v18, s13
	;; [unrolled: 1-line block ×12, first 2 shown]
.LBB105_7:                              ; =>This Inner Loop Header: Depth=1
	v_lshlrev_b64 v[24:25], 3, v[7:8]
	v_ashrrev_i32_e32 v10, 31, v9
	v_lshlrev_b64 v[27:28], 2, v[9:10]
	v_add_co_u32_e32 v10, vcc, s12, v24
	v_addc_co_u32_e32 v11, vcc, v18, v25, vcc
	v_add_co_u32_e32 v24, vcc, s10, v27
	v_addc_co_u32_e32 v25, vcc, v17, v28, vcc
	global_load_dword v24, v[24:25], off
	v_mov_b32_e32 v26, v8
	v_add_u32_e32 v9, 8, v9
	v_add_u32_e32 v7, 0x100, v7
	s_waitcnt vmcnt(0)
	v_subrev_u32_e32 v24, s2, v24
	v_lshlrev_b32_e32 v25, 3, v24
	v_lshlrev_b64 v[24:25], 3, v[25:26]
	v_add_co_u32_e32 v32, vcc, s14, v24
	v_addc_co_u32_e32 v33, vcc, v19, v25, vcc
	global_load_dwordx4 v[24:27], v[10:11], off
	global_load_dwordx4 v[28:31], v[32:33], off
	v_cmp_ge_i32_e32 vcc, v9, v15
	s_or_b64 s[8:9], vcc, s[8:9]
	s_waitcnt vmcnt(0)
	v_fmac_f32_e32 v21, v24, v28
	v_fmac_f32_e32 v13, v25, v28
	;; [unrolled: 1-line block ×4, first 2 shown]
	v_fma_f32 v34, -v25, v29, v21
	v_fmac_f32_e32 v13, v24, v29
	v_fma_f32 v35, -v27, v29, v22
	v_fmac_f32_e32 v16, v26, v29
	global_load_dwordx4 v[24:27], v[10:11], off offset:16
	s_waitcnt vmcnt(0)
	v_fmac_f32_e32 v23, v24, v28
	v_fmac_f32_e32 v14, v25, v28
	;; [unrolled: 1-line block ×3, first 2 shown]
	v_fma_f32 v25, -v25, v29, v23
	v_fmac_f32_e32 v14, v24, v29
	v_fma_f32 v24, -v27, v29, v20
	global_load_dwordx4 v[20:23], v[10:11], off offset:32
	v_fmac_f32_e32 v12, v27, v28
	v_fmac_f32_e32 v12, v26, v29
	s_waitcnt vmcnt(0)
	v_fmac_f32_e32 v34, v20, v30
	v_fmac_f32_e32 v13, v21, v30
	v_fmac_f32_e32 v35, v22, v30
	v_fmac_f32_e32 v16, v23, v30
	v_fma_f32 v28, -v21, v31, v34
	v_fmac_f32_e32 v13, v20, v31
	v_fma_f32 v29, -v23, v31, v35
	v_fmac_f32_e32 v16, v22, v31
	global_load_dwordx4 v[20:23], v[10:11], off offset:48
	s_waitcnt vmcnt(0)
	v_fmac_f32_e32 v25, v20, v30
	v_fmac_f32_e32 v14, v21, v30
	v_fmac_f32_e32 v24, v22, v30
	v_fmac_f32_e32 v12, v23, v30
	v_fma_f32 v30, -v21, v31, v25
	v_fmac_f32_e32 v14, v20, v31
	v_fma_f32 v34, -v23, v31, v24
	v_fmac_f32_e32 v12, v22, v31
	global_load_dwordx4 v[20:23], v[10:11], off offset:64
	global_load_dwordx4 v[24:27], v[32:33], off offset:16
	s_waitcnt vmcnt(0)
	v_fmac_f32_e32 v28, v20, v24
	v_fmac_f32_e32 v13, v21, v24
	v_fmac_f32_e32 v29, v22, v24
	v_fmac_f32_e32 v16, v23, v24
	v_fma_f32 v28, -v21, v25, v28
	v_fmac_f32_e32 v13, v20, v25
	v_fma_f32 v29, -v23, v25, v29
	v_fmac_f32_e32 v16, v22, v25
	global_load_dwordx4 v[20:23], v[10:11], off offset:80
	s_waitcnt vmcnt(0)
	v_fmac_f32_e32 v30, v20, v24
	v_fmac_f32_e32 v14, v21, v24
	v_fmac_f32_e32 v34, v22, v24
	v_fmac_f32_e32 v12, v23, v24
	v_fma_f32 v24, -v21, v25, v30
	v_fmac_f32_e32 v14, v20, v25
	v_fma_f32 v30, -v23, v25, v34
	v_fmac_f32_e32 v12, v22, v25
	global_load_dwordx4 v[20:23], v[10:11], off offset:96
	s_waitcnt vmcnt(0)
	v_fmac_f32_e32 v28, v20, v26
	v_fmac_f32_e32 v13, v21, v26
	v_fmac_f32_e32 v29, v22, v26
	v_fmac_f32_e32 v16, v23, v26
	v_fma_f32 v28, -v21, v27, v28
	v_fmac_f32_e32 v13, v20, v27
	v_fma_f32 v29, -v23, v27, v29
	v_fmac_f32_e32 v16, v22, v27
	global_load_dwordx4 v[20:23], v[10:11], off offset:112
	s_waitcnt vmcnt(0)
	v_fmac_f32_e32 v24, v20, v26
	v_fmac_f32_e32 v14, v21, v26
	v_fmac_f32_e32 v30, v22, v26
	v_fmac_f32_e32 v12, v23, v26
	v_fma_f32 v31, -v21, v27, v24
	v_fmac_f32_e32 v14, v20, v27
	v_fma_f32 v30, -v23, v27, v30
	v_fmac_f32_e32 v12, v22, v27
	global_load_dwordx4 v[20:23], v[10:11], off offset:128
	global_load_dwordx4 v[24:27], v[32:33], off offset:32
	s_waitcnt vmcnt(0)
	v_fmac_f32_e32 v28, v20, v24
	v_fmac_f32_e32 v13, v21, v24
	v_fmac_f32_e32 v29, v22, v24
	v_fmac_f32_e32 v16, v23, v24
	v_fma_f32 v28, -v21, v25, v28
	v_fmac_f32_e32 v13, v20, v25
	v_fma_f32 v29, -v23, v25, v29
	v_fmac_f32_e32 v16, v22, v25
	global_load_dwordx4 v[20:23], v[10:11], off offset:144
	s_waitcnt vmcnt(0)
	v_fmac_f32_e32 v31, v20, v24
	v_fmac_f32_e32 v14, v21, v24
	v_fmac_f32_e32 v30, v22, v24
	v_fmac_f32_e32 v12, v23, v24
	v_fma_f32 v24, -v21, v25, v31
	v_fmac_f32_e32 v14, v20, v25
	v_fma_f32 v30, -v23, v25, v30
	v_fmac_f32_e32 v12, v22, v25
	global_load_dwordx4 v[20:23], v[10:11], off offset:160
	;; [unrolled: 41-line block ×3, first 2 shown]
	s_waitcnt vmcnt(0)
	v_fmac_f32_e32 v28, v22, v26
	v_fmac_f32_e32 v13, v23, v26
	;; [unrolled: 1-line block ×3, first 2 shown]
	v_fma_f32 v21, -v23, v27, v28
	v_fmac_f32_e32 v13, v22, v27
	v_fma_f32 v22, -v25, v27, v29
	global_load_dwordx4 v[28:31], v[10:11], off offset:240
	v_fmac_f32_e32 v16, v25, v26
	v_fmac_f32_e32 v16, v24, v27
	s_waitcnt vmcnt(0)
	v_fmac_f32_e32 v32, v28, v26
	v_fmac_f32_e32 v14, v29, v26
	;; [unrolled: 1-line block ×4, first 2 shown]
	v_fma_f32 v23, -v29, v27, v32
	v_fmac_f32_e32 v14, v28, v27
	v_fma_f32 v20, -v31, v27, v20
	v_fmac_f32_e32 v12, v30, v27
	s_andn2_b64 exec, exec, s[8:9]
	s_cbranch_execnz .LBB105_7
; %bb.8:
	s_or_b64 exec, exec, s[8:9]
.LBB105_9:
	s_or_b64 exec, exec, s[6:7]
	s_cbranch_execz .LBB105_11
	s_branch .LBB105_16
.LBB105_10:
                                        ; implicit-def: $vgpr13
                                        ; implicit-def: $vgpr21
                                        ; implicit-def: $vgpr20
                                        ; implicit-def: $vgpr12
                                        ; implicit-def: $vgpr23
                                        ; implicit-def: $vgpr14
                                        ; implicit-def: $vgpr22
                                        ; implicit-def: $vgpr16
.LBB105_11:
	v_mov_b32_e32 v13, 0
	v_mov_b32_e32 v21, 0
	;; [unrolled: 1-line block ×8, first 2 shown]
	s_and_saveexec_b64 s[6:7], s[0:1]
	s_cbranch_execz .LBB105_15
; %bb.12:
	v_mov_b32_e32 v9, 0
	v_lshlrev_b32_e32 v8, 5, v6
	s_mov_b64 s[0:1], 0
	v_mov_b32_e32 v10, s11
	v_mov_b32_e32 v11, s13
	;; [unrolled: 1-line block ×11, first 2 shown]
.LBB105_13:                             ; =>This Inner Loop Header: Depth=1
	v_lshlrev_b64 v[18:19], 3, v[8:9]
	v_ashrrev_i32_e32 v7, 31, v6
	v_lshlrev_b64 v[24:25], 2, v[6:7]
	v_add_co_u32_e32 v52, vcc, s12, v18
	v_addc_co_u32_e32 v53, vcc, v11, v19, vcc
	v_add_co_u32_e32 v18, vcc, s10, v24
	v_addc_co_u32_e32 v19, vcc, v10, v25, vcc
	global_load_dwordx4 v[24:27], v[52:53], off
	global_load_dwordx4 v[28:31], v[52:53], off offset:16
	global_load_dword v7, v[18:19], off
	v_mov_b32_e32 v33, v9
	v_add_u32_e32 v6, 8, v6
	v_add_u32_e32 v8, 0x100, v8
	s_waitcnt vmcnt(0)
	v_subrev_u32_e32 v7, s2, v7
	v_lshlrev_b32_e32 v32, 3, v7
	v_lshlrev_b64 v[18:19], 3, v[32:33]
	v_add_co_u32_e32 v54, vcc, s14, v18
	v_addc_co_u32_e32 v55, vcc, v17, v19, vcc
	global_load_dwordx4 v[32:35], v[54:55], off
	global_load_dwordx4 v[36:39], v[54:55], off offset:16
	v_cmp_ge_i32_e32 vcc, v6, v15
	s_or_b64 s[0:1], vcc, s[0:1]
	s_waitcnt vmcnt(1)
	v_fmac_f32_e32 v21, v24, v32
	v_fmac_f32_e32 v13, v25, v32
	v_fma_f32 v7, -v25, v33, v21
	v_fmac_f32_e32 v13, v24, v33
	v_fmac_f32_e32 v7, v26, v34
	;; [unrolled: 1-line block ×3, first 2 shown]
	v_fma_f32 v7, -v27, v35, v7
	v_fmac_f32_e32 v13, v26, v35
	global_load_dwordx4 v[24:27], v[52:53], off offset:64
	global_load_dwordx4 v[40:43], v[52:53], off offset:80
	s_waitcnt vmcnt(2)
	v_fmac_f32_e32 v7, v28, v36
	v_fmac_f32_e32 v13, v29, v36
	v_fma_f32 v7, -v29, v37, v7
	v_fmac_f32_e32 v13, v28, v37
	v_fmac_f32_e32 v7, v30, v38
	;; [unrolled: 1-line block ×3, first 2 shown]
	v_fma_f32 v7, -v31, v39, v7
	v_fmac_f32_e32 v13, v30, v39
	s_waitcnt vmcnt(1)
	v_fmac_f32_e32 v22, v24, v32
	v_fmac_f32_e32 v16, v25, v32
	v_fma_f32 v18, -v25, v33, v22
	v_fmac_f32_e32 v16, v24, v33
	v_fmac_f32_e32 v18, v26, v34
	;; [unrolled: 1-line block ×3, first 2 shown]
	v_fma_f32 v18, -v27, v35, v18
	v_fmac_f32_e32 v16, v26, v35
	global_load_dwordx4 v[24:27], v[52:53], off offset:128
	global_load_dwordx4 v[44:47], v[52:53], off offset:144
	s_waitcnt vmcnt(2)
	v_fmac_f32_e32 v18, v40, v36
	v_fma_f32 v18, -v41, v37, v18
	v_fmac_f32_e32 v16, v41, v36
	v_fmac_f32_e32 v18, v42, v38
	;; [unrolled: 1-line block ×3, first 2 shown]
	v_fma_f32 v40, -v43, v39, v18
	v_fmac_f32_e32 v16, v43, v38
	v_fmac_f32_e32 v16, v42, v39
	s_waitcnt vmcnt(1)
	v_fmac_f32_e32 v23, v24, v32
	v_fmac_f32_e32 v14, v25, v32
	v_fma_f32 v19, -v25, v33, v23
	v_fmac_f32_e32 v14, v24, v33
	global_load_dwordx4 v[21:24], v[52:53], off offset:192
	global_load_dwordx4 v[48:51], v[52:53], off offset:208
	v_fmac_f32_e32 v19, v26, v34
	v_fmac_f32_e32 v14, v27, v34
	v_fma_f32 v19, -v27, v35, v19
	v_fmac_f32_e32 v14, v26, v35
	s_waitcnt vmcnt(2)
	v_fmac_f32_e32 v19, v44, v36
	v_fmac_f32_e32 v14, v45, v36
	v_fma_f32 v18, -v45, v37, v19
	v_fmac_f32_e32 v14, v44, v37
	v_fmac_f32_e32 v18, v46, v38
	;; [unrolled: 1-line block ×3, first 2 shown]
	v_fma_f32 v42, -v47, v39, v18
	v_fmac_f32_e32 v14, v46, v39
	s_waitcnt vmcnt(1)
	v_fmac_f32_e32 v20, v21, v32
	v_fma_f32 v20, -v22, v33, v20
	v_fmac_f32_e32 v20, v23, v34
	v_fmac_f32_e32 v12, v22, v32
	v_fma_f32 v22, -v24, v35, v20
	s_waitcnt vmcnt(0)
	v_fmac_f32_e32 v22, v48, v36
	v_fmac_f32_e32 v12, v21, v33
	v_fma_f32 v22, -v49, v37, v22
	v_fmac_f32_e32 v12, v24, v34
	global_load_dwordx4 v[18:21], v[52:53], off offset:32
	v_fmac_f32_e32 v22, v50, v38
	v_fmac_f32_e32 v12, v23, v35
	v_fma_f32 v46, -v51, v39, v22
	global_load_dwordx4 v[22:25], v[52:53], off offset:48
	global_load_dwordx4 v[26:29], v[54:55], off offset:32
	;; [unrolled: 1-line block ×3, first 2 shown]
	v_fmac_f32_e32 v12, v49, v36
	v_fmac_f32_e32 v12, v48, v37
	;; [unrolled: 1-line block ×4, first 2 shown]
	s_waitcnt vmcnt(1)
	v_fmac_f32_e32 v7, v18, v26
	v_fmac_f32_e32 v13, v19, v26
	v_fma_f32 v7, -v19, v27, v7
	v_fmac_f32_e32 v13, v18, v27
	v_fmac_f32_e32 v7, v20, v28
	;; [unrolled: 1-line block ×3, first 2 shown]
	v_fma_f32 v7, -v21, v29, v7
	v_fmac_f32_e32 v13, v20, v29
	global_load_dwordx4 v[18:21], v[52:53], off offset:96
	global_load_dwordx4 v[34:37], v[52:53], off offset:112
	s_waitcnt vmcnt(2)
	v_fmac_f32_e32 v7, v22, v30
	v_fma_f32 v7, -v23, v31, v7
	v_fmac_f32_e32 v13, v23, v30
	v_fmac_f32_e32 v7, v24, v32
	v_fmac_f32_e32 v13, v22, v31
	v_fmac_f32_e32 v13, v25, v32
	v_fmac_f32_e32 v13, v24, v33
	s_waitcnt vmcnt(1)
	v_fmac_f32_e32 v40, v18, v26
	v_fmac_f32_e32 v16, v19, v26
	v_fma_f32 v19, -v19, v27, v40
	v_fmac_f32_e32 v16, v18, v27
	v_fmac_f32_e32 v19, v20, v28
	;; [unrolled: 1-line block ×3, first 2 shown]
	v_fma_f32 v47, -v21, v29, v19
	v_fmac_f32_e32 v16, v20, v29
	global_load_dwordx4 v[18:21], v[52:53], off offset:160
	global_load_dwordx4 v[38:41], v[52:53], off offset:176
	s_waitcnt vmcnt(2)
	v_fmac_f32_e32 v47, v34, v30
	v_fmac_f32_e32 v16, v35, v30
	v_fmac_f32_e32 v16, v34, v31
	v_fmac_f32_e32 v16, v37, v32
	v_fmac_f32_e32 v16, v36, v33
	s_waitcnt vmcnt(1)
	v_fmac_f32_e32 v42, v18, v26
	v_fmac_f32_e32 v14, v19, v26
	v_fma_f32 v19, -v19, v27, v42
	v_fmac_f32_e32 v14, v18, v27
	v_fmac_f32_e32 v19, v20, v28
	;; [unrolled: 1-line block ×3, first 2 shown]
	v_fma_f32 v48, -v21, v29, v19
	v_fmac_f32_e32 v14, v20, v29
	global_load_dwordx4 v[18:21], v[52:53], off offset:224
	global_load_dwordx4 v[42:45], v[52:53], off offset:240
	s_waitcnt vmcnt(2)
	v_fmac_f32_e32 v48, v38, v30
	v_fmac_f32_e32 v14, v39, v30
	v_fmac_f32_e32 v14, v38, v31
	v_fmac_f32_e32 v14, v41, v32
	v_fmac_f32_e32 v14, v40, v33
	s_waitcnt vmcnt(1)
	v_fmac_f32_e32 v46, v18, v26
	v_fmac_f32_e32 v12, v19, v26
	v_fma_f32 v19, -v19, v27, v46
	v_fmac_f32_e32 v12, v18, v27
	v_fmac_f32_e32 v19, v20, v28
	;; [unrolled: 1-line block ×3, first 2 shown]
	v_fma_f32 v18, -v21, v29, v19
	v_fmac_f32_e32 v12, v20, v29
	s_waitcnt vmcnt(0)
	v_fmac_f32_e32 v18, v42, v30
	v_fmac_f32_e32 v12, v43, v30
	v_fma_f32 v21, -v25, v33, v7
	v_fma_f32 v7, -v35, v31, v47
	;; [unrolled: 1-line block ×4, first 2 shown]
	v_fmac_f32_e32 v12, v42, v31
	v_fmac_f32_e32 v7, v36, v32
	;; [unrolled: 1-line block ×5, first 2 shown]
	v_fma_f32 v22, -v37, v33, v7
	v_fma_f32 v23, -v41, v33, v19
	v_fma_f32 v20, -v45, v33, v18
	v_fmac_f32_e32 v12, v44, v33
	s_andn2_b64 exec, exec, s[0:1]
	s_cbranch_execnz .LBB105_13
; %bb.14:
	s_or_b64 exec, exec, s[0:1]
.LBB105_15:
	s_or_b64 exec, exec, s[6:7]
.LBB105_16:
	v_mov_b32_dpp v10, v22 row_shr:1 row_mask:0xf bank_mask:0xf
	v_add_f32_e32 v10, v22, v10
	v_mov_b32_dpp v6, v21 row_shr:1 row_mask:0xf bank_mask:0xf
	v_mov_b32_dpp v8, v13 row_shr:1 row_mask:0xf bank_mask:0xf
	;; [unrolled: 1-line block ×3, first 2 shown]
	v_add_f32_e32 v11, v10, v11
	v_mov_b32_dpp v10, v16 row_shr:1 row_mask:0xf bank_mask:0xf
	v_add_f32_e32 v10, v16, v10
	v_add_f32_e32 v6, v21, v6
	;; [unrolled: 1-line block ×3, first 2 shown]
	v_mov_b32_dpp v15, v10 row_shr:2 row_mask:0xf bank_mask:0xf
	v_add_f32_e32 v15, v10, v15
	v_mov_b32_dpp v10, v23 row_shr:1 row_mask:0xf bank_mask:0xf
	v_add_f32_e32 v10, v23, v10
	v_mov_b32_dpp v7, v6 row_shr:2 row_mask:0xf bank_mask:0xf
	v_mov_b32_dpp v9, v8 row_shr:2 row_mask:0xf bank_mask:0xf
	;; [unrolled: 1-line block ×3, first 2 shown]
	v_add_f32_e32 v17, v10, v17
	v_mov_b32_dpp v10, v14 row_shr:1 row_mask:0xf bank_mask:0xf
	v_add_f32_e32 v10, v14, v10
	v_add_f32_e32 v6, v6, v7
	v_add_f32_e32 v8, v8, v9
	v_mov_b32_dpp v14, v10 row_shr:2 row_mask:0xf bank_mask:0xf
	v_add_f32_e32 v14, v10, v14
	v_mov_b32_dpp v10, v20 row_shr:1 row_mask:0xf bank_mask:0xf
	v_add_f32_e32 v10, v20, v10
	v_mov_b32_dpp v7, v6 row_shr:4 row_mask:0xf bank_mask:0xe
	v_mov_b32_dpp v9, v8 row_shr:4 row_mask:0xf bank_mask:0xe
	;; [unrolled: 1-line block ×3, first 2 shown]
	v_add_f32_e32 v20, v10, v20
	v_mov_b32_dpp v10, v12 row_shr:1 row_mask:0xf bank_mask:0xf
	v_add_f32_e32 v10, v12, v10
	v_mov_b32_dpp v13, v11 row_shr:4 row_mask:0xf bank_mask:0xe
	v_mov_b32_dpp v16, v15 row_shr:4 row_mask:0xf bank_mask:0xe
	;; [unrolled: 1-line block ×3, first 2 shown]
	v_add_f32_e32 v22, v10, v12
	v_mov_b32_dpp v18, v17 row_shr:4 row_mask:0xf bank_mask:0xe
	v_mov_b32_dpp v19, v14 row_shr:4 row_mask:0xf bank_mask:0xe
	;; [unrolled: 1-line block ×4, first 2 shown]
	v_cmp_eq_u32_e32 vcc, 7, v0
	s_and_b64 exec, exec, vcc
	s_cbranch_execz .LBB105_21
; %bb.17:
	s_load_dwordx2 s[2:3], s[4:5], 0x38
	v_cmp_eq_f32_e32 vcc, 0, v3
	v_cmp_eq_f32_e64 s[0:1], 0, v4
	v_add_f32_e32 v10, v6, v7
	v_add_f32_e32 v12, v8, v9
	;; [unrolled: 1-line block ×8, first 2 shown]
	s_and_b64 s[0:1], vcc, s[0:1]
	s_and_saveexec_b64 s[4:5], s[0:1]
	s_xor_b64 s[0:1], exec, s[4:5]
	s_cbranch_execz .LBB105_19
; %bb.18:
	v_lshlrev_b32_e32 v3, 2, v5
	v_ashrrev_i32_e32 v4, 31, v3
	v_lshlrev_b64 v[3:4], 3, v[3:4]
	s_waitcnt lgkmcnt(0)
	v_mov_b32_e32 v5, s3
	v_add_co_u32_e32 v17, vcc, s2, v3
	v_addc_co_u32_e32 v18, vcc, v5, v4, vcc
	v_mul_f32_e64 v3, v9, -v2
	v_mul_f32_e32 v4, v1, v9
	v_mul_f32_e64 v13, v12, -v2
	v_mul_f32_e32 v14, v1, v12
	;; [unrolled: 2-line block ×3, first 2 shown]
	v_fmac_f32_e32 v3, v1, v6
	v_fmac_f32_e32 v4, v2, v6
	v_mul_f32_e64 v5, v7, -v2
	v_mul_f32_e32 v6, v1, v7
	v_fmac_f32_e32 v13, v1, v10
	v_fmac_f32_e32 v14, v2, v10
	;; [unrolled: 1-line block ×6, first 2 shown]
	global_store_dwordx4 v[17:18], v[13:16], off
	global_store_dwordx4 v[17:18], v[3:6], off offset:16
                                        ; implicit-def: $vgpr5
                                        ; implicit-def: $vgpr10
                                        ; implicit-def: $vgpr12
                                        ; implicit-def: $vgpr8
                                        ; implicit-def: $vgpr11
                                        ; implicit-def: $vgpr6
                                        ; implicit-def: $vgpr9
                                        ; implicit-def: $vgpr0
                                        ; implicit-def: $vgpr7
                                        ; implicit-def: $vgpr1_vgpr2
                                        ; implicit-def: $vgpr3_vgpr4
.LBB105_19:
	s_andn2_saveexec_b64 s[0:1], s[0:1]
	s_cbranch_execz .LBB105_21
; %bb.20:
	v_lshlrev_b32_e32 v13, 2, v5
	v_ashrrev_i32_e32 v14, 31, v13
	v_lshlrev_b64 v[13:14], 3, v[13:14]
	s_waitcnt lgkmcnt(0)
	v_mov_b32_e32 v5, s3
	v_add_co_u32_e32 v25, vcc, s2, v13
	v_addc_co_u32_e32 v26, vcc, v5, v14, vcc
	global_load_dwordx4 v[13:16], v[25:26], off
	global_load_dwordx4 v[17:20], v[25:26], off offset:16
	v_mul_f32_e64 v5, v12, -v2
	v_mul_f32_e32 v22, v1, v12
	v_mul_f32_e64 v12, v11, -v2
	v_mul_f32_e32 v24, v1, v11
	;; [unrolled: 2-line block ×4, first 2 shown]
	v_fmac_f32_e32 v5, v1, v10
	v_fmac_f32_e32 v22, v2, v10
	;; [unrolled: 1-line block ×8, first 2 shown]
	s_waitcnt vmcnt(1)
	v_fmac_f32_e32 v5, v3, v13
	v_fmac_f32_e32 v22, v4, v13
	v_fmac_f32_e32 v12, v3, v15
	v_fmac_f32_e32 v24, v4, v15
	s_waitcnt vmcnt(0)
	v_fmac_f32_e32 v27, v3, v17
	v_fmac_f32_e32 v9, v4, v17
	;; [unrolled: 1-line block ×4, first 2 shown]
	v_fma_f32 v21, -v4, v14, v5
	v_fmac_f32_e32 v22, v3, v14
	v_fma_f32 v23, -v4, v16, v12
	v_fmac_f32_e32 v24, v3, v16
	v_fma_f32 v8, -v4, v18, v27
	v_fmac_f32_e32 v9, v3, v18
	v_fma_f32 v10, -v4, v20, v28
	v_fmac_f32_e32 v11, v3, v20
	global_store_dwordx4 v[25:26], v[21:24], off
	global_store_dwordx4 v[25:26], v[8:11], off offset:16
.LBB105_21:
	s_endpgm
	.section	.rodata,"a",@progbits
	.p2align	6, 0x0
	.amdhsa_kernel _ZN9rocsparseL19gebsrmvn_4xn_kernelILj128ELj8ELj8E21rocsparse_complex_numIfEEEvi20rocsparse_direction_NS_24const_host_device_scalarIT2_EEPKiS8_PKS5_SA_S6_PS5_21rocsparse_index_base_b
		.amdhsa_group_segment_fixed_size 0
		.amdhsa_private_segment_fixed_size 0
		.amdhsa_kernarg_size 72
		.amdhsa_user_sgpr_count 6
		.amdhsa_user_sgpr_private_segment_buffer 1
		.amdhsa_user_sgpr_dispatch_ptr 0
		.amdhsa_user_sgpr_queue_ptr 0
		.amdhsa_user_sgpr_kernarg_segment_ptr 1
		.amdhsa_user_sgpr_dispatch_id 0
		.amdhsa_user_sgpr_flat_scratch_init 0
		.amdhsa_user_sgpr_private_segment_size 0
		.amdhsa_uses_dynamic_stack 0
		.amdhsa_system_sgpr_private_segment_wavefront_offset 0
		.amdhsa_system_sgpr_workgroup_id_x 1
		.amdhsa_system_sgpr_workgroup_id_y 0
		.amdhsa_system_sgpr_workgroup_id_z 0
		.amdhsa_system_sgpr_workgroup_info 0
		.amdhsa_system_vgpr_workitem_id 0
		.amdhsa_next_free_vgpr 56
		.amdhsa_next_free_sgpr 16
		.amdhsa_reserve_vcc 1
		.amdhsa_reserve_flat_scratch 0
		.amdhsa_float_round_mode_32 0
		.amdhsa_float_round_mode_16_64 0
		.amdhsa_float_denorm_mode_32 3
		.amdhsa_float_denorm_mode_16_64 3
		.amdhsa_dx10_clamp 1
		.amdhsa_ieee_mode 1
		.amdhsa_fp16_overflow 0
		.amdhsa_exception_fp_ieee_invalid_op 0
		.amdhsa_exception_fp_denorm_src 0
		.amdhsa_exception_fp_ieee_div_zero 0
		.amdhsa_exception_fp_ieee_overflow 0
		.amdhsa_exception_fp_ieee_underflow 0
		.amdhsa_exception_fp_ieee_inexact 0
		.amdhsa_exception_int_div_zero 0
	.end_amdhsa_kernel
	.section	.text._ZN9rocsparseL19gebsrmvn_4xn_kernelILj128ELj8ELj8E21rocsparse_complex_numIfEEEvi20rocsparse_direction_NS_24const_host_device_scalarIT2_EEPKiS8_PKS5_SA_S6_PS5_21rocsparse_index_base_b,"axG",@progbits,_ZN9rocsparseL19gebsrmvn_4xn_kernelILj128ELj8ELj8E21rocsparse_complex_numIfEEEvi20rocsparse_direction_NS_24const_host_device_scalarIT2_EEPKiS8_PKS5_SA_S6_PS5_21rocsparse_index_base_b,comdat
.Lfunc_end105:
	.size	_ZN9rocsparseL19gebsrmvn_4xn_kernelILj128ELj8ELj8E21rocsparse_complex_numIfEEEvi20rocsparse_direction_NS_24const_host_device_scalarIT2_EEPKiS8_PKS5_SA_S6_PS5_21rocsparse_index_base_b, .Lfunc_end105-_ZN9rocsparseL19gebsrmvn_4xn_kernelILj128ELj8ELj8E21rocsparse_complex_numIfEEEvi20rocsparse_direction_NS_24const_host_device_scalarIT2_EEPKiS8_PKS5_SA_S6_PS5_21rocsparse_index_base_b
                                        ; -- End function
	.set _ZN9rocsparseL19gebsrmvn_4xn_kernelILj128ELj8ELj8E21rocsparse_complex_numIfEEEvi20rocsparse_direction_NS_24const_host_device_scalarIT2_EEPKiS8_PKS5_SA_S6_PS5_21rocsparse_index_base_b.num_vgpr, 56
	.set _ZN9rocsparseL19gebsrmvn_4xn_kernelILj128ELj8ELj8E21rocsparse_complex_numIfEEEvi20rocsparse_direction_NS_24const_host_device_scalarIT2_EEPKiS8_PKS5_SA_S6_PS5_21rocsparse_index_base_b.num_agpr, 0
	.set _ZN9rocsparseL19gebsrmvn_4xn_kernelILj128ELj8ELj8E21rocsparse_complex_numIfEEEvi20rocsparse_direction_NS_24const_host_device_scalarIT2_EEPKiS8_PKS5_SA_S6_PS5_21rocsparse_index_base_b.numbered_sgpr, 16
	.set _ZN9rocsparseL19gebsrmvn_4xn_kernelILj128ELj8ELj8E21rocsparse_complex_numIfEEEvi20rocsparse_direction_NS_24const_host_device_scalarIT2_EEPKiS8_PKS5_SA_S6_PS5_21rocsparse_index_base_b.num_named_barrier, 0
	.set _ZN9rocsparseL19gebsrmvn_4xn_kernelILj128ELj8ELj8E21rocsparse_complex_numIfEEEvi20rocsparse_direction_NS_24const_host_device_scalarIT2_EEPKiS8_PKS5_SA_S6_PS5_21rocsparse_index_base_b.private_seg_size, 0
	.set _ZN9rocsparseL19gebsrmvn_4xn_kernelILj128ELj8ELj8E21rocsparse_complex_numIfEEEvi20rocsparse_direction_NS_24const_host_device_scalarIT2_EEPKiS8_PKS5_SA_S6_PS5_21rocsparse_index_base_b.uses_vcc, 1
	.set _ZN9rocsparseL19gebsrmvn_4xn_kernelILj128ELj8ELj8E21rocsparse_complex_numIfEEEvi20rocsparse_direction_NS_24const_host_device_scalarIT2_EEPKiS8_PKS5_SA_S6_PS5_21rocsparse_index_base_b.uses_flat_scratch, 0
	.set _ZN9rocsparseL19gebsrmvn_4xn_kernelILj128ELj8ELj8E21rocsparse_complex_numIfEEEvi20rocsparse_direction_NS_24const_host_device_scalarIT2_EEPKiS8_PKS5_SA_S6_PS5_21rocsparse_index_base_b.has_dyn_sized_stack, 0
	.set _ZN9rocsparseL19gebsrmvn_4xn_kernelILj128ELj8ELj8E21rocsparse_complex_numIfEEEvi20rocsparse_direction_NS_24const_host_device_scalarIT2_EEPKiS8_PKS5_SA_S6_PS5_21rocsparse_index_base_b.has_recursion, 0
	.set _ZN9rocsparseL19gebsrmvn_4xn_kernelILj128ELj8ELj8E21rocsparse_complex_numIfEEEvi20rocsparse_direction_NS_24const_host_device_scalarIT2_EEPKiS8_PKS5_SA_S6_PS5_21rocsparse_index_base_b.has_indirect_call, 0
	.section	.AMDGPU.csdata,"",@progbits
; Kernel info:
; codeLenInByte = 3136
; TotalNumSgprs: 20
; NumVgprs: 56
; ScratchSize: 0
; MemoryBound: 0
; FloatMode: 240
; IeeeMode: 1
; LDSByteSize: 0 bytes/workgroup (compile time only)
; SGPRBlocks: 2
; VGPRBlocks: 13
; NumSGPRsForWavesPerEU: 20
; NumVGPRsForWavesPerEU: 56
; Occupancy: 4
; WaveLimiterHint : 1
; COMPUTE_PGM_RSRC2:SCRATCH_EN: 0
; COMPUTE_PGM_RSRC2:USER_SGPR: 6
; COMPUTE_PGM_RSRC2:TRAP_HANDLER: 0
; COMPUTE_PGM_RSRC2:TGID_X_EN: 1
; COMPUTE_PGM_RSRC2:TGID_Y_EN: 0
; COMPUTE_PGM_RSRC2:TGID_Z_EN: 0
; COMPUTE_PGM_RSRC2:TIDIG_COMP_CNT: 0
	.section	.text._ZN9rocsparseL19gebsrmvn_4xn_kernelILj128ELj8ELj16E21rocsparse_complex_numIfEEEvi20rocsparse_direction_NS_24const_host_device_scalarIT2_EEPKiS8_PKS5_SA_S6_PS5_21rocsparse_index_base_b,"axG",@progbits,_ZN9rocsparseL19gebsrmvn_4xn_kernelILj128ELj8ELj16E21rocsparse_complex_numIfEEEvi20rocsparse_direction_NS_24const_host_device_scalarIT2_EEPKiS8_PKS5_SA_S6_PS5_21rocsparse_index_base_b,comdat
	.globl	_ZN9rocsparseL19gebsrmvn_4xn_kernelILj128ELj8ELj16E21rocsparse_complex_numIfEEEvi20rocsparse_direction_NS_24const_host_device_scalarIT2_EEPKiS8_PKS5_SA_S6_PS5_21rocsparse_index_base_b ; -- Begin function _ZN9rocsparseL19gebsrmvn_4xn_kernelILj128ELj8ELj16E21rocsparse_complex_numIfEEEvi20rocsparse_direction_NS_24const_host_device_scalarIT2_EEPKiS8_PKS5_SA_S6_PS5_21rocsparse_index_base_b
	.p2align	8
	.type	_ZN9rocsparseL19gebsrmvn_4xn_kernelILj128ELj8ELj16E21rocsparse_complex_numIfEEEvi20rocsparse_direction_NS_24const_host_device_scalarIT2_EEPKiS8_PKS5_SA_S6_PS5_21rocsparse_index_base_b,@function
_ZN9rocsparseL19gebsrmvn_4xn_kernelILj128ELj8ELj16E21rocsparse_complex_numIfEEEvi20rocsparse_direction_NS_24const_host_device_scalarIT2_EEPKiS8_PKS5_SA_S6_PS5_21rocsparse_index_base_b: ; @_ZN9rocsparseL19gebsrmvn_4xn_kernelILj128ELj8ELj16E21rocsparse_complex_numIfEEEvi20rocsparse_direction_NS_24const_host_device_scalarIT2_EEPKiS8_PKS5_SA_S6_PS5_21rocsparse_index_base_b
; %bb.0:
	s_load_dwordx2 s[0:1], s[4:5], 0x8
	s_load_dwordx2 s[8:9], s[4:5], 0x30
	s_load_dwordx2 s[2:3], s[4:5], 0x40
	s_add_u32 s7, s4, 8
	s_addc_u32 s10, s5, 0
	s_add_u32 s11, s4, 48
	s_addc_u32 s12, s5, 0
	s_waitcnt lgkmcnt(0)
	s_bitcmp1_b32 s3, 0
	s_cselect_b32 s1, s10, s1
	s_cselect_b32 s0, s7, s0
	v_mov_b32_e32 v1, s0
	v_mov_b32_e32 v2, s1
	flat_load_dwordx2 v[1:2], v[1:2]
	s_cselect_b32 s0, s12, s9
	s_cselect_b32 s1, s11, s8
	v_mov_b32_e32 v3, s1
	v_mov_b32_e32 v4, s0
	flat_load_dwordx2 v[3:4], v[3:4]
	s_waitcnt vmcnt(0) lgkmcnt(0)
	v_cmp_eq_f32_e32 vcc, 0, v1
	v_cmp_eq_f32_e64 s[0:1], 0, v2
	s_and_b64 s[10:11], vcc, s[0:1]
	s_mov_b64 s[0:1], -1
	s_and_saveexec_b64 s[8:9], s[10:11]
; %bb.1:
	v_cmp_neq_f32_e32 vcc, 1.0, v3
	v_cmp_neq_f32_e64 s[0:1], 0, v4
	s_or_b64 s[0:1], vcc, s[0:1]
	s_orn2_b64 s[0:1], s[0:1], exec
; %bb.2:
	s_or_b64 exec, exec, s[8:9]
	s_and_saveexec_b64 s[8:9], s[0:1]
	s_cbranch_execz .LBB106_21
; %bb.3:
	s_load_dwordx2 s[0:1], s[4:5], 0x0
	v_lshrrev_b32_e32 v5, 4, v0
	v_lshl_or_b32 v5, s6, 3, v5
	s_waitcnt lgkmcnt(0)
	v_cmp_gt_i32_e32 vcc, s0, v5
	s_and_b64 exec, exec, vcc
	s_cbranch_execz .LBB106_21
; %bb.4:
	s_load_dwordx8 s[8:15], s[4:5], 0x10
	v_ashrrev_i32_e32 v6, 31, v5
	v_lshlrev_b64 v[6:7], 2, v[5:6]
	v_and_b32_e32 v0, 15, v0
	s_cmp_lg_u32 s1, 0
	s_waitcnt lgkmcnt(0)
	v_mov_b32_e32 v8, s9
	v_add_co_u32_e32 v6, vcc, s8, v6
	v_addc_co_u32_e32 v7, vcc, v8, v7, vcc
	global_load_dwordx2 v[6:7], v[6:7], off
	s_waitcnt vmcnt(0)
	v_subrev_u32_e32 v6, s2, v6
	v_subrev_u32_e32 v15, s2, v7
	v_add_u32_e32 v6, v6, v0
	v_cmp_lt_i32_e64 s[0:1], v6, v15
	s_cbranch_scc0 .LBB106_10
; %bb.5:
	v_mov_b32_e32 v14, 0
	v_mov_b32_e32 v21, 0
	;; [unrolled: 1-line block ×8, first 2 shown]
	s_and_saveexec_b64 s[6:7], s[0:1]
	s_cbranch_execz .LBB106_9
; %bb.6:
	v_mov_b32_e32 v8, 0
	v_lshlrev_b32_e32 v7, 5, v6
	s_mov_b64 s[8:9], 0
	v_mov_b32_e32 v17, s11
	v_mov_b32_e32 v18, s13
	;; [unrolled: 1-line block ×12, first 2 shown]
.LBB106_7:                              ; =>This Inner Loop Header: Depth=1
	v_lshlrev_b64 v[24:25], 3, v[7:8]
	v_ashrrev_i32_e32 v10, 31, v9
	v_lshlrev_b64 v[27:28], 2, v[9:10]
	v_add_co_u32_e32 v10, vcc, s12, v24
	v_addc_co_u32_e32 v11, vcc, v18, v25, vcc
	v_add_co_u32_e32 v24, vcc, s10, v27
	v_addc_co_u32_e32 v25, vcc, v17, v28, vcc
	global_load_dword v24, v[24:25], off
	v_mov_b32_e32 v26, v8
	v_add_u32_e32 v9, 16, v9
	v_add_u32_e32 v7, 0x200, v7
	s_waitcnt vmcnt(0)
	v_subrev_u32_e32 v24, s2, v24
	v_lshlrev_b32_e32 v25, 3, v24
	v_lshlrev_b64 v[24:25], 3, v[25:26]
	v_add_co_u32_e32 v32, vcc, s14, v24
	v_addc_co_u32_e32 v33, vcc, v19, v25, vcc
	global_load_dwordx4 v[24:27], v[10:11], off
	global_load_dwordx4 v[28:31], v[32:33], off
	v_cmp_ge_i32_e32 vcc, v9, v15
	s_or_b64 s[8:9], vcc, s[8:9]
	s_waitcnt vmcnt(0)
	v_fmac_f32_e32 v21, v24, v28
	v_fmac_f32_e32 v14, v25, v28
	;; [unrolled: 1-line block ×4, first 2 shown]
	v_fma_f32 v34, -v25, v29, v21
	v_fmac_f32_e32 v14, v24, v29
	v_fma_f32 v35, -v27, v29, v22
	v_fmac_f32_e32 v16, v26, v29
	global_load_dwordx4 v[24:27], v[10:11], off offset:16
	s_waitcnt vmcnt(0)
	v_fmac_f32_e32 v23, v24, v28
	v_fmac_f32_e32 v13, v25, v28
	;; [unrolled: 1-line block ×3, first 2 shown]
	v_fma_f32 v25, -v25, v29, v23
	v_fmac_f32_e32 v13, v24, v29
	v_fma_f32 v24, -v27, v29, v20
	global_load_dwordx4 v[20:23], v[10:11], off offset:32
	v_fmac_f32_e32 v12, v27, v28
	v_fmac_f32_e32 v12, v26, v29
	s_waitcnt vmcnt(0)
	v_fmac_f32_e32 v34, v20, v30
	v_fmac_f32_e32 v14, v21, v30
	v_fmac_f32_e32 v35, v22, v30
	v_fmac_f32_e32 v16, v23, v30
	v_fma_f32 v28, -v21, v31, v34
	v_fmac_f32_e32 v14, v20, v31
	v_fma_f32 v29, -v23, v31, v35
	v_fmac_f32_e32 v16, v22, v31
	global_load_dwordx4 v[20:23], v[10:11], off offset:48
	s_waitcnt vmcnt(0)
	v_fmac_f32_e32 v25, v20, v30
	v_fmac_f32_e32 v13, v21, v30
	v_fmac_f32_e32 v24, v22, v30
	v_fmac_f32_e32 v12, v23, v30
	v_fma_f32 v30, -v21, v31, v25
	v_fmac_f32_e32 v13, v20, v31
	v_fma_f32 v34, -v23, v31, v24
	v_fmac_f32_e32 v12, v22, v31
	global_load_dwordx4 v[20:23], v[10:11], off offset:64
	global_load_dwordx4 v[24:27], v[32:33], off offset:16
	s_waitcnt vmcnt(0)
	v_fmac_f32_e32 v28, v20, v24
	v_fmac_f32_e32 v14, v21, v24
	v_fmac_f32_e32 v29, v22, v24
	v_fmac_f32_e32 v16, v23, v24
	v_fma_f32 v28, -v21, v25, v28
	v_fmac_f32_e32 v14, v20, v25
	v_fma_f32 v29, -v23, v25, v29
	v_fmac_f32_e32 v16, v22, v25
	global_load_dwordx4 v[20:23], v[10:11], off offset:80
	s_waitcnt vmcnt(0)
	v_fmac_f32_e32 v30, v20, v24
	v_fmac_f32_e32 v13, v21, v24
	v_fmac_f32_e32 v34, v22, v24
	v_fmac_f32_e32 v12, v23, v24
	v_fma_f32 v24, -v21, v25, v30
	v_fmac_f32_e32 v13, v20, v25
	v_fma_f32 v30, -v23, v25, v34
	v_fmac_f32_e32 v12, v22, v25
	global_load_dwordx4 v[20:23], v[10:11], off offset:96
	s_waitcnt vmcnt(0)
	v_fmac_f32_e32 v28, v20, v26
	v_fmac_f32_e32 v14, v21, v26
	v_fmac_f32_e32 v29, v22, v26
	v_fmac_f32_e32 v16, v23, v26
	v_fma_f32 v28, -v21, v27, v28
	v_fmac_f32_e32 v14, v20, v27
	v_fma_f32 v29, -v23, v27, v29
	v_fmac_f32_e32 v16, v22, v27
	global_load_dwordx4 v[20:23], v[10:11], off offset:112
	s_waitcnt vmcnt(0)
	v_fmac_f32_e32 v24, v20, v26
	v_fmac_f32_e32 v13, v21, v26
	v_fmac_f32_e32 v30, v22, v26
	v_fmac_f32_e32 v12, v23, v26
	v_fma_f32 v31, -v21, v27, v24
	v_fmac_f32_e32 v13, v20, v27
	v_fma_f32 v30, -v23, v27, v30
	v_fmac_f32_e32 v12, v22, v27
	global_load_dwordx4 v[20:23], v[10:11], off offset:128
	global_load_dwordx4 v[24:27], v[32:33], off offset:32
	s_waitcnt vmcnt(0)
	v_fmac_f32_e32 v28, v20, v24
	v_fmac_f32_e32 v14, v21, v24
	v_fmac_f32_e32 v29, v22, v24
	v_fmac_f32_e32 v16, v23, v24
	v_fma_f32 v28, -v21, v25, v28
	v_fmac_f32_e32 v14, v20, v25
	v_fma_f32 v29, -v23, v25, v29
	v_fmac_f32_e32 v16, v22, v25
	global_load_dwordx4 v[20:23], v[10:11], off offset:144
	s_waitcnt vmcnt(0)
	v_fmac_f32_e32 v31, v20, v24
	v_fmac_f32_e32 v13, v21, v24
	v_fmac_f32_e32 v30, v22, v24
	v_fmac_f32_e32 v12, v23, v24
	v_fma_f32 v24, -v21, v25, v31
	v_fmac_f32_e32 v13, v20, v25
	v_fma_f32 v30, -v23, v25, v30
	v_fmac_f32_e32 v12, v22, v25
	global_load_dwordx4 v[20:23], v[10:11], off offset:160
	;; [unrolled: 41-line block ×3, first 2 shown]
	s_waitcnt vmcnt(0)
	v_fmac_f32_e32 v28, v22, v26
	v_fmac_f32_e32 v14, v23, v26
	;; [unrolled: 1-line block ×3, first 2 shown]
	v_fma_f32 v21, -v23, v27, v28
	v_fmac_f32_e32 v14, v22, v27
	v_fma_f32 v22, -v25, v27, v29
	global_load_dwordx4 v[28:31], v[10:11], off offset:240
	v_fmac_f32_e32 v16, v25, v26
	v_fmac_f32_e32 v16, v24, v27
	s_waitcnt vmcnt(0)
	v_fmac_f32_e32 v32, v28, v26
	v_fmac_f32_e32 v13, v29, v26
	;; [unrolled: 1-line block ×4, first 2 shown]
	v_fma_f32 v23, -v29, v27, v32
	v_fmac_f32_e32 v13, v28, v27
	v_fma_f32 v20, -v31, v27, v20
	v_fmac_f32_e32 v12, v30, v27
	s_andn2_b64 exec, exec, s[8:9]
	s_cbranch_execnz .LBB106_7
; %bb.8:
	s_or_b64 exec, exec, s[8:9]
.LBB106_9:
	s_or_b64 exec, exec, s[6:7]
	s_cbranch_execz .LBB106_11
	s_branch .LBB106_16
.LBB106_10:
                                        ; implicit-def: $vgpr14
                                        ; implicit-def: $vgpr21
                                        ; implicit-def: $vgpr20
                                        ; implicit-def: $vgpr12
                                        ; implicit-def: $vgpr23
                                        ; implicit-def: $vgpr13
                                        ; implicit-def: $vgpr22
                                        ; implicit-def: $vgpr16
.LBB106_11:
	v_mov_b32_e32 v14, 0
	v_mov_b32_e32 v21, 0
	v_mov_b32_e32 v20, 0
	v_mov_b32_e32 v12, 0
	v_mov_b32_e32 v23, 0
	v_mov_b32_e32 v13, 0
	v_mov_b32_e32 v22, 0
	v_mov_b32_e32 v16, 0
	s_and_saveexec_b64 s[6:7], s[0:1]
	s_cbranch_execz .LBB106_15
; %bb.12:
	v_mov_b32_e32 v9, 0
	v_lshlrev_b32_e32 v8, 5, v6
	s_mov_b64 s[0:1], 0
	v_mov_b32_e32 v10, s11
	v_mov_b32_e32 v11, s13
	;; [unrolled: 1-line block ×11, first 2 shown]
.LBB106_13:                             ; =>This Inner Loop Header: Depth=1
	v_lshlrev_b64 v[18:19], 3, v[8:9]
	v_ashrrev_i32_e32 v7, 31, v6
	v_lshlrev_b64 v[24:25], 2, v[6:7]
	v_add_co_u32_e32 v52, vcc, s12, v18
	v_addc_co_u32_e32 v53, vcc, v11, v19, vcc
	v_add_co_u32_e32 v18, vcc, s10, v24
	v_addc_co_u32_e32 v19, vcc, v10, v25, vcc
	global_load_dwordx4 v[24:27], v[52:53], off
	global_load_dwordx4 v[28:31], v[52:53], off offset:16
	global_load_dword v7, v[18:19], off
	v_mov_b32_e32 v33, v9
	v_add_u32_e32 v6, 16, v6
	v_add_u32_e32 v8, 0x200, v8
	s_waitcnt vmcnt(0)
	v_subrev_u32_e32 v7, s2, v7
	v_lshlrev_b32_e32 v32, 3, v7
	v_lshlrev_b64 v[18:19], 3, v[32:33]
	v_add_co_u32_e32 v54, vcc, s14, v18
	v_addc_co_u32_e32 v55, vcc, v17, v19, vcc
	global_load_dwordx4 v[32:35], v[54:55], off
	global_load_dwordx4 v[36:39], v[54:55], off offset:16
	v_cmp_ge_i32_e32 vcc, v6, v15
	s_or_b64 s[0:1], vcc, s[0:1]
	s_waitcnt vmcnt(1)
	v_fmac_f32_e32 v21, v24, v32
	v_fmac_f32_e32 v14, v25, v32
	v_fma_f32 v7, -v25, v33, v21
	v_fmac_f32_e32 v14, v24, v33
	v_fmac_f32_e32 v7, v26, v34
	;; [unrolled: 1-line block ×3, first 2 shown]
	v_fma_f32 v7, -v27, v35, v7
	v_fmac_f32_e32 v14, v26, v35
	global_load_dwordx4 v[24:27], v[52:53], off offset:64
	global_load_dwordx4 v[40:43], v[52:53], off offset:80
	s_waitcnt vmcnt(2)
	v_fmac_f32_e32 v7, v28, v36
	v_fmac_f32_e32 v14, v29, v36
	v_fma_f32 v7, -v29, v37, v7
	v_fmac_f32_e32 v14, v28, v37
	v_fmac_f32_e32 v7, v30, v38
	;; [unrolled: 1-line block ×3, first 2 shown]
	v_fma_f32 v7, -v31, v39, v7
	v_fmac_f32_e32 v14, v30, v39
	s_waitcnt vmcnt(1)
	v_fmac_f32_e32 v22, v24, v32
	v_fmac_f32_e32 v16, v25, v32
	v_fma_f32 v18, -v25, v33, v22
	v_fmac_f32_e32 v16, v24, v33
	v_fmac_f32_e32 v18, v26, v34
	;; [unrolled: 1-line block ×3, first 2 shown]
	v_fma_f32 v18, -v27, v35, v18
	v_fmac_f32_e32 v16, v26, v35
	global_load_dwordx4 v[24:27], v[52:53], off offset:128
	global_load_dwordx4 v[44:47], v[52:53], off offset:144
	s_waitcnt vmcnt(2)
	v_fmac_f32_e32 v18, v40, v36
	v_fma_f32 v18, -v41, v37, v18
	v_fmac_f32_e32 v16, v41, v36
	v_fmac_f32_e32 v18, v42, v38
	;; [unrolled: 1-line block ×3, first 2 shown]
	v_fma_f32 v40, -v43, v39, v18
	v_fmac_f32_e32 v16, v43, v38
	v_fmac_f32_e32 v16, v42, v39
	s_waitcnt vmcnt(1)
	v_fmac_f32_e32 v23, v24, v32
	v_fmac_f32_e32 v13, v25, v32
	v_fma_f32 v19, -v25, v33, v23
	v_fmac_f32_e32 v13, v24, v33
	global_load_dwordx4 v[21:24], v[52:53], off offset:192
	global_load_dwordx4 v[48:51], v[52:53], off offset:208
	v_fmac_f32_e32 v19, v26, v34
	v_fmac_f32_e32 v13, v27, v34
	v_fma_f32 v19, -v27, v35, v19
	v_fmac_f32_e32 v13, v26, v35
	s_waitcnt vmcnt(2)
	v_fmac_f32_e32 v19, v44, v36
	v_fmac_f32_e32 v13, v45, v36
	v_fma_f32 v18, -v45, v37, v19
	v_fmac_f32_e32 v13, v44, v37
	v_fmac_f32_e32 v18, v46, v38
	;; [unrolled: 1-line block ×3, first 2 shown]
	v_fma_f32 v42, -v47, v39, v18
	v_fmac_f32_e32 v13, v46, v39
	s_waitcnt vmcnt(1)
	v_fmac_f32_e32 v20, v21, v32
	v_fma_f32 v20, -v22, v33, v20
	v_fmac_f32_e32 v20, v23, v34
	v_fmac_f32_e32 v12, v22, v32
	v_fma_f32 v22, -v24, v35, v20
	s_waitcnt vmcnt(0)
	v_fmac_f32_e32 v22, v48, v36
	v_fmac_f32_e32 v12, v21, v33
	v_fma_f32 v22, -v49, v37, v22
	v_fmac_f32_e32 v12, v24, v34
	global_load_dwordx4 v[18:21], v[52:53], off offset:32
	v_fmac_f32_e32 v22, v50, v38
	v_fmac_f32_e32 v12, v23, v35
	v_fma_f32 v46, -v51, v39, v22
	global_load_dwordx4 v[22:25], v[52:53], off offset:48
	global_load_dwordx4 v[26:29], v[54:55], off offset:32
	;; [unrolled: 1-line block ×3, first 2 shown]
	v_fmac_f32_e32 v12, v49, v36
	v_fmac_f32_e32 v12, v48, v37
	;; [unrolled: 1-line block ×4, first 2 shown]
	s_waitcnt vmcnt(1)
	v_fmac_f32_e32 v7, v18, v26
	v_fmac_f32_e32 v14, v19, v26
	v_fma_f32 v7, -v19, v27, v7
	v_fmac_f32_e32 v14, v18, v27
	v_fmac_f32_e32 v7, v20, v28
	;; [unrolled: 1-line block ×3, first 2 shown]
	v_fma_f32 v7, -v21, v29, v7
	v_fmac_f32_e32 v14, v20, v29
	global_load_dwordx4 v[18:21], v[52:53], off offset:96
	global_load_dwordx4 v[34:37], v[52:53], off offset:112
	s_waitcnt vmcnt(2)
	v_fmac_f32_e32 v7, v22, v30
	v_fma_f32 v7, -v23, v31, v7
	v_fmac_f32_e32 v14, v23, v30
	v_fmac_f32_e32 v7, v24, v32
	;; [unrolled: 1-line block ×5, first 2 shown]
	s_waitcnt vmcnt(1)
	v_fmac_f32_e32 v40, v18, v26
	v_fmac_f32_e32 v16, v19, v26
	v_fma_f32 v19, -v19, v27, v40
	v_fmac_f32_e32 v16, v18, v27
	v_fmac_f32_e32 v19, v20, v28
	;; [unrolled: 1-line block ×3, first 2 shown]
	v_fma_f32 v47, -v21, v29, v19
	v_fmac_f32_e32 v16, v20, v29
	global_load_dwordx4 v[18:21], v[52:53], off offset:160
	global_load_dwordx4 v[38:41], v[52:53], off offset:176
	s_waitcnt vmcnt(2)
	v_fmac_f32_e32 v47, v34, v30
	v_fmac_f32_e32 v16, v35, v30
	;; [unrolled: 1-line block ×5, first 2 shown]
	s_waitcnt vmcnt(1)
	v_fmac_f32_e32 v42, v18, v26
	v_fmac_f32_e32 v13, v19, v26
	v_fma_f32 v19, -v19, v27, v42
	v_fmac_f32_e32 v13, v18, v27
	v_fmac_f32_e32 v19, v20, v28
	;; [unrolled: 1-line block ×3, first 2 shown]
	v_fma_f32 v48, -v21, v29, v19
	v_fmac_f32_e32 v13, v20, v29
	global_load_dwordx4 v[18:21], v[52:53], off offset:224
	global_load_dwordx4 v[42:45], v[52:53], off offset:240
	s_waitcnt vmcnt(2)
	v_fmac_f32_e32 v48, v38, v30
	v_fmac_f32_e32 v13, v39, v30
	v_fmac_f32_e32 v13, v38, v31
	v_fmac_f32_e32 v13, v41, v32
	v_fmac_f32_e32 v13, v40, v33
	s_waitcnt vmcnt(1)
	v_fmac_f32_e32 v46, v18, v26
	v_fmac_f32_e32 v12, v19, v26
	v_fma_f32 v19, -v19, v27, v46
	v_fmac_f32_e32 v12, v18, v27
	v_fmac_f32_e32 v19, v20, v28
	;; [unrolled: 1-line block ×3, first 2 shown]
	v_fma_f32 v18, -v21, v29, v19
	v_fmac_f32_e32 v12, v20, v29
	s_waitcnt vmcnt(0)
	v_fmac_f32_e32 v18, v42, v30
	v_fmac_f32_e32 v12, v43, v30
	v_fma_f32 v21, -v25, v33, v7
	v_fma_f32 v7, -v35, v31, v47
	;; [unrolled: 1-line block ×4, first 2 shown]
	v_fmac_f32_e32 v12, v42, v31
	v_fmac_f32_e32 v7, v36, v32
	;; [unrolled: 1-line block ×5, first 2 shown]
	v_fma_f32 v22, -v37, v33, v7
	v_fma_f32 v23, -v41, v33, v19
	;; [unrolled: 1-line block ×3, first 2 shown]
	v_fmac_f32_e32 v12, v44, v33
	s_andn2_b64 exec, exec, s[0:1]
	s_cbranch_execnz .LBB106_13
; %bb.14:
	s_or_b64 exec, exec, s[0:1]
.LBB106_15:
	s_or_b64 exec, exec, s[6:7]
.LBB106_16:
	v_mov_b32_dpp v10, v22 row_shr:1 row_mask:0xf bank_mask:0xf
	v_add_f32_e32 v10, v22, v10
	v_mov_b32_dpp v6, v21 row_shr:1 row_mask:0xf bank_mask:0xf
	v_mov_b32_dpp v8, v14 row_shr:1 row_mask:0xf bank_mask:0xf
	v_mov_b32_dpp v11, v10 row_shr:2 row_mask:0xf bank_mask:0xf
	v_add_f32_e32 v10, v10, v11
	v_add_f32_e32 v6, v21, v6
	v_add_f32_e32 v8, v14, v8
	v_mov_b32_dpp v11, v10 row_shr:4 row_mask:0xf bank_mask:0xe
	v_add_f32_e32 v11, v10, v11
	v_mov_b32_dpp v10, v16 row_shr:1 row_mask:0xf bank_mask:0xf
	v_add_f32_e32 v10, v16, v10
	v_mov_b32_dpp v7, v6 row_shr:2 row_mask:0xf bank_mask:0xf
	v_mov_b32_dpp v9, v8 row_shr:2 row_mask:0xf bank_mask:0xf
	v_mov_b32_dpp v15, v10 row_shr:2 row_mask:0xf bank_mask:0xf
	v_add_f32_e32 v10, v10, v15
	v_add_f32_e32 v6, v6, v7
	v_add_f32_e32 v8, v8, v9
	v_mov_b32_dpp v15, v10 row_shr:4 row_mask:0xf bank_mask:0xe
	v_add_f32_e32 v15, v10, v15
	;; [unrolled: 10-line block ×3, first 2 shown]
	v_mov_b32_dpp v10, v13 row_shr:1 row_mask:0xf bank_mask:0xf
	v_add_f32_e32 v10, v13, v10
	v_mov_b32_dpp v7, v6 row_shr:8 row_mask:0xf bank_mask:0xc
	v_mov_b32_dpp v9, v8 row_shr:8 row_mask:0xf bank_mask:0xc
	;; [unrolled: 1-line block ×3, first 2 shown]
	v_add_f32_e32 v10, v10, v13
	v_mov_b32_dpp v14, v11 row_shr:8 row_mask:0xf bank_mask:0xc
	v_mov_b32_dpp v16, v15 row_shr:8 row_mask:0xf bank_mask:0xc
	;; [unrolled: 1-line block ×3, first 2 shown]
	v_add_f32_e32 v13, v10, v13
	v_mov_b32_dpp v10, v20 row_shr:1 row_mask:0xf bank_mask:0xf
	v_add_f32_e32 v10, v20, v10
	v_mov_b32_dpp v18, v17 row_shr:8 row_mask:0xf bank_mask:0xc
	v_mov_b32_dpp v19, v13 row_shr:8 row_mask:0xf bank_mask:0xc
	;; [unrolled: 1-line block ×3, first 2 shown]
	v_add_f32_e32 v10, v10, v20
	v_cmp_eq_u32_e32 vcc, 15, v0
	s_nop 0
	v_mov_b32_dpp v20, v10 row_shr:4 row_mask:0xf bank_mask:0xe
	v_add_f32_e32 v20, v10, v20
	v_mov_b32_dpp v10, v12 row_shr:1 row_mask:0xf bank_mask:0xf
	v_add_f32_e32 v10, v12, v10
	v_mov_b32_dpp v21, v20 row_shr:8 row_mask:0xf bank_mask:0xc
	s_nop 0
	v_mov_b32_dpp v12, v10 row_shr:2 row_mask:0xf bank_mask:0xf
	v_add_f32_e32 v10, v10, v12
	s_nop 1
	v_mov_b32_dpp v12, v10 row_shr:4 row_mask:0xf bank_mask:0xe
	v_add_f32_e32 v22, v10, v12
	s_nop 1
	v_mov_b32_dpp v23, v22 row_shr:8 row_mask:0xf bank_mask:0xc
	s_and_b64 exec, exec, vcc
	s_cbranch_execz .LBB106_21
; %bb.17:
	s_load_dwordx2 s[2:3], s[4:5], 0x38
	v_cmp_eq_f32_e32 vcc, 0, v3
	v_cmp_eq_f32_e64 s[0:1], 0, v4
	v_add_f32_e32 v10, v6, v7
	v_add_f32_e32 v12, v8, v9
	;; [unrolled: 1-line block ×8, first 2 shown]
	s_and_b64 s[0:1], vcc, s[0:1]
	s_and_saveexec_b64 s[4:5], s[0:1]
	s_xor_b64 s[0:1], exec, s[4:5]
	s_cbranch_execz .LBB106_19
; %bb.18:
	v_lshlrev_b32_e32 v3, 2, v5
	v_ashrrev_i32_e32 v4, 31, v3
	v_lshlrev_b64 v[3:4], 3, v[3:4]
	s_waitcnt lgkmcnt(0)
	v_mov_b32_e32 v5, s3
	v_add_co_u32_e32 v17, vcc, s2, v3
	v_addc_co_u32_e32 v18, vcc, v5, v4, vcc
	v_mul_f32_e64 v3, v9, -v2
	v_mul_f32_e32 v4, v1, v9
	v_mul_f32_e64 v13, v12, -v2
	v_mul_f32_e32 v14, v1, v12
	;; [unrolled: 2-line block ×3, first 2 shown]
	v_fmac_f32_e32 v3, v1, v6
	v_fmac_f32_e32 v4, v2, v6
	v_mul_f32_e64 v5, v7, -v2
	v_mul_f32_e32 v6, v1, v7
	v_fmac_f32_e32 v13, v1, v10
	v_fmac_f32_e32 v14, v2, v10
	;; [unrolled: 1-line block ×6, first 2 shown]
	global_store_dwordx4 v[17:18], v[13:16], off
	global_store_dwordx4 v[17:18], v[3:6], off offset:16
                                        ; implicit-def: $vgpr5
                                        ; implicit-def: $vgpr10
                                        ; implicit-def: $vgpr12
                                        ; implicit-def: $vgpr8
                                        ; implicit-def: $vgpr11
                                        ; implicit-def: $vgpr6
                                        ; implicit-def: $vgpr9
                                        ; implicit-def: $vgpr0
                                        ; implicit-def: $vgpr7
                                        ; implicit-def: $vgpr1_vgpr2
                                        ; implicit-def: $vgpr3_vgpr4
.LBB106_19:
	s_andn2_saveexec_b64 s[0:1], s[0:1]
	s_cbranch_execz .LBB106_21
; %bb.20:
	v_lshlrev_b32_e32 v13, 2, v5
	v_ashrrev_i32_e32 v14, 31, v13
	v_lshlrev_b64 v[13:14], 3, v[13:14]
	s_waitcnt lgkmcnt(0)
	v_mov_b32_e32 v5, s3
	v_add_co_u32_e32 v25, vcc, s2, v13
	v_addc_co_u32_e32 v26, vcc, v5, v14, vcc
	global_load_dwordx4 v[13:16], v[25:26], off
	global_load_dwordx4 v[17:20], v[25:26], off offset:16
	v_mul_f32_e64 v5, v12, -v2
	v_mul_f32_e32 v22, v1, v12
	v_mul_f32_e64 v12, v11, -v2
	v_mul_f32_e32 v24, v1, v11
	;; [unrolled: 2-line block ×4, first 2 shown]
	v_fmac_f32_e32 v5, v1, v10
	v_fmac_f32_e32 v22, v2, v10
	v_fmac_f32_e32 v12, v1, v8
	v_fmac_f32_e32 v24, v2, v8
	v_fmac_f32_e32 v27, v1, v6
	v_fmac_f32_e32 v9, v2, v6
	v_fmac_f32_e32 v28, v1, v0
	v_fmac_f32_e32 v11, v2, v0
	s_waitcnt vmcnt(1)
	v_fmac_f32_e32 v5, v3, v13
	v_fmac_f32_e32 v22, v4, v13
	;; [unrolled: 1-line block ×4, first 2 shown]
	s_waitcnt vmcnt(0)
	v_fmac_f32_e32 v27, v3, v17
	v_fmac_f32_e32 v9, v4, v17
	;; [unrolled: 1-line block ×4, first 2 shown]
	v_fma_f32 v21, -v4, v14, v5
	v_fmac_f32_e32 v22, v3, v14
	v_fma_f32 v23, -v4, v16, v12
	v_fmac_f32_e32 v24, v3, v16
	;; [unrolled: 2-line block ×4, first 2 shown]
	global_store_dwordx4 v[25:26], v[21:24], off
	global_store_dwordx4 v[25:26], v[8:11], off offset:16
.LBB106_21:
	s_endpgm
	.section	.rodata,"a",@progbits
	.p2align	6, 0x0
	.amdhsa_kernel _ZN9rocsparseL19gebsrmvn_4xn_kernelILj128ELj8ELj16E21rocsparse_complex_numIfEEEvi20rocsparse_direction_NS_24const_host_device_scalarIT2_EEPKiS8_PKS5_SA_S6_PS5_21rocsparse_index_base_b
		.amdhsa_group_segment_fixed_size 0
		.amdhsa_private_segment_fixed_size 0
		.amdhsa_kernarg_size 72
		.amdhsa_user_sgpr_count 6
		.amdhsa_user_sgpr_private_segment_buffer 1
		.amdhsa_user_sgpr_dispatch_ptr 0
		.amdhsa_user_sgpr_queue_ptr 0
		.amdhsa_user_sgpr_kernarg_segment_ptr 1
		.amdhsa_user_sgpr_dispatch_id 0
		.amdhsa_user_sgpr_flat_scratch_init 0
		.amdhsa_user_sgpr_private_segment_size 0
		.amdhsa_uses_dynamic_stack 0
		.amdhsa_system_sgpr_private_segment_wavefront_offset 0
		.amdhsa_system_sgpr_workgroup_id_x 1
		.amdhsa_system_sgpr_workgroup_id_y 0
		.amdhsa_system_sgpr_workgroup_id_z 0
		.amdhsa_system_sgpr_workgroup_info 0
		.amdhsa_system_vgpr_workitem_id 0
		.amdhsa_next_free_vgpr 56
		.amdhsa_next_free_sgpr 16
		.amdhsa_reserve_vcc 1
		.amdhsa_reserve_flat_scratch 0
		.amdhsa_float_round_mode_32 0
		.amdhsa_float_round_mode_16_64 0
		.amdhsa_float_denorm_mode_32 3
		.amdhsa_float_denorm_mode_16_64 3
		.amdhsa_dx10_clamp 1
		.amdhsa_ieee_mode 1
		.amdhsa_fp16_overflow 0
		.amdhsa_exception_fp_ieee_invalid_op 0
		.amdhsa_exception_fp_denorm_src 0
		.amdhsa_exception_fp_ieee_div_zero 0
		.amdhsa_exception_fp_ieee_overflow 0
		.amdhsa_exception_fp_ieee_underflow 0
		.amdhsa_exception_fp_ieee_inexact 0
		.amdhsa_exception_int_div_zero 0
	.end_amdhsa_kernel
	.section	.text._ZN9rocsparseL19gebsrmvn_4xn_kernelILj128ELj8ELj16E21rocsparse_complex_numIfEEEvi20rocsparse_direction_NS_24const_host_device_scalarIT2_EEPKiS8_PKS5_SA_S6_PS5_21rocsparse_index_base_b,"axG",@progbits,_ZN9rocsparseL19gebsrmvn_4xn_kernelILj128ELj8ELj16E21rocsparse_complex_numIfEEEvi20rocsparse_direction_NS_24const_host_device_scalarIT2_EEPKiS8_PKS5_SA_S6_PS5_21rocsparse_index_base_b,comdat
.Lfunc_end106:
	.size	_ZN9rocsparseL19gebsrmvn_4xn_kernelILj128ELj8ELj16E21rocsparse_complex_numIfEEEvi20rocsparse_direction_NS_24const_host_device_scalarIT2_EEPKiS8_PKS5_SA_S6_PS5_21rocsparse_index_base_b, .Lfunc_end106-_ZN9rocsparseL19gebsrmvn_4xn_kernelILj128ELj8ELj16E21rocsparse_complex_numIfEEEvi20rocsparse_direction_NS_24const_host_device_scalarIT2_EEPKiS8_PKS5_SA_S6_PS5_21rocsparse_index_base_b
                                        ; -- End function
	.set _ZN9rocsparseL19gebsrmvn_4xn_kernelILj128ELj8ELj16E21rocsparse_complex_numIfEEEvi20rocsparse_direction_NS_24const_host_device_scalarIT2_EEPKiS8_PKS5_SA_S6_PS5_21rocsparse_index_base_b.num_vgpr, 56
	.set _ZN9rocsparseL19gebsrmvn_4xn_kernelILj128ELj8ELj16E21rocsparse_complex_numIfEEEvi20rocsparse_direction_NS_24const_host_device_scalarIT2_EEPKiS8_PKS5_SA_S6_PS5_21rocsparse_index_base_b.num_agpr, 0
	.set _ZN9rocsparseL19gebsrmvn_4xn_kernelILj128ELj8ELj16E21rocsparse_complex_numIfEEEvi20rocsparse_direction_NS_24const_host_device_scalarIT2_EEPKiS8_PKS5_SA_S6_PS5_21rocsparse_index_base_b.numbered_sgpr, 16
	.set _ZN9rocsparseL19gebsrmvn_4xn_kernelILj128ELj8ELj16E21rocsparse_complex_numIfEEEvi20rocsparse_direction_NS_24const_host_device_scalarIT2_EEPKiS8_PKS5_SA_S6_PS5_21rocsparse_index_base_b.num_named_barrier, 0
	.set _ZN9rocsparseL19gebsrmvn_4xn_kernelILj128ELj8ELj16E21rocsparse_complex_numIfEEEvi20rocsparse_direction_NS_24const_host_device_scalarIT2_EEPKiS8_PKS5_SA_S6_PS5_21rocsparse_index_base_b.private_seg_size, 0
	.set _ZN9rocsparseL19gebsrmvn_4xn_kernelILj128ELj8ELj16E21rocsparse_complex_numIfEEEvi20rocsparse_direction_NS_24const_host_device_scalarIT2_EEPKiS8_PKS5_SA_S6_PS5_21rocsparse_index_base_b.uses_vcc, 1
	.set _ZN9rocsparseL19gebsrmvn_4xn_kernelILj128ELj8ELj16E21rocsparse_complex_numIfEEEvi20rocsparse_direction_NS_24const_host_device_scalarIT2_EEPKiS8_PKS5_SA_S6_PS5_21rocsparse_index_base_b.uses_flat_scratch, 0
	.set _ZN9rocsparseL19gebsrmvn_4xn_kernelILj128ELj8ELj16E21rocsparse_complex_numIfEEEvi20rocsparse_direction_NS_24const_host_device_scalarIT2_EEPKiS8_PKS5_SA_S6_PS5_21rocsparse_index_base_b.has_dyn_sized_stack, 0
	.set _ZN9rocsparseL19gebsrmvn_4xn_kernelILj128ELj8ELj16E21rocsparse_complex_numIfEEEvi20rocsparse_direction_NS_24const_host_device_scalarIT2_EEPKiS8_PKS5_SA_S6_PS5_21rocsparse_index_base_b.has_recursion, 0
	.set _ZN9rocsparseL19gebsrmvn_4xn_kernelILj128ELj8ELj16E21rocsparse_complex_numIfEEEvi20rocsparse_direction_NS_24const_host_device_scalarIT2_EEPKiS8_PKS5_SA_S6_PS5_21rocsparse_index_base_b.has_indirect_call, 0
	.section	.AMDGPU.csdata,"",@progbits
; Kernel info:
; codeLenInByte = 3248
; TotalNumSgprs: 20
; NumVgprs: 56
; ScratchSize: 0
; MemoryBound: 0
; FloatMode: 240
; IeeeMode: 1
; LDSByteSize: 0 bytes/workgroup (compile time only)
; SGPRBlocks: 2
; VGPRBlocks: 13
; NumSGPRsForWavesPerEU: 20
; NumVGPRsForWavesPerEU: 56
; Occupancy: 4
; WaveLimiterHint : 1
; COMPUTE_PGM_RSRC2:SCRATCH_EN: 0
; COMPUTE_PGM_RSRC2:USER_SGPR: 6
; COMPUTE_PGM_RSRC2:TRAP_HANDLER: 0
; COMPUTE_PGM_RSRC2:TGID_X_EN: 1
; COMPUTE_PGM_RSRC2:TGID_Y_EN: 0
; COMPUTE_PGM_RSRC2:TGID_Z_EN: 0
; COMPUTE_PGM_RSRC2:TIDIG_COMP_CNT: 0
	.section	.text._ZN9rocsparseL19gebsrmvn_4xn_kernelILj128ELj8ELj32E21rocsparse_complex_numIfEEEvi20rocsparse_direction_NS_24const_host_device_scalarIT2_EEPKiS8_PKS5_SA_S6_PS5_21rocsparse_index_base_b,"axG",@progbits,_ZN9rocsparseL19gebsrmvn_4xn_kernelILj128ELj8ELj32E21rocsparse_complex_numIfEEEvi20rocsparse_direction_NS_24const_host_device_scalarIT2_EEPKiS8_PKS5_SA_S6_PS5_21rocsparse_index_base_b,comdat
	.globl	_ZN9rocsparseL19gebsrmvn_4xn_kernelILj128ELj8ELj32E21rocsparse_complex_numIfEEEvi20rocsparse_direction_NS_24const_host_device_scalarIT2_EEPKiS8_PKS5_SA_S6_PS5_21rocsparse_index_base_b ; -- Begin function _ZN9rocsparseL19gebsrmvn_4xn_kernelILj128ELj8ELj32E21rocsparse_complex_numIfEEEvi20rocsparse_direction_NS_24const_host_device_scalarIT2_EEPKiS8_PKS5_SA_S6_PS5_21rocsparse_index_base_b
	.p2align	8
	.type	_ZN9rocsparseL19gebsrmvn_4xn_kernelILj128ELj8ELj32E21rocsparse_complex_numIfEEEvi20rocsparse_direction_NS_24const_host_device_scalarIT2_EEPKiS8_PKS5_SA_S6_PS5_21rocsparse_index_base_b,@function
_ZN9rocsparseL19gebsrmvn_4xn_kernelILj128ELj8ELj32E21rocsparse_complex_numIfEEEvi20rocsparse_direction_NS_24const_host_device_scalarIT2_EEPKiS8_PKS5_SA_S6_PS5_21rocsparse_index_base_b: ; @_ZN9rocsparseL19gebsrmvn_4xn_kernelILj128ELj8ELj32E21rocsparse_complex_numIfEEEvi20rocsparse_direction_NS_24const_host_device_scalarIT2_EEPKiS8_PKS5_SA_S6_PS5_21rocsparse_index_base_b
; %bb.0:
	s_load_dwordx2 s[0:1], s[4:5], 0x8
	s_load_dwordx2 s[8:9], s[4:5], 0x30
	;; [unrolled: 1-line block ×3, first 2 shown]
	s_add_u32 s7, s4, 8
	s_addc_u32 s10, s5, 0
	s_add_u32 s11, s4, 48
	s_addc_u32 s12, s5, 0
	s_waitcnt lgkmcnt(0)
	s_bitcmp1_b32 s3, 0
	s_cselect_b32 s1, s10, s1
	s_cselect_b32 s0, s7, s0
	v_mov_b32_e32 v1, s0
	v_mov_b32_e32 v2, s1
	flat_load_dwordx2 v[1:2], v[1:2]
	s_cselect_b32 s0, s12, s9
	s_cselect_b32 s1, s11, s8
	v_mov_b32_e32 v3, s1
	v_mov_b32_e32 v4, s0
	flat_load_dwordx2 v[3:4], v[3:4]
	s_waitcnt vmcnt(0) lgkmcnt(0)
	v_cmp_eq_f32_e32 vcc, 0, v1
	v_cmp_eq_f32_e64 s[0:1], 0, v2
	s_and_b64 s[10:11], vcc, s[0:1]
	s_mov_b64 s[0:1], -1
	s_and_saveexec_b64 s[8:9], s[10:11]
; %bb.1:
	v_cmp_neq_f32_e32 vcc, 1.0, v3
	v_cmp_neq_f32_e64 s[0:1], 0, v4
	s_or_b64 s[0:1], vcc, s[0:1]
	s_orn2_b64 s[0:1], s[0:1], exec
; %bb.2:
	s_or_b64 exec, exec, s[8:9]
	s_and_saveexec_b64 s[8:9], s[0:1]
	s_cbranch_execz .LBB107_21
; %bb.3:
	s_load_dwordx2 s[0:1], s[4:5], 0x0
	v_lshrrev_b32_e32 v5, 5, v0
	v_lshl_or_b32 v5, s6, 2, v5
	s_waitcnt lgkmcnt(0)
	v_cmp_gt_i32_e32 vcc, s0, v5
	s_and_b64 exec, exec, vcc
	s_cbranch_execz .LBB107_21
; %bb.4:
	s_load_dwordx8 s[8:15], s[4:5], 0x10
	v_ashrrev_i32_e32 v6, 31, v5
	v_lshlrev_b64 v[6:7], 2, v[5:6]
	v_and_b32_e32 v0, 31, v0
	s_cmp_lg_u32 s1, 0
	s_waitcnt lgkmcnt(0)
	v_mov_b32_e32 v8, s9
	v_add_co_u32_e32 v6, vcc, s8, v6
	v_addc_co_u32_e32 v7, vcc, v8, v7, vcc
	global_load_dwordx2 v[6:7], v[6:7], off
	s_waitcnt vmcnt(0)
	v_subrev_u32_e32 v6, s2, v6
	v_subrev_u32_e32 v16, s2, v7
	v_add_u32_e32 v6, v6, v0
	v_cmp_lt_i32_e64 s[0:1], v6, v16
	s_cbranch_scc0 .LBB107_10
; %bb.5:
	v_mov_b32_e32 v14, 0
	v_mov_b32_e32 v22, 0
	;; [unrolled: 1-line block ×8, first 2 shown]
	s_and_saveexec_b64 s[6:7], s[0:1]
	s_cbranch_execz .LBB107_9
; %bb.6:
	v_mov_b32_e32 v8, 0
	v_lshlrev_b32_e32 v7, 5, v6
	s_mov_b64 s[8:9], 0
	v_mov_b32_e32 v17, s11
	v_mov_b32_e32 v18, s13
	;; [unrolled: 1-line block ×12, first 2 shown]
.LBB107_7:                              ; =>This Inner Loop Header: Depth=1
	v_lshlrev_b64 v[24:25], 3, v[7:8]
	v_ashrrev_i32_e32 v10, 31, v9
	v_lshlrev_b64 v[27:28], 2, v[9:10]
	v_add_co_u32_e32 v10, vcc, s12, v24
	v_addc_co_u32_e32 v11, vcc, v18, v25, vcc
	v_add_co_u32_e32 v24, vcc, s10, v27
	v_addc_co_u32_e32 v25, vcc, v17, v28, vcc
	global_load_dword v24, v[24:25], off
	v_mov_b32_e32 v26, v8
	v_add_u32_e32 v9, 32, v9
	v_add_u32_e32 v7, 0x400, v7
	s_waitcnt vmcnt(0)
	v_subrev_u32_e32 v24, s2, v24
	v_lshlrev_b32_e32 v25, 3, v24
	v_lshlrev_b64 v[24:25], 3, v[25:26]
	v_add_co_u32_e32 v32, vcc, s14, v24
	v_addc_co_u32_e32 v33, vcc, v19, v25, vcc
	global_load_dwordx4 v[24:27], v[10:11], off
	global_load_dwordx4 v[28:31], v[32:33], off
	v_cmp_ge_i32_e32 vcc, v9, v16
	s_or_b64 s[8:9], vcc, s[8:9]
	s_waitcnt vmcnt(0)
	v_fmac_f32_e32 v22, v24, v28
	v_fmac_f32_e32 v14, v25, v28
	;; [unrolled: 1-line block ×4, first 2 shown]
	v_fma_f32 v34, -v25, v29, v22
	v_fmac_f32_e32 v14, v24, v29
	v_fma_f32 v35, -v27, v29, v21
	v_fmac_f32_e32 v15, v26, v29
	global_load_dwordx4 v[24:27], v[10:11], off offset:16
	s_waitcnt vmcnt(0)
	v_fmac_f32_e32 v23, v24, v28
	v_fmac_f32_e32 v13, v25, v28
	;; [unrolled: 1-line block ×3, first 2 shown]
	v_fma_f32 v25, -v25, v29, v23
	v_fmac_f32_e32 v13, v24, v29
	v_fma_f32 v24, -v27, v29, v20
	global_load_dwordx4 v[20:23], v[10:11], off offset:32
	v_fmac_f32_e32 v12, v27, v28
	v_fmac_f32_e32 v12, v26, v29
	s_waitcnt vmcnt(0)
	v_fmac_f32_e32 v34, v20, v30
	v_fmac_f32_e32 v14, v21, v30
	v_fmac_f32_e32 v35, v22, v30
	v_fmac_f32_e32 v15, v23, v30
	v_fma_f32 v28, -v21, v31, v34
	v_fmac_f32_e32 v14, v20, v31
	v_fma_f32 v29, -v23, v31, v35
	v_fmac_f32_e32 v15, v22, v31
	global_load_dwordx4 v[20:23], v[10:11], off offset:48
	s_waitcnt vmcnt(0)
	v_fmac_f32_e32 v25, v20, v30
	v_fmac_f32_e32 v13, v21, v30
	v_fmac_f32_e32 v24, v22, v30
	v_fmac_f32_e32 v12, v23, v30
	v_fma_f32 v30, -v21, v31, v25
	v_fmac_f32_e32 v13, v20, v31
	v_fma_f32 v34, -v23, v31, v24
	v_fmac_f32_e32 v12, v22, v31
	global_load_dwordx4 v[20:23], v[10:11], off offset:64
	global_load_dwordx4 v[24:27], v[32:33], off offset:16
	s_waitcnt vmcnt(0)
	v_fmac_f32_e32 v28, v20, v24
	v_fmac_f32_e32 v14, v21, v24
	v_fmac_f32_e32 v29, v22, v24
	v_fmac_f32_e32 v15, v23, v24
	v_fma_f32 v28, -v21, v25, v28
	v_fmac_f32_e32 v14, v20, v25
	v_fma_f32 v29, -v23, v25, v29
	v_fmac_f32_e32 v15, v22, v25
	global_load_dwordx4 v[20:23], v[10:11], off offset:80
	s_waitcnt vmcnt(0)
	v_fmac_f32_e32 v30, v20, v24
	v_fmac_f32_e32 v13, v21, v24
	v_fmac_f32_e32 v34, v22, v24
	v_fmac_f32_e32 v12, v23, v24
	v_fma_f32 v24, -v21, v25, v30
	v_fmac_f32_e32 v13, v20, v25
	v_fma_f32 v30, -v23, v25, v34
	v_fmac_f32_e32 v12, v22, v25
	global_load_dwordx4 v[20:23], v[10:11], off offset:96
	s_waitcnt vmcnt(0)
	v_fmac_f32_e32 v28, v20, v26
	v_fmac_f32_e32 v14, v21, v26
	v_fmac_f32_e32 v29, v22, v26
	v_fmac_f32_e32 v15, v23, v26
	v_fma_f32 v28, -v21, v27, v28
	v_fmac_f32_e32 v14, v20, v27
	v_fma_f32 v29, -v23, v27, v29
	v_fmac_f32_e32 v15, v22, v27
	global_load_dwordx4 v[20:23], v[10:11], off offset:112
	s_waitcnt vmcnt(0)
	v_fmac_f32_e32 v24, v20, v26
	v_fmac_f32_e32 v13, v21, v26
	v_fmac_f32_e32 v30, v22, v26
	v_fmac_f32_e32 v12, v23, v26
	v_fma_f32 v31, -v21, v27, v24
	v_fmac_f32_e32 v13, v20, v27
	v_fma_f32 v30, -v23, v27, v30
	v_fmac_f32_e32 v12, v22, v27
	global_load_dwordx4 v[20:23], v[10:11], off offset:128
	global_load_dwordx4 v[24:27], v[32:33], off offset:32
	s_waitcnt vmcnt(0)
	v_fmac_f32_e32 v28, v20, v24
	v_fmac_f32_e32 v14, v21, v24
	v_fmac_f32_e32 v29, v22, v24
	v_fmac_f32_e32 v15, v23, v24
	v_fma_f32 v28, -v21, v25, v28
	v_fmac_f32_e32 v14, v20, v25
	v_fma_f32 v29, -v23, v25, v29
	v_fmac_f32_e32 v15, v22, v25
	global_load_dwordx4 v[20:23], v[10:11], off offset:144
	s_waitcnt vmcnt(0)
	v_fmac_f32_e32 v31, v20, v24
	v_fmac_f32_e32 v13, v21, v24
	v_fmac_f32_e32 v30, v22, v24
	v_fmac_f32_e32 v12, v23, v24
	v_fma_f32 v24, -v21, v25, v31
	v_fmac_f32_e32 v13, v20, v25
	v_fma_f32 v30, -v23, v25, v30
	v_fmac_f32_e32 v12, v22, v25
	global_load_dwordx4 v[20:23], v[10:11], off offset:160
	;; [unrolled: 41-line block ×3, first 2 shown]
	s_waitcnt vmcnt(0)
	v_fmac_f32_e32 v28, v21, v26
	v_fmac_f32_e32 v14, v22, v26
	;; [unrolled: 1-line block ×3, first 2 shown]
	v_fma_f32 v22, -v22, v27, v28
	v_fmac_f32_e32 v14, v21, v27
	v_fma_f32 v21, -v24, v27, v29
	global_load_dwordx4 v[28:31], v[10:11], off offset:240
	v_fmac_f32_e32 v15, v24, v26
	v_fmac_f32_e32 v15, v23, v27
	s_waitcnt vmcnt(0)
	v_fmac_f32_e32 v32, v28, v26
	v_fmac_f32_e32 v13, v29, v26
	;; [unrolled: 1-line block ×4, first 2 shown]
	v_fma_f32 v23, -v29, v27, v32
	v_fmac_f32_e32 v13, v28, v27
	v_fma_f32 v20, -v31, v27, v20
	v_fmac_f32_e32 v12, v30, v27
	s_andn2_b64 exec, exec, s[8:9]
	s_cbranch_execnz .LBB107_7
; %bb.8:
	s_or_b64 exec, exec, s[8:9]
.LBB107_9:
	s_or_b64 exec, exec, s[6:7]
	s_cbranch_execz .LBB107_11
	s_branch .LBB107_16
.LBB107_10:
                                        ; implicit-def: $vgpr14
                                        ; implicit-def: $vgpr22
                                        ; implicit-def: $vgpr20
                                        ; implicit-def: $vgpr12
                                        ; implicit-def: $vgpr23
                                        ; implicit-def: $vgpr13
                                        ; implicit-def: $vgpr21
                                        ; implicit-def: $vgpr15
.LBB107_11:
	v_mov_b32_e32 v14, 0
	v_mov_b32_e32 v22, 0
	;; [unrolled: 1-line block ×8, first 2 shown]
	s_and_saveexec_b64 s[6:7], s[0:1]
	s_cbranch_execz .LBB107_15
; %bb.12:
	v_mov_b32_e32 v9, 0
	v_lshlrev_b32_e32 v8, 5, v6
	s_mov_b64 s[0:1], 0
	v_mov_b32_e32 v10, s11
	v_mov_b32_e32 v11, s13
	;; [unrolled: 1-line block ×11, first 2 shown]
.LBB107_13:                             ; =>This Inner Loop Header: Depth=1
	v_lshlrev_b64 v[18:19], 3, v[8:9]
	v_ashrrev_i32_e32 v7, 31, v6
	v_lshlrev_b64 v[24:25], 2, v[6:7]
	v_add_co_u32_e32 v52, vcc, s12, v18
	v_addc_co_u32_e32 v53, vcc, v11, v19, vcc
	v_add_co_u32_e32 v18, vcc, s10, v24
	v_addc_co_u32_e32 v19, vcc, v10, v25, vcc
	global_load_dwordx4 v[24:27], v[52:53], off
	global_load_dwordx4 v[28:31], v[52:53], off offset:16
	global_load_dword v7, v[18:19], off
	v_mov_b32_e32 v33, v9
	v_add_u32_e32 v6, 32, v6
	v_add_u32_e32 v8, 0x400, v8
	s_waitcnt vmcnt(0)
	v_subrev_u32_e32 v7, s2, v7
	v_lshlrev_b32_e32 v32, 3, v7
	v_lshlrev_b64 v[18:19], 3, v[32:33]
	v_add_co_u32_e32 v54, vcc, s14, v18
	v_addc_co_u32_e32 v55, vcc, v17, v19, vcc
	global_load_dwordx4 v[32:35], v[54:55], off
	global_load_dwordx4 v[36:39], v[54:55], off offset:16
	v_cmp_ge_i32_e32 vcc, v6, v16
	s_or_b64 s[0:1], vcc, s[0:1]
	s_waitcnt vmcnt(1)
	v_fmac_f32_e32 v22, v24, v32
	v_fmac_f32_e32 v14, v25, v32
	v_fma_f32 v7, -v25, v33, v22
	v_fmac_f32_e32 v14, v24, v33
	v_fmac_f32_e32 v7, v26, v34
	;; [unrolled: 1-line block ×3, first 2 shown]
	v_fma_f32 v7, -v27, v35, v7
	v_fmac_f32_e32 v14, v26, v35
	global_load_dwordx4 v[24:27], v[52:53], off offset:64
	global_load_dwordx4 v[40:43], v[52:53], off offset:80
	s_waitcnt vmcnt(2)
	v_fmac_f32_e32 v7, v28, v36
	v_fmac_f32_e32 v14, v29, v36
	v_fma_f32 v7, -v29, v37, v7
	v_fmac_f32_e32 v14, v28, v37
	v_fmac_f32_e32 v7, v30, v38
	;; [unrolled: 1-line block ×3, first 2 shown]
	v_fma_f32 v7, -v31, v39, v7
	v_fmac_f32_e32 v14, v30, v39
	s_waitcnt vmcnt(1)
	v_fmac_f32_e32 v21, v24, v32
	v_fmac_f32_e32 v15, v25, v32
	v_fma_f32 v18, -v25, v33, v21
	v_fmac_f32_e32 v15, v24, v33
	v_fmac_f32_e32 v18, v26, v34
	;; [unrolled: 1-line block ×3, first 2 shown]
	v_fma_f32 v18, -v27, v35, v18
	v_fmac_f32_e32 v15, v26, v35
	global_load_dwordx4 v[24:27], v[52:53], off offset:128
	global_load_dwordx4 v[44:47], v[52:53], off offset:144
	s_waitcnt vmcnt(2)
	v_fmac_f32_e32 v18, v40, v36
	v_fma_f32 v18, -v41, v37, v18
	v_fmac_f32_e32 v15, v41, v36
	v_fmac_f32_e32 v18, v42, v38
	;; [unrolled: 1-line block ×3, first 2 shown]
	v_fma_f32 v40, -v43, v39, v18
	v_fmac_f32_e32 v15, v43, v38
	v_fmac_f32_e32 v15, v42, v39
	s_waitcnt vmcnt(1)
	v_fmac_f32_e32 v23, v24, v32
	v_fmac_f32_e32 v13, v25, v32
	v_fma_f32 v19, -v25, v33, v23
	v_fmac_f32_e32 v13, v24, v33
	global_load_dwordx4 v[21:24], v[52:53], off offset:192
	global_load_dwordx4 v[48:51], v[52:53], off offset:208
	v_fmac_f32_e32 v19, v26, v34
	v_fmac_f32_e32 v13, v27, v34
	v_fma_f32 v19, -v27, v35, v19
	v_fmac_f32_e32 v13, v26, v35
	s_waitcnt vmcnt(2)
	v_fmac_f32_e32 v19, v44, v36
	v_fmac_f32_e32 v13, v45, v36
	v_fma_f32 v18, -v45, v37, v19
	v_fmac_f32_e32 v13, v44, v37
	v_fmac_f32_e32 v18, v46, v38
	;; [unrolled: 1-line block ×3, first 2 shown]
	v_fma_f32 v42, -v47, v39, v18
	v_fmac_f32_e32 v13, v46, v39
	s_waitcnt vmcnt(1)
	v_fmac_f32_e32 v20, v21, v32
	v_fma_f32 v20, -v22, v33, v20
	v_fmac_f32_e32 v20, v23, v34
	v_fmac_f32_e32 v12, v22, v32
	v_fma_f32 v22, -v24, v35, v20
	s_waitcnt vmcnt(0)
	v_fmac_f32_e32 v22, v48, v36
	v_fmac_f32_e32 v12, v21, v33
	v_fma_f32 v22, -v49, v37, v22
	v_fmac_f32_e32 v12, v24, v34
	global_load_dwordx4 v[18:21], v[52:53], off offset:32
	v_fmac_f32_e32 v22, v50, v38
	v_fmac_f32_e32 v12, v23, v35
	v_fma_f32 v46, -v51, v39, v22
	global_load_dwordx4 v[22:25], v[52:53], off offset:48
	global_load_dwordx4 v[26:29], v[54:55], off offset:32
	;; [unrolled: 1-line block ×3, first 2 shown]
	v_fmac_f32_e32 v12, v49, v36
	v_fmac_f32_e32 v12, v48, v37
	;; [unrolled: 1-line block ×4, first 2 shown]
	s_waitcnt vmcnt(1)
	v_fmac_f32_e32 v7, v18, v26
	v_fmac_f32_e32 v14, v19, v26
	v_fma_f32 v7, -v19, v27, v7
	v_fmac_f32_e32 v14, v18, v27
	v_fmac_f32_e32 v7, v20, v28
	;; [unrolled: 1-line block ×3, first 2 shown]
	v_fma_f32 v7, -v21, v29, v7
	v_fmac_f32_e32 v14, v20, v29
	global_load_dwordx4 v[18:21], v[52:53], off offset:96
	global_load_dwordx4 v[34:37], v[52:53], off offset:112
	s_waitcnt vmcnt(2)
	v_fmac_f32_e32 v7, v22, v30
	v_fma_f32 v7, -v23, v31, v7
	v_fmac_f32_e32 v14, v23, v30
	v_fmac_f32_e32 v7, v24, v32
	;; [unrolled: 1-line block ×3, first 2 shown]
	v_fma_f32 v22, -v25, v33, v7
	v_fmac_f32_e32 v14, v25, v32
	v_fmac_f32_e32 v14, v24, v33
	s_waitcnt vmcnt(1)
	v_fmac_f32_e32 v40, v18, v26
	v_fmac_f32_e32 v15, v19, v26
	v_fma_f32 v19, -v19, v27, v40
	v_fmac_f32_e32 v15, v18, v27
	v_fmac_f32_e32 v19, v20, v28
	;; [unrolled: 1-line block ×3, first 2 shown]
	v_fma_f32 v47, -v21, v29, v19
	v_fmac_f32_e32 v15, v20, v29
	global_load_dwordx4 v[18:21], v[52:53], off offset:160
	global_load_dwordx4 v[38:41], v[52:53], off offset:176
	s_waitcnt vmcnt(2)
	v_fmac_f32_e32 v47, v34, v30
	v_fmac_f32_e32 v15, v35, v30
	v_fma_f32 v7, -v35, v31, v47
	v_fmac_f32_e32 v15, v34, v31
	v_fmac_f32_e32 v7, v36, v32
	v_fmac_f32_e32 v15, v37, v32
	v_fmac_f32_e32 v15, v36, v33
	s_waitcnt vmcnt(1)
	v_fmac_f32_e32 v42, v18, v26
	v_fmac_f32_e32 v13, v19, v26
	v_fma_f32 v19, -v19, v27, v42
	v_fmac_f32_e32 v13, v18, v27
	v_fmac_f32_e32 v19, v20, v28
	;; [unrolled: 1-line block ×3, first 2 shown]
	v_fma_f32 v48, -v21, v29, v19
	v_fmac_f32_e32 v13, v20, v29
	global_load_dwordx4 v[18:21], v[52:53], off offset:224
	global_load_dwordx4 v[42:45], v[52:53], off offset:240
	s_waitcnt vmcnt(2)
	v_fmac_f32_e32 v48, v38, v30
	v_fmac_f32_e32 v13, v39, v30
	v_fmac_f32_e32 v13, v38, v31
	v_fmac_f32_e32 v13, v41, v32
	v_fmac_f32_e32 v13, v40, v33
	s_waitcnt vmcnt(1)
	v_fmac_f32_e32 v46, v18, v26
	v_fmac_f32_e32 v12, v19, v26
	v_fma_f32 v19, -v19, v27, v46
	v_fmac_f32_e32 v12, v18, v27
	v_fmac_f32_e32 v19, v20, v28
	;; [unrolled: 1-line block ×3, first 2 shown]
	v_fma_f32 v18, -v21, v29, v19
	v_fmac_f32_e32 v12, v20, v29
	s_waitcnt vmcnt(0)
	v_fmac_f32_e32 v18, v42, v30
	v_fmac_f32_e32 v12, v43, v30
	v_fma_f32 v19, -v39, v31, v48
	v_fma_f32 v18, -v43, v31, v18
	v_fmac_f32_e32 v12, v42, v31
	v_fmac_f32_e32 v19, v40, v32
	;; [unrolled: 1-line block ×4, first 2 shown]
	v_fma_f32 v21, -v37, v33, v7
	v_fma_f32 v23, -v41, v33, v19
	;; [unrolled: 1-line block ×3, first 2 shown]
	v_fmac_f32_e32 v12, v44, v33
	s_andn2_b64 exec, exec, s[0:1]
	s_cbranch_execnz .LBB107_13
; %bb.14:
	s_or_b64 exec, exec, s[0:1]
.LBB107_15:
	s_or_b64 exec, exec, s[6:7]
.LBB107_16:
	v_mov_b32_dpp v10, v21 row_shr:1 row_mask:0xf bank_mask:0xf
	v_add_f32_e32 v10, v21, v10
	v_mov_b32_dpp v6, v22 row_shr:1 row_mask:0xf bank_mask:0xf
	v_mov_b32_dpp v8, v14 row_shr:1 row_mask:0xf bank_mask:0xf
	;; [unrolled: 1-line block ×3, first 2 shown]
	v_add_f32_e32 v10, v10, v11
	v_add_f32_e32 v6, v22, v6
	;; [unrolled: 1-line block ×3, first 2 shown]
	v_mov_b32_dpp v11, v10 row_shr:4 row_mask:0xf bank_mask:0xe
	v_add_f32_e32 v10, v10, v11
	v_mov_b32_dpp v7, v6 row_shr:2 row_mask:0xf bank_mask:0xf
	v_mov_b32_dpp v9, v8 row_shr:2 row_mask:0xf bank_mask:0xf
	;; [unrolled: 1-line block ×3, first 2 shown]
	v_add_f32_e32 v11, v10, v11
	v_mov_b32_dpp v10, v15 row_shr:1 row_mask:0xf bank_mask:0xf
	v_add_f32_e32 v10, v15, v10
	v_add_f32_e32 v6, v6, v7
	;; [unrolled: 1-line block ×3, first 2 shown]
	v_mov_b32_dpp v15, v10 row_shr:2 row_mask:0xf bank_mask:0xf
	v_add_f32_e32 v10, v10, v15
	v_mov_b32_dpp v7, v6 row_shr:4 row_mask:0xf bank_mask:0xe
	v_mov_b32_dpp v9, v8 row_shr:4 row_mask:0xf bank_mask:0xe
	;; [unrolled: 1-line block ×3, first 2 shown]
	v_add_f32_e32 v10, v10, v15
	v_add_f32_e32 v6, v6, v7
	v_add_f32_e32 v8, v8, v9
	v_mov_b32_dpp v15, v10 row_shr:8 row_mask:0xf bank_mask:0xc
	v_add_f32_e32 v15, v10, v15
	v_mov_b32_dpp v10, v23 row_shr:1 row_mask:0xf bank_mask:0xf
	v_add_f32_e32 v10, v23, v10
	v_mov_b32_dpp v7, v6 row_shr:8 row_mask:0xf bank_mask:0xc
	v_mov_b32_dpp v9, v8 row_shr:8 row_mask:0xf bank_mask:0xc
	;; [unrolled: 1-line block ×3, first 2 shown]
	v_add_f32_e32 v10, v10, v17
	v_add_f32_e32 v6, v6, v7
	;; [unrolled: 1-line block ×3, first 2 shown]
	v_mov_b32_dpp v17, v10 row_shr:4 row_mask:0xf bank_mask:0xe
	v_add_f32_e32 v10, v10, v17
	v_mov_b32_dpp v7, v6 row_bcast:15 row_mask:0xa bank_mask:0xf
	v_mov_b32_dpp v9, v8 row_bcast:15 row_mask:0xa bank_mask:0xf
	v_mov_b32_dpp v17, v10 row_shr:8 row_mask:0xf bank_mask:0xc
	v_add_f32_e32 v17, v10, v17
	v_mov_b32_dpp v10, v13 row_shr:1 row_mask:0xf bank_mask:0xf
	v_add_f32_e32 v10, v13, v10
	v_mov_b32_dpp v14, v11 row_bcast:15 row_mask:0xa bank_mask:0xf
	v_mov_b32_dpp v16, v15 row_bcast:15 row_mask:0xa bank_mask:0xf
	v_mov_b32_dpp v13, v10 row_shr:2 row_mask:0xf bank_mask:0xf
	v_add_f32_e32 v10, v10, v13
	v_mov_b32_dpp v18, v17 row_bcast:15 row_mask:0xa bank_mask:0xf
	v_cmp_eq_u32_e32 vcc, 31, v0
	v_mov_b32_dpp v13, v10 row_shr:4 row_mask:0xf bank_mask:0xe
	v_add_f32_e32 v10, v10, v13
	s_nop 1
	v_mov_b32_dpp v13, v10 row_shr:8 row_mask:0xf bank_mask:0xc
	v_add_f32_e32 v13, v10, v13
	v_mov_b32_dpp v10, v20 row_shr:1 row_mask:0xf bank_mask:0xf
	v_add_f32_e32 v10, v20, v10
	v_mov_b32_dpp v19, v13 row_bcast:15 row_mask:0xa bank_mask:0xf
	s_nop 0
	v_mov_b32_dpp v20, v10 row_shr:2 row_mask:0xf bank_mask:0xf
	v_add_f32_e32 v10, v10, v20
	s_nop 1
	v_mov_b32_dpp v20, v10 row_shr:4 row_mask:0xf bank_mask:0xe
	v_add_f32_e32 v10, v10, v20
	;; [unrolled: 3-line block ×3, first 2 shown]
	v_mov_b32_dpp v10, v12 row_shr:1 row_mask:0xf bank_mask:0xf
	v_add_f32_e32 v10, v12, v10
	v_mov_b32_dpp v21, v20 row_bcast:15 row_mask:0xa bank_mask:0xf
	s_nop 0
	v_mov_b32_dpp v12, v10 row_shr:2 row_mask:0xf bank_mask:0xf
	v_add_f32_e32 v10, v10, v12
	s_nop 1
	v_mov_b32_dpp v12, v10 row_shr:4 row_mask:0xf bank_mask:0xe
	v_add_f32_e32 v10, v10, v12
	;; [unrolled: 3-line block ×3, first 2 shown]
	s_nop 1
	v_mov_b32_dpp v23, v22 row_bcast:15 row_mask:0xa bank_mask:0xf
	s_and_b64 exec, exec, vcc
	s_cbranch_execz .LBB107_21
; %bb.17:
	s_load_dwordx2 s[2:3], s[4:5], 0x38
	v_cmp_eq_f32_e32 vcc, 0, v3
	v_cmp_eq_f32_e64 s[0:1], 0, v4
	v_add_f32_e32 v10, v6, v7
	v_add_f32_e32 v12, v8, v9
	;; [unrolled: 1-line block ×8, first 2 shown]
	s_and_b64 s[0:1], vcc, s[0:1]
	s_and_saveexec_b64 s[4:5], s[0:1]
	s_xor_b64 s[0:1], exec, s[4:5]
	s_cbranch_execz .LBB107_19
; %bb.18:
	v_lshlrev_b32_e32 v3, 2, v5
	v_ashrrev_i32_e32 v4, 31, v3
	v_lshlrev_b64 v[3:4], 3, v[3:4]
	s_waitcnt lgkmcnt(0)
	v_mov_b32_e32 v5, s3
	v_add_co_u32_e32 v17, vcc, s2, v3
	v_addc_co_u32_e32 v18, vcc, v5, v4, vcc
	v_mul_f32_e64 v3, v9, -v2
	v_mul_f32_e32 v4, v1, v9
	v_mul_f32_e64 v13, v12, -v2
	v_mul_f32_e32 v14, v1, v12
	;; [unrolled: 2-line block ×3, first 2 shown]
	v_fmac_f32_e32 v3, v1, v6
	v_fmac_f32_e32 v4, v2, v6
	v_mul_f32_e64 v5, v7, -v2
	v_mul_f32_e32 v6, v1, v7
	v_fmac_f32_e32 v13, v1, v10
	v_fmac_f32_e32 v14, v2, v10
	;; [unrolled: 1-line block ×6, first 2 shown]
	global_store_dwordx4 v[17:18], v[13:16], off
	global_store_dwordx4 v[17:18], v[3:6], off offset:16
                                        ; implicit-def: $vgpr5
                                        ; implicit-def: $vgpr10
                                        ; implicit-def: $vgpr12
                                        ; implicit-def: $vgpr8
                                        ; implicit-def: $vgpr11
                                        ; implicit-def: $vgpr6
                                        ; implicit-def: $vgpr9
                                        ; implicit-def: $vgpr0
                                        ; implicit-def: $vgpr7
                                        ; implicit-def: $vgpr1_vgpr2
                                        ; implicit-def: $vgpr3_vgpr4
.LBB107_19:
	s_andn2_saveexec_b64 s[0:1], s[0:1]
	s_cbranch_execz .LBB107_21
; %bb.20:
	v_lshlrev_b32_e32 v13, 2, v5
	v_ashrrev_i32_e32 v14, 31, v13
	v_lshlrev_b64 v[13:14], 3, v[13:14]
	s_waitcnt lgkmcnt(0)
	v_mov_b32_e32 v5, s3
	v_add_co_u32_e32 v25, vcc, s2, v13
	v_addc_co_u32_e32 v26, vcc, v5, v14, vcc
	global_load_dwordx4 v[13:16], v[25:26], off
	global_load_dwordx4 v[17:20], v[25:26], off offset:16
	v_mul_f32_e64 v5, v12, -v2
	v_mul_f32_e32 v22, v1, v12
	v_mul_f32_e64 v12, v11, -v2
	v_mul_f32_e32 v24, v1, v11
	;; [unrolled: 2-line block ×4, first 2 shown]
	v_fmac_f32_e32 v5, v1, v10
	v_fmac_f32_e32 v22, v2, v10
	v_fmac_f32_e32 v12, v1, v8
	v_fmac_f32_e32 v24, v2, v8
	v_fmac_f32_e32 v27, v1, v6
	v_fmac_f32_e32 v9, v2, v6
	v_fmac_f32_e32 v28, v1, v0
	v_fmac_f32_e32 v11, v2, v0
	s_waitcnt vmcnt(1)
	v_fmac_f32_e32 v5, v3, v13
	v_fmac_f32_e32 v22, v4, v13
	;; [unrolled: 1-line block ×4, first 2 shown]
	s_waitcnt vmcnt(0)
	v_fmac_f32_e32 v27, v3, v17
	v_fmac_f32_e32 v9, v4, v17
	;; [unrolled: 1-line block ×4, first 2 shown]
	v_fma_f32 v21, -v4, v14, v5
	v_fmac_f32_e32 v22, v3, v14
	v_fma_f32 v23, -v4, v16, v12
	v_fmac_f32_e32 v24, v3, v16
	;; [unrolled: 2-line block ×4, first 2 shown]
	global_store_dwordx4 v[25:26], v[21:24], off
	global_store_dwordx4 v[25:26], v[8:11], off offset:16
.LBB107_21:
	s_endpgm
	.section	.rodata,"a",@progbits
	.p2align	6, 0x0
	.amdhsa_kernel _ZN9rocsparseL19gebsrmvn_4xn_kernelILj128ELj8ELj32E21rocsparse_complex_numIfEEEvi20rocsparse_direction_NS_24const_host_device_scalarIT2_EEPKiS8_PKS5_SA_S6_PS5_21rocsparse_index_base_b
		.amdhsa_group_segment_fixed_size 0
		.amdhsa_private_segment_fixed_size 0
		.amdhsa_kernarg_size 72
		.amdhsa_user_sgpr_count 6
		.amdhsa_user_sgpr_private_segment_buffer 1
		.amdhsa_user_sgpr_dispatch_ptr 0
		.amdhsa_user_sgpr_queue_ptr 0
		.amdhsa_user_sgpr_kernarg_segment_ptr 1
		.amdhsa_user_sgpr_dispatch_id 0
		.amdhsa_user_sgpr_flat_scratch_init 0
		.amdhsa_user_sgpr_private_segment_size 0
		.amdhsa_uses_dynamic_stack 0
		.amdhsa_system_sgpr_private_segment_wavefront_offset 0
		.amdhsa_system_sgpr_workgroup_id_x 1
		.amdhsa_system_sgpr_workgroup_id_y 0
		.amdhsa_system_sgpr_workgroup_id_z 0
		.amdhsa_system_sgpr_workgroup_info 0
		.amdhsa_system_vgpr_workitem_id 0
		.amdhsa_next_free_vgpr 56
		.amdhsa_next_free_sgpr 16
		.amdhsa_reserve_vcc 1
		.amdhsa_reserve_flat_scratch 0
		.amdhsa_float_round_mode_32 0
		.amdhsa_float_round_mode_16_64 0
		.amdhsa_float_denorm_mode_32 3
		.amdhsa_float_denorm_mode_16_64 3
		.amdhsa_dx10_clamp 1
		.amdhsa_ieee_mode 1
		.amdhsa_fp16_overflow 0
		.amdhsa_exception_fp_ieee_invalid_op 0
		.amdhsa_exception_fp_denorm_src 0
		.amdhsa_exception_fp_ieee_div_zero 0
		.amdhsa_exception_fp_ieee_overflow 0
		.amdhsa_exception_fp_ieee_underflow 0
		.amdhsa_exception_fp_ieee_inexact 0
		.amdhsa_exception_int_div_zero 0
	.end_amdhsa_kernel
	.section	.text._ZN9rocsparseL19gebsrmvn_4xn_kernelILj128ELj8ELj32E21rocsparse_complex_numIfEEEvi20rocsparse_direction_NS_24const_host_device_scalarIT2_EEPKiS8_PKS5_SA_S6_PS5_21rocsparse_index_base_b,"axG",@progbits,_ZN9rocsparseL19gebsrmvn_4xn_kernelILj128ELj8ELj32E21rocsparse_complex_numIfEEEvi20rocsparse_direction_NS_24const_host_device_scalarIT2_EEPKiS8_PKS5_SA_S6_PS5_21rocsparse_index_base_b,comdat
.Lfunc_end107:
	.size	_ZN9rocsparseL19gebsrmvn_4xn_kernelILj128ELj8ELj32E21rocsparse_complex_numIfEEEvi20rocsparse_direction_NS_24const_host_device_scalarIT2_EEPKiS8_PKS5_SA_S6_PS5_21rocsparse_index_base_b, .Lfunc_end107-_ZN9rocsparseL19gebsrmvn_4xn_kernelILj128ELj8ELj32E21rocsparse_complex_numIfEEEvi20rocsparse_direction_NS_24const_host_device_scalarIT2_EEPKiS8_PKS5_SA_S6_PS5_21rocsparse_index_base_b
                                        ; -- End function
	.set _ZN9rocsparseL19gebsrmvn_4xn_kernelILj128ELj8ELj32E21rocsparse_complex_numIfEEEvi20rocsparse_direction_NS_24const_host_device_scalarIT2_EEPKiS8_PKS5_SA_S6_PS5_21rocsparse_index_base_b.num_vgpr, 56
	.set _ZN9rocsparseL19gebsrmvn_4xn_kernelILj128ELj8ELj32E21rocsparse_complex_numIfEEEvi20rocsparse_direction_NS_24const_host_device_scalarIT2_EEPKiS8_PKS5_SA_S6_PS5_21rocsparse_index_base_b.num_agpr, 0
	.set _ZN9rocsparseL19gebsrmvn_4xn_kernelILj128ELj8ELj32E21rocsparse_complex_numIfEEEvi20rocsparse_direction_NS_24const_host_device_scalarIT2_EEPKiS8_PKS5_SA_S6_PS5_21rocsparse_index_base_b.numbered_sgpr, 16
	.set _ZN9rocsparseL19gebsrmvn_4xn_kernelILj128ELj8ELj32E21rocsparse_complex_numIfEEEvi20rocsparse_direction_NS_24const_host_device_scalarIT2_EEPKiS8_PKS5_SA_S6_PS5_21rocsparse_index_base_b.num_named_barrier, 0
	.set _ZN9rocsparseL19gebsrmvn_4xn_kernelILj128ELj8ELj32E21rocsparse_complex_numIfEEEvi20rocsparse_direction_NS_24const_host_device_scalarIT2_EEPKiS8_PKS5_SA_S6_PS5_21rocsparse_index_base_b.private_seg_size, 0
	.set _ZN9rocsparseL19gebsrmvn_4xn_kernelILj128ELj8ELj32E21rocsparse_complex_numIfEEEvi20rocsparse_direction_NS_24const_host_device_scalarIT2_EEPKiS8_PKS5_SA_S6_PS5_21rocsparse_index_base_b.uses_vcc, 1
	.set _ZN9rocsparseL19gebsrmvn_4xn_kernelILj128ELj8ELj32E21rocsparse_complex_numIfEEEvi20rocsparse_direction_NS_24const_host_device_scalarIT2_EEPKiS8_PKS5_SA_S6_PS5_21rocsparse_index_base_b.uses_flat_scratch, 0
	.set _ZN9rocsparseL19gebsrmvn_4xn_kernelILj128ELj8ELj32E21rocsparse_complex_numIfEEEvi20rocsparse_direction_NS_24const_host_device_scalarIT2_EEPKiS8_PKS5_SA_S6_PS5_21rocsparse_index_base_b.has_dyn_sized_stack, 0
	.set _ZN9rocsparseL19gebsrmvn_4xn_kernelILj128ELj8ELj32E21rocsparse_complex_numIfEEEvi20rocsparse_direction_NS_24const_host_device_scalarIT2_EEPKiS8_PKS5_SA_S6_PS5_21rocsparse_index_base_b.has_recursion, 0
	.set _ZN9rocsparseL19gebsrmvn_4xn_kernelILj128ELj8ELj32E21rocsparse_complex_numIfEEEvi20rocsparse_direction_NS_24const_host_device_scalarIT2_EEPKiS8_PKS5_SA_S6_PS5_21rocsparse_index_base_b.has_indirect_call, 0
	.section	.AMDGPU.csdata,"",@progbits
; Kernel info:
; codeLenInByte = 3360
; TotalNumSgprs: 20
; NumVgprs: 56
; ScratchSize: 0
; MemoryBound: 0
; FloatMode: 240
; IeeeMode: 1
; LDSByteSize: 0 bytes/workgroup (compile time only)
; SGPRBlocks: 2
; VGPRBlocks: 13
; NumSGPRsForWavesPerEU: 20
; NumVGPRsForWavesPerEU: 56
; Occupancy: 4
; WaveLimiterHint : 1
; COMPUTE_PGM_RSRC2:SCRATCH_EN: 0
; COMPUTE_PGM_RSRC2:USER_SGPR: 6
; COMPUTE_PGM_RSRC2:TRAP_HANDLER: 0
; COMPUTE_PGM_RSRC2:TGID_X_EN: 1
; COMPUTE_PGM_RSRC2:TGID_Y_EN: 0
; COMPUTE_PGM_RSRC2:TGID_Z_EN: 0
; COMPUTE_PGM_RSRC2:TIDIG_COMP_CNT: 0
	.section	.text._ZN9rocsparseL19gebsrmvn_4xn_kernelILj128ELj8ELj64E21rocsparse_complex_numIfEEEvi20rocsparse_direction_NS_24const_host_device_scalarIT2_EEPKiS8_PKS5_SA_S6_PS5_21rocsparse_index_base_b,"axG",@progbits,_ZN9rocsparseL19gebsrmvn_4xn_kernelILj128ELj8ELj64E21rocsparse_complex_numIfEEEvi20rocsparse_direction_NS_24const_host_device_scalarIT2_EEPKiS8_PKS5_SA_S6_PS5_21rocsparse_index_base_b,comdat
	.globl	_ZN9rocsparseL19gebsrmvn_4xn_kernelILj128ELj8ELj64E21rocsparse_complex_numIfEEEvi20rocsparse_direction_NS_24const_host_device_scalarIT2_EEPKiS8_PKS5_SA_S6_PS5_21rocsparse_index_base_b ; -- Begin function _ZN9rocsparseL19gebsrmvn_4xn_kernelILj128ELj8ELj64E21rocsparse_complex_numIfEEEvi20rocsparse_direction_NS_24const_host_device_scalarIT2_EEPKiS8_PKS5_SA_S6_PS5_21rocsparse_index_base_b
	.p2align	8
	.type	_ZN9rocsparseL19gebsrmvn_4xn_kernelILj128ELj8ELj64E21rocsparse_complex_numIfEEEvi20rocsparse_direction_NS_24const_host_device_scalarIT2_EEPKiS8_PKS5_SA_S6_PS5_21rocsparse_index_base_b,@function
_ZN9rocsparseL19gebsrmvn_4xn_kernelILj128ELj8ELj64E21rocsparse_complex_numIfEEEvi20rocsparse_direction_NS_24const_host_device_scalarIT2_EEPKiS8_PKS5_SA_S6_PS5_21rocsparse_index_base_b: ; @_ZN9rocsparseL19gebsrmvn_4xn_kernelILj128ELj8ELj64E21rocsparse_complex_numIfEEEvi20rocsparse_direction_NS_24const_host_device_scalarIT2_EEPKiS8_PKS5_SA_S6_PS5_21rocsparse_index_base_b
; %bb.0:
	s_load_dwordx2 s[0:1], s[4:5], 0x8
	s_load_dwordx2 s[8:9], s[4:5], 0x30
	;; [unrolled: 1-line block ×3, first 2 shown]
	s_add_u32 s7, s4, 8
	s_addc_u32 s10, s5, 0
	s_add_u32 s11, s4, 48
	s_addc_u32 s12, s5, 0
	s_waitcnt lgkmcnt(0)
	s_bitcmp1_b32 s3, 0
	s_cselect_b32 s1, s10, s1
	s_cselect_b32 s0, s7, s0
	v_mov_b32_e32 v1, s0
	v_mov_b32_e32 v2, s1
	flat_load_dwordx2 v[1:2], v[1:2]
	s_cselect_b32 s0, s12, s9
	s_cselect_b32 s1, s11, s8
	v_mov_b32_e32 v3, s1
	v_mov_b32_e32 v4, s0
	flat_load_dwordx2 v[3:4], v[3:4]
	s_waitcnt vmcnt(0) lgkmcnt(0)
	v_cmp_eq_f32_e32 vcc, 0, v1
	v_cmp_eq_f32_e64 s[0:1], 0, v2
	s_and_b64 s[10:11], vcc, s[0:1]
	s_mov_b64 s[0:1], -1
	s_and_saveexec_b64 s[8:9], s[10:11]
; %bb.1:
	v_cmp_neq_f32_e32 vcc, 1.0, v3
	v_cmp_neq_f32_e64 s[0:1], 0, v4
	s_or_b64 s[0:1], vcc, s[0:1]
	s_orn2_b64 s[0:1], s[0:1], exec
; %bb.2:
	s_or_b64 exec, exec, s[8:9]
	s_and_saveexec_b64 s[8:9], s[0:1]
	s_cbranch_execz .LBB108_21
; %bb.3:
	s_load_dwordx2 s[0:1], s[4:5], 0x0
	v_lshrrev_b32_e32 v5, 6, v0
	v_lshl_or_b32 v5, s6, 1, v5
	s_waitcnt lgkmcnt(0)
	v_cmp_gt_i32_e32 vcc, s0, v5
	s_and_b64 exec, exec, vcc
	s_cbranch_execz .LBB108_21
; %bb.4:
	s_load_dwordx8 s[8:15], s[4:5], 0x10
	v_ashrrev_i32_e32 v6, 31, v5
	v_lshlrev_b64 v[6:7], 2, v[5:6]
	v_and_b32_e32 v0, 63, v0
	s_cmp_lg_u32 s1, 0
	s_waitcnt lgkmcnt(0)
	v_mov_b32_e32 v8, s9
	v_add_co_u32_e32 v6, vcc, s8, v6
	v_addc_co_u32_e32 v7, vcc, v8, v7, vcc
	global_load_dwordx2 v[6:7], v[6:7], off
	s_waitcnt vmcnt(0)
	v_subrev_u32_e32 v6, s2, v6
	v_subrev_u32_e32 v16, s2, v7
	v_add_u32_e32 v6, v6, v0
	v_cmp_lt_i32_e64 s[0:1], v6, v16
	s_cbranch_scc0 .LBB108_10
; %bb.5:
	v_mov_b32_e32 v14, 0
	v_mov_b32_e32 v22, 0
	;; [unrolled: 1-line block ×8, first 2 shown]
	s_and_saveexec_b64 s[6:7], s[0:1]
	s_cbranch_execz .LBB108_9
; %bb.6:
	v_mov_b32_e32 v8, 0
	v_lshlrev_b32_e32 v7, 5, v6
	s_mov_b64 s[8:9], 0
	v_mov_b32_e32 v17, s11
	v_mov_b32_e32 v18, s13
	v_mov_b32_e32 v19, s15
	v_mov_b32_e32 v9, v6
	v_mov_b32_e32 v14, v8
	v_mov_b32_e32 v22, v8
	v_mov_b32_e32 v20, v8
	v_mov_b32_e32 v12, v8
	v_mov_b32_e32 v23, v8
	v_mov_b32_e32 v13, v8
	v_mov_b32_e32 v21, v8
	v_mov_b32_e32 v15, v8
.LBB108_7:                              ; =>This Inner Loop Header: Depth=1
	v_lshlrev_b64 v[24:25], 3, v[7:8]
	v_ashrrev_i32_e32 v10, 31, v9
	v_lshlrev_b64 v[27:28], 2, v[9:10]
	v_add_co_u32_e32 v10, vcc, s12, v24
	v_addc_co_u32_e32 v11, vcc, v18, v25, vcc
	v_add_co_u32_e32 v24, vcc, s10, v27
	v_addc_co_u32_e32 v25, vcc, v17, v28, vcc
	global_load_dword v24, v[24:25], off
	v_mov_b32_e32 v26, v8
	v_add_u32_e32 v9, 64, v9
	v_add_u32_e32 v7, 0x800, v7
	s_waitcnt vmcnt(0)
	v_subrev_u32_e32 v24, s2, v24
	v_lshlrev_b32_e32 v25, 3, v24
	v_lshlrev_b64 v[24:25], 3, v[25:26]
	v_add_co_u32_e32 v32, vcc, s14, v24
	v_addc_co_u32_e32 v33, vcc, v19, v25, vcc
	global_load_dwordx4 v[24:27], v[10:11], off
	global_load_dwordx4 v[28:31], v[32:33], off
	v_cmp_ge_i32_e32 vcc, v9, v16
	s_or_b64 s[8:9], vcc, s[8:9]
	s_waitcnt vmcnt(0)
	v_fmac_f32_e32 v22, v24, v28
	v_fmac_f32_e32 v14, v25, v28
	;; [unrolled: 1-line block ×4, first 2 shown]
	v_fma_f32 v34, -v25, v29, v22
	v_fmac_f32_e32 v14, v24, v29
	v_fma_f32 v35, -v27, v29, v21
	v_fmac_f32_e32 v15, v26, v29
	global_load_dwordx4 v[24:27], v[10:11], off offset:16
	s_waitcnt vmcnt(0)
	v_fmac_f32_e32 v23, v24, v28
	v_fmac_f32_e32 v13, v25, v28
	;; [unrolled: 1-line block ×3, first 2 shown]
	v_fma_f32 v25, -v25, v29, v23
	v_fmac_f32_e32 v13, v24, v29
	v_fma_f32 v24, -v27, v29, v20
	global_load_dwordx4 v[20:23], v[10:11], off offset:32
	v_fmac_f32_e32 v12, v27, v28
	v_fmac_f32_e32 v12, v26, v29
	s_waitcnt vmcnt(0)
	v_fmac_f32_e32 v34, v20, v30
	v_fmac_f32_e32 v14, v21, v30
	v_fmac_f32_e32 v35, v22, v30
	v_fmac_f32_e32 v15, v23, v30
	v_fma_f32 v28, -v21, v31, v34
	v_fmac_f32_e32 v14, v20, v31
	v_fma_f32 v29, -v23, v31, v35
	v_fmac_f32_e32 v15, v22, v31
	global_load_dwordx4 v[20:23], v[10:11], off offset:48
	s_waitcnt vmcnt(0)
	v_fmac_f32_e32 v25, v20, v30
	v_fmac_f32_e32 v13, v21, v30
	v_fmac_f32_e32 v24, v22, v30
	v_fmac_f32_e32 v12, v23, v30
	v_fma_f32 v30, -v21, v31, v25
	v_fmac_f32_e32 v13, v20, v31
	v_fma_f32 v34, -v23, v31, v24
	v_fmac_f32_e32 v12, v22, v31
	global_load_dwordx4 v[20:23], v[10:11], off offset:64
	global_load_dwordx4 v[24:27], v[32:33], off offset:16
	s_waitcnt vmcnt(0)
	v_fmac_f32_e32 v28, v20, v24
	v_fmac_f32_e32 v14, v21, v24
	v_fmac_f32_e32 v29, v22, v24
	v_fmac_f32_e32 v15, v23, v24
	v_fma_f32 v28, -v21, v25, v28
	v_fmac_f32_e32 v14, v20, v25
	v_fma_f32 v29, -v23, v25, v29
	v_fmac_f32_e32 v15, v22, v25
	global_load_dwordx4 v[20:23], v[10:11], off offset:80
	s_waitcnt vmcnt(0)
	v_fmac_f32_e32 v30, v20, v24
	v_fmac_f32_e32 v13, v21, v24
	v_fmac_f32_e32 v34, v22, v24
	v_fmac_f32_e32 v12, v23, v24
	v_fma_f32 v24, -v21, v25, v30
	v_fmac_f32_e32 v13, v20, v25
	v_fma_f32 v30, -v23, v25, v34
	v_fmac_f32_e32 v12, v22, v25
	global_load_dwordx4 v[20:23], v[10:11], off offset:96
	s_waitcnt vmcnt(0)
	v_fmac_f32_e32 v28, v20, v26
	v_fmac_f32_e32 v14, v21, v26
	v_fmac_f32_e32 v29, v22, v26
	v_fmac_f32_e32 v15, v23, v26
	v_fma_f32 v28, -v21, v27, v28
	v_fmac_f32_e32 v14, v20, v27
	v_fma_f32 v29, -v23, v27, v29
	v_fmac_f32_e32 v15, v22, v27
	global_load_dwordx4 v[20:23], v[10:11], off offset:112
	s_waitcnt vmcnt(0)
	v_fmac_f32_e32 v24, v20, v26
	v_fmac_f32_e32 v13, v21, v26
	v_fmac_f32_e32 v30, v22, v26
	v_fmac_f32_e32 v12, v23, v26
	v_fma_f32 v31, -v21, v27, v24
	v_fmac_f32_e32 v13, v20, v27
	v_fma_f32 v30, -v23, v27, v30
	v_fmac_f32_e32 v12, v22, v27
	global_load_dwordx4 v[20:23], v[10:11], off offset:128
	global_load_dwordx4 v[24:27], v[32:33], off offset:32
	s_waitcnt vmcnt(0)
	v_fmac_f32_e32 v28, v20, v24
	v_fmac_f32_e32 v14, v21, v24
	v_fmac_f32_e32 v29, v22, v24
	v_fmac_f32_e32 v15, v23, v24
	v_fma_f32 v28, -v21, v25, v28
	v_fmac_f32_e32 v14, v20, v25
	v_fma_f32 v29, -v23, v25, v29
	v_fmac_f32_e32 v15, v22, v25
	global_load_dwordx4 v[20:23], v[10:11], off offset:144
	s_waitcnt vmcnt(0)
	v_fmac_f32_e32 v31, v20, v24
	v_fmac_f32_e32 v13, v21, v24
	v_fmac_f32_e32 v30, v22, v24
	v_fmac_f32_e32 v12, v23, v24
	v_fma_f32 v24, -v21, v25, v31
	v_fmac_f32_e32 v13, v20, v25
	v_fma_f32 v30, -v23, v25, v30
	v_fmac_f32_e32 v12, v22, v25
	global_load_dwordx4 v[20:23], v[10:11], off offset:160
	;; [unrolled: 41-line block ×3, first 2 shown]
	s_waitcnt vmcnt(0)
	v_fmac_f32_e32 v28, v21, v26
	v_fmac_f32_e32 v14, v22, v26
	;; [unrolled: 1-line block ×3, first 2 shown]
	v_fma_f32 v22, -v22, v27, v28
	v_fmac_f32_e32 v14, v21, v27
	v_fma_f32 v21, -v24, v27, v29
	global_load_dwordx4 v[28:31], v[10:11], off offset:240
	v_fmac_f32_e32 v15, v24, v26
	v_fmac_f32_e32 v15, v23, v27
	s_waitcnt vmcnt(0)
	v_fmac_f32_e32 v32, v28, v26
	v_fmac_f32_e32 v13, v29, v26
	v_fmac_f32_e32 v20, v30, v26
	v_fmac_f32_e32 v12, v31, v26
	v_fma_f32 v23, -v29, v27, v32
	v_fmac_f32_e32 v13, v28, v27
	v_fma_f32 v20, -v31, v27, v20
	v_fmac_f32_e32 v12, v30, v27
	s_andn2_b64 exec, exec, s[8:9]
	s_cbranch_execnz .LBB108_7
; %bb.8:
	s_or_b64 exec, exec, s[8:9]
.LBB108_9:
	s_or_b64 exec, exec, s[6:7]
	s_cbranch_execz .LBB108_11
	s_branch .LBB108_16
.LBB108_10:
                                        ; implicit-def: $vgpr14
                                        ; implicit-def: $vgpr22
                                        ; implicit-def: $vgpr20
                                        ; implicit-def: $vgpr12
                                        ; implicit-def: $vgpr23
                                        ; implicit-def: $vgpr13
                                        ; implicit-def: $vgpr21
                                        ; implicit-def: $vgpr15
.LBB108_11:
	v_mov_b32_e32 v14, 0
	v_mov_b32_e32 v22, 0
	;; [unrolled: 1-line block ×8, first 2 shown]
	s_and_saveexec_b64 s[6:7], s[0:1]
	s_cbranch_execz .LBB108_15
; %bb.12:
	v_mov_b32_e32 v9, 0
	v_lshlrev_b32_e32 v8, 5, v6
	s_mov_b64 s[0:1], 0
	v_mov_b32_e32 v10, s11
	v_mov_b32_e32 v11, s13
	;; [unrolled: 1-line block ×11, first 2 shown]
.LBB108_13:                             ; =>This Inner Loop Header: Depth=1
	v_lshlrev_b64 v[18:19], 3, v[8:9]
	v_ashrrev_i32_e32 v7, 31, v6
	v_lshlrev_b64 v[24:25], 2, v[6:7]
	v_add_co_u32_e32 v52, vcc, s12, v18
	v_addc_co_u32_e32 v53, vcc, v11, v19, vcc
	v_add_co_u32_e32 v18, vcc, s10, v24
	v_addc_co_u32_e32 v19, vcc, v10, v25, vcc
	global_load_dwordx4 v[24:27], v[52:53], off
	global_load_dwordx4 v[28:31], v[52:53], off offset:16
	global_load_dword v7, v[18:19], off
	v_mov_b32_e32 v33, v9
	v_add_u32_e32 v6, 64, v6
	v_add_u32_e32 v8, 0x800, v8
	s_waitcnt vmcnt(0)
	v_subrev_u32_e32 v7, s2, v7
	v_lshlrev_b32_e32 v32, 3, v7
	v_lshlrev_b64 v[18:19], 3, v[32:33]
	v_add_co_u32_e32 v54, vcc, s14, v18
	v_addc_co_u32_e32 v55, vcc, v17, v19, vcc
	global_load_dwordx4 v[32:35], v[54:55], off
	global_load_dwordx4 v[36:39], v[54:55], off offset:16
	v_cmp_ge_i32_e32 vcc, v6, v16
	s_or_b64 s[0:1], vcc, s[0:1]
	s_waitcnt vmcnt(1)
	v_fmac_f32_e32 v22, v24, v32
	v_fmac_f32_e32 v14, v25, v32
	v_fma_f32 v7, -v25, v33, v22
	v_fmac_f32_e32 v14, v24, v33
	v_fmac_f32_e32 v7, v26, v34
	;; [unrolled: 1-line block ×3, first 2 shown]
	v_fma_f32 v7, -v27, v35, v7
	v_fmac_f32_e32 v14, v26, v35
	global_load_dwordx4 v[24:27], v[52:53], off offset:64
	global_load_dwordx4 v[40:43], v[52:53], off offset:80
	s_waitcnt vmcnt(2)
	v_fmac_f32_e32 v7, v28, v36
	v_fmac_f32_e32 v14, v29, v36
	v_fma_f32 v7, -v29, v37, v7
	v_fmac_f32_e32 v14, v28, v37
	v_fmac_f32_e32 v7, v30, v38
	;; [unrolled: 1-line block ×3, first 2 shown]
	v_fma_f32 v7, -v31, v39, v7
	v_fmac_f32_e32 v14, v30, v39
	s_waitcnt vmcnt(1)
	v_fmac_f32_e32 v21, v24, v32
	v_fmac_f32_e32 v15, v25, v32
	v_fma_f32 v18, -v25, v33, v21
	v_fmac_f32_e32 v15, v24, v33
	v_fmac_f32_e32 v18, v26, v34
	;; [unrolled: 1-line block ×3, first 2 shown]
	v_fma_f32 v18, -v27, v35, v18
	v_fmac_f32_e32 v15, v26, v35
	global_load_dwordx4 v[24:27], v[52:53], off offset:128
	global_load_dwordx4 v[44:47], v[52:53], off offset:144
	s_waitcnt vmcnt(2)
	v_fmac_f32_e32 v18, v40, v36
	v_fma_f32 v18, -v41, v37, v18
	v_fmac_f32_e32 v15, v41, v36
	v_fmac_f32_e32 v18, v42, v38
	;; [unrolled: 1-line block ×3, first 2 shown]
	v_fma_f32 v40, -v43, v39, v18
	v_fmac_f32_e32 v15, v43, v38
	v_fmac_f32_e32 v15, v42, v39
	s_waitcnt vmcnt(1)
	v_fmac_f32_e32 v23, v24, v32
	v_fmac_f32_e32 v13, v25, v32
	v_fma_f32 v19, -v25, v33, v23
	v_fmac_f32_e32 v13, v24, v33
	global_load_dwordx4 v[21:24], v[52:53], off offset:192
	global_load_dwordx4 v[48:51], v[52:53], off offset:208
	v_fmac_f32_e32 v19, v26, v34
	v_fmac_f32_e32 v13, v27, v34
	v_fma_f32 v19, -v27, v35, v19
	v_fmac_f32_e32 v13, v26, v35
	s_waitcnt vmcnt(2)
	v_fmac_f32_e32 v19, v44, v36
	v_fmac_f32_e32 v13, v45, v36
	v_fma_f32 v18, -v45, v37, v19
	v_fmac_f32_e32 v13, v44, v37
	v_fmac_f32_e32 v18, v46, v38
	;; [unrolled: 1-line block ×3, first 2 shown]
	v_fma_f32 v42, -v47, v39, v18
	v_fmac_f32_e32 v13, v46, v39
	s_waitcnt vmcnt(1)
	v_fmac_f32_e32 v20, v21, v32
	v_fma_f32 v20, -v22, v33, v20
	v_fmac_f32_e32 v20, v23, v34
	v_fmac_f32_e32 v12, v22, v32
	v_fma_f32 v22, -v24, v35, v20
	s_waitcnt vmcnt(0)
	v_fmac_f32_e32 v22, v48, v36
	v_fmac_f32_e32 v12, v21, v33
	v_fma_f32 v22, -v49, v37, v22
	v_fmac_f32_e32 v12, v24, v34
	global_load_dwordx4 v[18:21], v[52:53], off offset:32
	v_fmac_f32_e32 v22, v50, v38
	v_fmac_f32_e32 v12, v23, v35
	v_fma_f32 v46, -v51, v39, v22
	global_load_dwordx4 v[22:25], v[52:53], off offset:48
	global_load_dwordx4 v[26:29], v[54:55], off offset:32
	;; [unrolled: 1-line block ×3, first 2 shown]
	v_fmac_f32_e32 v12, v49, v36
	v_fmac_f32_e32 v12, v48, v37
	;; [unrolled: 1-line block ×4, first 2 shown]
	s_waitcnt vmcnt(1)
	v_fmac_f32_e32 v7, v18, v26
	v_fmac_f32_e32 v14, v19, v26
	v_fma_f32 v7, -v19, v27, v7
	v_fmac_f32_e32 v14, v18, v27
	v_fmac_f32_e32 v7, v20, v28
	;; [unrolled: 1-line block ×3, first 2 shown]
	v_fma_f32 v7, -v21, v29, v7
	v_fmac_f32_e32 v14, v20, v29
	global_load_dwordx4 v[18:21], v[52:53], off offset:96
	global_load_dwordx4 v[34:37], v[52:53], off offset:112
	s_waitcnt vmcnt(2)
	v_fmac_f32_e32 v7, v22, v30
	v_fma_f32 v7, -v23, v31, v7
	v_fmac_f32_e32 v14, v23, v30
	v_fmac_f32_e32 v7, v24, v32
	;; [unrolled: 1-line block ×3, first 2 shown]
	v_fma_f32 v22, -v25, v33, v7
	v_fmac_f32_e32 v14, v25, v32
	v_fmac_f32_e32 v14, v24, v33
	s_waitcnt vmcnt(1)
	v_fmac_f32_e32 v40, v18, v26
	v_fmac_f32_e32 v15, v19, v26
	v_fma_f32 v19, -v19, v27, v40
	v_fmac_f32_e32 v15, v18, v27
	v_fmac_f32_e32 v19, v20, v28
	;; [unrolled: 1-line block ×3, first 2 shown]
	v_fma_f32 v47, -v21, v29, v19
	v_fmac_f32_e32 v15, v20, v29
	global_load_dwordx4 v[18:21], v[52:53], off offset:160
	global_load_dwordx4 v[38:41], v[52:53], off offset:176
	s_waitcnt vmcnt(2)
	v_fmac_f32_e32 v47, v34, v30
	v_fmac_f32_e32 v15, v35, v30
	v_fma_f32 v7, -v35, v31, v47
	v_fmac_f32_e32 v15, v34, v31
	v_fmac_f32_e32 v7, v36, v32
	;; [unrolled: 1-line block ×4, first 2 shown]
	s_waitcnt vmcnt(1)
	v_fmac_f32_e32 v42, v18, v26
	v_fmac_f32_e32 v13, v19, v26
	v_fma_f32 v19, -v19, v27, v42
	v_fmac_f32_e32 v13, v18, v27
	v_fmac_f32_e32 v19, v20, v28
	;; [unrolled: 1-line block ×3, first 2 shown]
	v_fma_f32 v48, -v21, v29, v19
	v_fmac_f32_e32 v13, v20, v29
	global_load_dwordx4 v[18:21], v[52:53], off offset:224
	global_load_dwordx4 v[42:45], v[52:53], off offset:240
	s_waitcnt vmcnt(2)
	v_fmac_f32_e32 v48, v38, v30
	v_fmac_f32_e32 v13, v39, v30
	;; [unrolled: 1-line block ×5, first 2 shown]
	s_waitcnt vmcnt(1)
	v_fmac_f32_e32 v46, v18, v26
	v_fmac_f32_e32 v12, v19, v26
	v_fma_f32 v19, -v19, v27, v46
	v_fmac_f32_e32 v12, v18, v27
	v_fmac_f32_e32 v19, v20, v28
	;; [unrolled: 1-line block ×3, first 2 shown]
	v_fma_f32 v18, -v21, v29, v19
	v_fmac_f32_e32 v12, v20, v29
	s_waitcnt vmcnt(0)
	v_fmac_f32_e32 v18, v42, v30
	v_fmac_f32_e32 v12, v43, v30
	v_fma_f32 v19, -v39, v31, v48
	v_fma_f32 v18, -v43, v31, v18
	v_fmac_f32_e32 v12, v42, v31
	v_fmac_f32_e32 v19, v40, v32
	;; [unrolled: 1-line block ×4, first 2 shown]
	v_fma_f32 v21, -v37, v33, v7
	v_fma_f32 v23, -v41, v33, v19
	;; [unrolled: 1-line block ×3, first 2 shown]
	v_fmac_f32_e32 v12, v44, v33
	s_andn2_b64 exec, exec, s[0:1]
	s_cbranch_execnz .LBB108_13
; %bb.14:
	s_or_b64 exec, exec, s[0:1]
.LBB108_15:
	s_or_b64 exec, exec, s[6:7]
.LBB108_16:
	v_mov_b32_dpp v10, v21 row_shr:1 row_mask:0xf bank_mask:0xf
	v_add_f32_e32 v10, v21, v10
	v_mov_b32_dpp v6, v22 row_shr:1 row_mask:0xf bank_mask:0xf
	v_mov_b32_dpp v8, v14 row_shr:1 row_mask:0xf bank_mask:0xf
	;; [unrolled: 1-line block ×3, first 2 shown]
	v_add_f32_e32 v10, v10, v11
	v_add_f32_e32 v6, v22, v6
	;; [unrolled: 1-line block ×3, first 2 shown]
	v_mov_b32_dpp v11, v10 row_shr:4 row_mask:0xf bank_mask:0xe
	v_add_f32_e32 v10, v10, v11
	v_mov_b32_dpp v7, v6 row_shr:2 row_mask:0xf bank_mask:0xf
	v_mov_b32_dpp v9, v8 row_shr:2 row_mask:0xf bank_mask:0xf
	;; [unrolled: 1-line block ×3, first 2 shown]
	v_add_f32_e32 v10, v10, v11
	v_add_f32_e32 v6, v6, v7
	;; [unrolled: 1-line block ×3, first 2 shown]
	v_mov_b32_dpp v11, v10 row_bcast:15 row_mask:0xa bank_mask:0xf
	v_add_f32_e32 v11, v10, v11
	v_mov_b32_dpp v10, v15 row_shr:1 row_mask:0xf bank_mask:0xf
	v_add_f32_e32 v10, v15, v10
	v_mov_b32_dpp v7, v6 row_shr:4 row_mask:0xf bank_mask:0xe
	v_mov_b32_dpp v9, v8 row_shr:4 row_mask:0xf bank_mask:0xe
	v_mov_b32_dpp v15, v10 row_shr:2 row_mask:0xf bank_mask:0xf
	v_add_f32_e32 v10, v10, v15
	v_add_f32_e32 v6, v6, v7
	;; [unrolled: 1-line block ×3, first 2 shown]
	v_mov_b32_dpp v15, v10 row_shr:4 row_mask:0xf bank_mask:0xe
	v_add_f32_e32 v10, v10, v15
	v_mov_b32_dpp v7, v6 row_shr:8 row_mask:0xf bank_mask:0xc
	v_mov_b32_dpp v9, v8 row_shr:8 row_mask:0xf bank_mask:0xc
	;; [unrolled: 1-line block ×3, first 2 shown]
	v_add_f32_e32 v10, v10, v15
	v_add_f32_e32 v6, v6, v7
	;; [unrolled: 1-line block ×3, first 2 shown]
	v_mov_b32_dpp v15, v10 row_bcast:15 row_mask:0xa bank_mask:0xf
	v_add_f32_e32 v15, v10, v15
	v_mov_b32_dpp v10, v23 row_shr:1 row_mask:0xf bank_mask:0xf
	v_add_f32_e32 v10, v23, v10
	v_mov_b32_dpp v7, v6 row_bcast:15 row_mask:0xa bank_mask:0xf
	v_mov_b32_dpp v9, v8 row_bcast:15 row_mask:0xa bank_mask:0xf
	v_mov_b32_dpp v17, v10 row_shr:2 row_mask:0xf bank_mask:0xf
	v_add_f32_e32 v10, v10, v17
	v_add_f32_e32 v6, v6, v7
	;; [unrolled: 1-line block ×3, first 2 shown]
	v_mov_b32_dpp v17, v10 row_shr:4 row_mask:0xf bank_mask:0xe
	v_add_f32_e32 v10, v10, v17
	v_mov_b32_dpp v7, v6 row_bcast:31 row_mask:0xc bank_mask:0xf
	v_mov_b32_dpp v9, v8 row_bcast:31 row_mask:0xc bank_mask:0xf
	v_mov_b32_dpp v17, v10 row_shr:8 row_mask:0xf bank_mask:0xc
	v_add_f32_e32 v10, v10, v17
	v_mov_b32_dpp v14, v11 row_bcast:31 row_mask:0xc bank_mask:0xf
	v_mov_b32_dpp v16, v15 row_bcast:31 row_mask:0xc bank_mask:0xf
	;; [unrolled: 1-line block ×3, first 2 shown]
	v_add_f32_e32 v17, v10, v17
	v_mov_b32_dpp v10, v13 row_shr:1 row_mask:0xf bank_mask:0xf
	v_add_f32_e32 v10, v13, v10
	v_mov_b32_dpp v18, v17 row_bcast:31 row_mask:0xc bank_mask:0xf
	v_cmp_eq_u32_e32 vcc, 63, v0
	v_mov_b32_dpp v13, v10 row_shr:2 row_mask:0xf bank_mask:0xf
	v_add_f32_e32 v10, v10, v13
	s_nop 1
	v_mov_b32_dpp v13, v10 row_shr:4 row_mask:0xf bank_mask:0xe
	v_add_f32_e32 v10, v10, v13
	s_nop 1
	;; [unrolled: 3-line block ×3, first 2 shown]
	v_mov_b32_dpp v13, v10 row_bcast:15 row_mask:0xa bank_mask:0xf
	v_add_f32_e32 v13, v10, v13
	v_mov_b32_dpp v10, v20 row_shr:1 row_mask:0xf bank_mask:0xf
	v_add_f32_e32 v10, v20, v10
	v_mov_b32_dpp v19, v13 row_bcast:31 row_mask:0xc bank_mask:0xf
	s_nop 0
	v_mov_b32_dpp v20, v10 row_shr:2 row_mask:0xf bank_mask:0xf
	v_add_f32_e32 v10, v10, v20
	s_nop 1
	v_mov_b32_dpp v20, v10 row_shr:4 row_mask:0xf bank_mask:0xe
	v_add_f32_e32 v10, v10, v20
	;; [unrolled: 3-line block ×3, first 2 shown]
	s_nop 1
	v_mov_b32_dpp v20, v10 row_bcast:15 row_mask:0xa bank_mask:0xf
	v_add_f32_e32 v20, v10, v20
	v_mov_b32_dpp v10, v12 row_shr:1 row_mask:0xf bank_mask:0xf
	v_add_f32_e32 v10, v12, v10
	v_mov_b32_dpp v21, v20 row_bcast:31 row_mask:0xc bank_mask:0xf
	s_nop 0
	v_mov_b32_dpp v12, v10 row_shr:2 row_mask:0xf bank_mask:0xf
	v_add_f32_e32 v10, v10, v12
	s_nop 1
	v_mov_b32_dpp v12, v10 row_shr:4 row_mask:0xf bank_mask:0xe
	v_add_f32_e32 v10, v10, v12
	s_nop 1
	v_mov_b32_dpp v12, v10 row_shr:8 row_mask:0xf bank_mask:0xc
	v_add_f32_e32 v10, v10, v12
	s_nop 1
	v_mov_b32_dpp v12, v10 row_bcast:15 row_mask:0xa bank_mask:0xf
	v_add_f32_e32 v22, v10, v12
	s_nop 1
	v_mov_b32_dpp v23, v22 row_bcast:31 row_mask:0xc bank_mask:0xf
	s_and_b64 exec, exec, vcc
	s_cbranch_execz .LBB108_21
; %bb.17:
	s_load_dwordx2 s[2:3], s[4:5], 0x38
	v_cmp_eq_f32_e32 vcc, 0, v3
	v_cmp_eq_f32_e64 s[0:1], 0, v4
	v_add_f32_e32 v10, v6, v7
	v_add_f32_e32 v12, v8, v9
	;; [unrolled: 1-line block ×8, first 2 shown]
	s_and_b64 s[0:1], vcc, s[0:1]
	s_and_saveexec_b64 s[4:5], s[0:1]
	s_xor_b64 s[0:1], exec, s[4:5]
	s_cbranch_execz .LBB108_19
; %bb.18:
	v_lshlrev_b32_e32 v3, 2, v5
	v_ashrrev_i32_e32 v4, 31, v3
	v_lshlrev_b64 v[3:4], 3, v[3:4]
	s_waitcnt lgkmcnt(0)
	v_mov_b32_e32 v5, s3
	v_add_co_u32_e32 v17, vcc, s2, v3
	v_addc_co_u32_e32 v18, vcc, v5, v4, vcc
	v_mul_f32_e64 v3, v9, -v2
	v_mul_f32_e32 v4, v1, v9
	v_mul_f32_e64 v13, v12, -v2
	v_mul_f32_e32 v14, v1, v12
	v_mul_f32_e64 v15, v11, -v2
	v_mul_f32_e32 v16, v1, v11
	v_fmac_f32_e32 v3, v1, v6
	v_fmac_f32_e32 v4, v2, v6
	v_mul_f32_e64 v5, v7, -v2
	v_mul_f32_e32 v6, v1, v7
	v_fmac_f32_e32 v13, v1, v10
	v_fmac_f32_e32 v14, v2, v10
	;; [unrolled: 1-line block ×6, first 2 shown]
	global_store_dwordx4 v[17:18], v[13:16], off
	global_store_dwordx4 v[17:18], v[3:6], off offset:16
                                        ; implicit-def: $vgpr5
                                        ; implicit-def: $vgpr10
                                        ; implicit-def: $vgpr12
                                        ; implicit-def: $vgpr8
                                        ; implicit-def: $vgpr11
                                        ; implicit-def: $vgpr6
                                        ; implicit-def: $vgpr9
                                        ; implicit-def: $vgpr0
                                        ; implicit-def: $vgpr7
                                        ; implicit-def: $vgpr1_vgpr2
                                        ; implicit-def: $vgpr3_vgpr4
.LBB108_19:
	s_andn2_saveexec_b64 s[0:1], s[0:1]
	s_cbranch_execz .LBB108_21
; %bb.20:
	v_lshlrev_b32_e32 v13, 2, v5
	v_ashrrev_i32_e32 v14, 31, v13
	v_lshlrev_b64 v[13:14], 3, v[13:14]
	s_waitcnt lgkmcnt(0)
	v_mov_b32_e32 v5, s3
	v_add_co_u32_e32 v25, vcc, s2, v13
	v_addc_co_u32_e32 v26, vcc, v5, v14, vcc
	global_load_dwordx4 v[13:16], v[25:26], off
	global_load_dwordx4 v[17:20], v[25:26], off offset:16
	v_mul_f32_e64 v5, v12, -v2
	v_mul_f32_e32 v22, v1, v12
	v_mul_f32_e64 v12, v11, -v2
	v_mul_f32_e32 v24, v1, v11
	;; [unrolled: 2-line block ×4, first 2 shown]
	v_fmac_f32_e32 v5, v1, v10
	v_fmac_f32_e32 v22, v2, v10
	;; [unrolled: 1-line block ×8, first 2 shown]
	s_waitcnt vmcnt(1)
	v_fmac_f32_e32 v5, v3, v13
	v_fmac_f32_e32 v22, v4, v13
	;; [unrolled: 1-line block ×4, first 2 shown]
	s_waitcnt vmcnt(0)
	v_fmac_f32_e32 v27, v3, v17
	v_fmac_f32_e32 v9, v4, v17
	v_fmac_f32_e32 v28, v3, v19
	v_fmac_f32_e32 v11, v4, v19
	v_fma_f32 v21, -v4, v14, v5
	v_fmac_f32_e32 v22, v3, v14
	v_fma_f32 v23, -v4, v16, v12
	v_fmac_f32_e32 v24, v3, v16
	;; [unrolled: 2-line block ×4, first 2 shown]
	global_store_dwordx4 v[25:26], v[21:24], off
	global_store_dwordx4 v[25:26], v[8:11], off offset:16
.LBB108_21:
	s_endpgm
	.section	.rodata,"a",@progbits
	.p2align	6, 0x0
	.amdhsa_kernel _ZN9rocsparseL19gebsrmvn_4xn_kernelILj128ELj8ELj64E21rocsparse_complex_numIfEEEvi20rocsparse_direction_NS_24const_host_device_scalarIT2_EEPKiS8_PKS5_SA_S6_PS5_21rocsparse_index_base_b
		.amdhsa_group_segment_fixed_size 0
		.amdhsa_private_segment_fixed_size 0
		.amdhsa_kernarg_size 72
		.amdhsa_user_sgpr_count 6
		.amdhsa_user_sgpr_private_segment_buffer 1
		.amdhsa_user_sgpr_dispatch_ptr 0
		.amdhsa_user_sgpr_queue_ptr 0
		.amdhsa_user_sgpr_kernarg_segment_ptr 1
		.amdhsa_user_sgpr_dispatch_id 0
		.amdhsa_user_sgpr_flat_scratch_init 0
		.amdhsa_user_sgpr_private_segment_size 0
		.amdhsa_uses_dynamic_stack 0
		.amdhsa_system_sgpr_private_segment_wavefront_offset 0
		.amdhsa_system_sgpr_workgroup_id_x 1
		.amdhsa_system_sgpr_workgroup_id_y 0
		.amdhsa_system_sgpr_workgroup_id_z 0
		.amdhsa_system_sgpr_workgroup_info 0
		.amdhsa_system_vgpr_workitem_id 0
		.amdhsa_next_free_vgpr 56
		.amdhsa_next_free_sgpr 16
		.amdhsa_reserve_vcc 1
		.amdhsa_reserve_flat_scratch 0
		.amdhsa_float_round_mode_32 0
		.amdhsa_float_round_mode_16_64 0
		.amdhsa_float_denorm_mode_32 3
		.amdhsa_float_denorm_mode_16_64 3
		.amdhsa_dx10_clamp 1
		.amdhsa_ieee_mode 1
		.amdhsa_fp16_overflow 0
		.amdhsa_exception_fp_ieee_invalid_op 0
		.amdhsa_exception_fp_denorm_src 0
		.amdhsa_exception_fp_ieee_div_zero 0
		.amdhsa_exception_fp_ieee_overflow 0
		.amdhsa_exception_fp_ieee_underflow 0
		.amdhsa_exception_fp_ieee_inexact 0
		.amdhsa_exception_int_div_zero 0
	.end_amdhsa_kernel
	.section	.text._ZN9rocsparseL19gebsrmvn_4xn_kernelILj128ELj8ELj64E21rocsparse_complex_numIfEEEvi20rocsparse_direction_NS_24const_host_device_scalarIT2_EEPKiS8_PKS5_SA_S6_PS5_21rocsparse_index_base_b,"axG",@progbits,_ZN9rocsparseL19gebsrmvn_4xn_kernelILj128ELj8ELj64E21rocsparse_complex_numIfEEEvi20rocsparse_direction_NS_24const_host_device_scalarIT2_EEPKiS8_PKS5_SA_S6_PS5_21rocsparse_index_base_b,comdat
.Lfunc_end108:
	.size	_ZN9rocsparseL19gebsrmvn_4xn_kernelILj128ELj8ELj64E21rocsparse_complex_numIfEEEvi20rocsparse_direction_NS_24const_host_device_scalarIT2_EEPKiS8_PKS5_SA_S6_PS5_21rocsparse_index_base_b, .Lfunc_end108-_ZN9rocsparseL19gebsrmvn_4xn_kernelILj128ELj8ELj64E21rocsparse_complex_numIfEEEvi20rocsparse_direction_NS_24const_host_device_scalarIT2_EEPKiS8_PKS5_SA_S6_PS5_21rocsparse_index_base_b
                                        ; -- End function
	.set _ZN9rocsparseL19gebsrmvn_4xn_kernelILj128ELj8ELj64E21rocsparse_complex_numIfEEEvi20rocsparse_direction_NS_24const_host_device_scalarIT2_EEPKiS8_PKS5_SA_S6_PS5_21rocsparse_index_base_b.num_vgpr, 56
	.set _ZN9rocsparseL19gebsrmvn_4xn_kernelILj128ELj8ELj64E21rocsparse_complex_numIfEEEvi20rocsparse_direction_NS_24const_host_device_scalarIT2_EEPKiS8_PKS5_SA_S6_PS5_21rocsparse_index_base_b.num_agpr, 0
	.set _ZN9rocsparseL19gebsrmvn_4xn_kernelILj128ELj8ELj64E21rocsparse_complex_numIfEEEvi20rocsparse_direction_NS_24const_host_device_scalarIT2_EEPKiS8_PKS5_SA_S6_PS5_21rocsparse_index_base_b.numbered_sgpr, 16
	.set _ZN9rocsparseL19gebsrmvn_4xn_kernelILj128ELj8ELj64E21rocsparse_complex_numIfEEEvi20rocsparse_direction_NS_24const_host_device_scalarIT2_EEPKiS8_PKS5_SA_S6_PS5_21rocsparse_index_base_b.num_named_barrier, 0
	.set _ZN9rocsparseL19gebsrmvn_4xn_kernelILj128ELj8ELj64E21rocsparse_complex_numIfEEEvi20rocsparse_direction_NS_24const_host_device_scalarIT2_EEPKiS8_PKS5_SA_S6_PS5_21rocsparse_index_base_b.private_seg_size, 0
	.set _ZN9rocsparseL19gebsrmvn_4xn_kernelILj128ELj8ELj64E21rocsparse_complex_numIfEEEvi20rocsparse_direction_NS_24const_host_device_scalarIT2_EEPKiS8_PKS5_SA_S6_PS5_21rocsparse_index_base_b.uses_vcc, 1
	.set _ZN9rocsparseL19gebsrmvn_4xn_kernelILj128ELj8ELj64E21rocsparse_complex_numIfEEEvi20rocsparse_direction_NS_24const_host_device_scalarIT2_EEPKiS8_PKS5_SA_S6_PS5_21rocsparse_index_base_b.uses_flat_scratch, 0
	.set _ZN9rocsparseL19gebsrmvn_4xn_kernelILj128ELj8ELj64E21rocsparse_complex_numIfEEEvi20rocsparse_direction_NS_24const_host_device_scalarIT2_EEPKiS8_PKS5_SA_S6_PS5_21rocsparse_index_base_b.has_dyn_sized_stack, 0
	.set _ZN9rocsparseL19gebsrmvn_4xn_kernelILj128ELj8ELj64E21rocsparse_complex_numIfEEEvi20rocsparse_direction_NS_24const_host_device_scalarIT2_EEPKiS8_PKS5_SA_S6_PS5_21rocsparse_index_base_b.has_recursion, 0
	.set _ZN9rocsparseL19gebsrmvn_4xn_kernelILj128ELj8ELj64E21rocsparse_complex_numIfEEEvi20rocsparse_direction_NS_24const_host_device_scalarIT2_EEPKiS8_PKS5_SA_S6_PS5_21rocsparse_index_base_b.has_indirect_call, 0
	.section	.AMDGPU.csdata,"",@progbits
; Kernel info:
; codeLenInByte = 3472
; TotalNumSgprs: 20
; NumVgprs: 56
; ScratchSize: 0
; MemoryBound: 0
; FloatMode: 240
; IeeeMode: 1
; LDSByteSize: 0 bytes/workgroup (compile time only)
; SGPRBlocks: 2
; VGPRBlocks: 13
; NumSGPRsForWavesPerEU: 20
; NumVGPRsForWavesPerEU: 56
; Occupancy: 4
; WaveLimiterHint : 1
; COMPUTE_PGM_RSRC2:SCRATCH_EN: 0
; COMPUTE_PGM_RSRC2:USER_SGPR: 6
; COMPUTE_PGM_RSRC2:TRAP_HANDLER: 0
; COMPUTE_PGM_RSRC2:TGID_X_EN: 1
; COMPUTE_PGM_RSRC2:TGID_Y_EN: 0
; COMPUTE_PGM_RSRC2:TGID_Z_EN: 0
; COMPUTE_PGM_RSRC2:TIDIG_COMP_CNT: 0
	.section	.text._ZN9rocsparseL23gebsrmvn_general_kernelILj64ELj16E21rocsparse_complex_numIfEEEvi20rocsparse_direction_NS_24const_host_device_scalarIT1_EEPKiS8_PKS5_iiSA_S6_PS5_21rocsparse_index_base_b,"axG",@progbits,_ZN9rocsparseL23gebsrmvn_general_kernelILj64ELj16E21rocsparse_complex_numIfEEEvi20rocsparse_direction_NS_24const_host_device_scalarIT1_EEPKiS8_PKS5_iiSA_S6_PS5_21rocsparse_index_base_b,comdat
	.globl	_ZN9rocsparseL23gebsrmvn_general_kernelILj64ELj16E21rocsparse_complex_numIfEEEvi20rocsparse_direction_NS_24const_host_device_scalarIT1_EEPKiS8_PKS5_iiSA_S6_PS5_21rocsparse_index_base_b ; -- Begin function _ZN9rocsparseL23gebsrmvn_general_kernelILj64ELj16E21rocsparse_complex_numIfEEEvi20rocsparse_direction_NS_24const_host_device_scalarIT1_EEPKiS8_PKS5_iiSA_S6_PS5_21rocsparse_index_base_b
	.p2align	8
	.type	_ZN9rocsparseL23gebsrmvn_general_kernelILj64ELj16E21rocsparse_complex_numIfEEEvi20rocsparse_direction_NS_24const_host_device_scalarIT1_EEPKiS8_PKS5_iiSA_S6_PS5_21rocsparse_index_base_b,@function
_ZN9rocsparseL23gebsrmvn_general_kernelILj64ELj16E21rocsparse_complex_numIfEEEvi20rocsparse_direction_NS_24const_host_device_scalarIT1_EEPKiS8_PKS5_iiSA_S6_PS5_21rocsparse_index_base_b: ; @_ZN9rocsparseL23gebsrmvn_general_kernelILj64ELj16E21rocsparse_complex_numIfEEEvi20rocsparse_direction_NS_24const_host_device_scalarIT1_EEPKiS8_PKS5_iiSA_S6_PS5_21rocsparse_index_base_b
; %bb.0:
	s_load_dwordx2 s[0:1], s[4:5], 0x8
	s_load_dwordx2 s[2:3], s[4:5], 0x38
	;; [unrolled: 1-line block ×3, first 2 shown]
	s_add_u32 s7, s4, 8
	s_addc_u32 s8, s5, 0
	s_add_u32 s9, s4, 56
	s_addc_u32 s10, s5, 0
	s_waitcnt lgkmcnt(0)
	s_bitcmp1_b32 s13, 0
	s_cselect_b32 s1, s8, s1
	s_cselect_b32 s0, s7, s0
	v_mov_b32_e32 v1, s0
	v_mov_b32_e32 v2, s1
	flat_load_dwordx2 v[1:2], v[1:2]
	s_cselect_b32 s0, s10, s3
	s_cselect_b32 s1, s9, s2
	v_mov_b32_e32 v3, s1
	v_mov_b32_e32 v4, s0
	flat_load_dwordx2 v[3:4], v[3:4]
	s_waitcnt vmcnt(0) lgkmcnt(0)
	v_cmp_eq_f32_e32 vcc, 0, v1
	v_cmp_eq_f32_e64 s[0:1], 0, v2
	s_and_b64 s[8:9], vcc, s[0:1]
	s_mov_b64 s[0:1], -1
	s_and_saveexec_b64 s[2:3], s[8:9]
; %bb.1:
	v_cmp_neq_f32_e32 vcc, 1.0, v3
	v_cmp_neq_f32_e64 s[0:1], 0, v4
	s_or_b64 s[0:1], vcc, s[0:1]
	s_orn2_b64 s[0:1], s[0:1], exec
; %bb.2:
	s_or_b64 exec, exec, s[2:3]
	s_and_saveexec_b64 s[2:3], s[0:1]
	s_cbranch_execz .LBB109_22
; %bb.3:
	s_load_dwordx2 s[14:15], s[4:5], 0x28
	v_lshrrev_b32_e32 v5, 4, v0
	s_waitcnt lgkmcnt(0)
	v_cmp_gt_i32_e32 vcc, s14, v5
	s_and_b64 exec, exec, vcc
	s_cbranch_execz .LBB109_22
; %bb.4:
	s_load_dwordx4 s[8:11], s[4:5], 0x10
	s_load_dword s20, s[4:5], 0x4
	s_ashr_i32 s7, s6, 31
	s_lshl_b64 s[0:1], s[6:7], 2
	v_cmp_eq_f32_e32 vcc, 0, v3
	s_waitcnt lgkmcnt(0)
	s_add_u32 s0, s8, s0
	s_addc_u32 s1, s9, s1
	s_load_dwordx2 s[2:3], s[0:1], 0x0
	s_load_dwordx2 s[8:9], s[4:5], 0x20
	;; [unrolled: 1-line block ×4, first 2 shown]
	v_cmp_eq_f32_e64 s[4:5], 0, v4
	s_waitcnt lgkmcnt(0)
	s_sub_i32 s13, s2, s12
	s_sub_i32 s33, s3, s12
	s_cmp_lt_i32 s2, s3
	s_cselect_b64 s[24:25], -1, 0
	s_cmp_lg_u32 s20, 0
	s_cselect_b64 s[20:21], -1, 0
	s_and_b64 s[22:23], vcc, s[4:5]
	s_mul_i32 s4, s14, s13
	v_add_u32_e32 v6, s4, v5
	v_mul_lo_u32 v10, s15, v6
	v_and_b32_e32 v0, 15, v0
	v_cndmask_b32_e64 v6, 0, 1, s[24:25]
	v_cmp_gt_i32_e64 s[0:1], s15, v0
	v_cmp_eq_u32_e64 s[2:3], 15, v0
	s_mul_i32 s34, s14, s6
	s_lshl_b32 s35, s15, 2
	s_mul_i32 s36, s15, s14
	s_mov_b64 s[6:7], 0
	v_cmp_ne_u32_e64 s[4:5], 1, v6
	s_branch .LBB109_6
.LBB109_5:                              ;   in Loop: Header=BB109_6 Depth=1
	s_or_b64 exec, exec, s[24:25]
	v_add_u32_e32 v5, 4, v5
	v_cmp_le_i32_e32 vcc, s14, v5
	s_or_b64 s[6:7], vcc, s[6:7]
	v_add_u32_e32 v10, s35, v10
	s_andn2_b64 exec, exec, s[6:7]
	s_cbranch_execz .LBB109_22
.LBB109_6:                              ; =>This Loop Header: Depth=1
                                        ;     Child Loop BB109_10 Depth 2
                                        ;       Child Loop BB109_13 Depth 3
	v_mov_b32_e32 v8, 0
	s_and_b64 vcc, exec, s[4:5]
	v_mov_b32_e32 v9, 0
	s_cbranch_vccnz .LBB109_17
; %bb.7:                                ;   in Loop: Header=BB109_6 Depth=1
	v_mov_b32_e32 v8, 0
	v_mov_b32_e32 v11, v10
	s_mov_b32 s24, s13
	v_mov_b32_e32 v9, 0
	s_branch .LBB109_10
.LBB109_8:                              ;   in Loop: Header=BB109_10 Depth=2
	s_or_b64 exec, exec, s[28:29]
.LBB109_9:                              ;   in Loop: Header=BB109_10 Depth=2
	s_or_b64 exec, exec, s[26:27]
	s_add_i32 s24, s24, 1
	s_cmp_ge_i32 s24, s33
	v_add_u32_e32 v11, s36, v11
	s_cbranch_scc1 .LBB109_17
.LBB109_10:                             ;   Parent Loop BB109_6 Depth=1
                                        ; =>  This Loop Header: Depth=2
                                        ;       Child Loop BB109_13 Depth 3
	s_and_saveexec_b64 s[26:27], s[0:1]
	s_cbranch_execz .LBB109_9
; %bb.11:                               ;   in Loop: Header=BB109_10 Depth=2
	s_ashr_i32 s25, s24, 31
	s_lshl_b64 s[28:29], s[24:25], 2
	s_add_u32 s28, s10, s28
	s_addc_u32 s29, s11, s29
	s_load_dword s30, s[28:29], 0x0
	s_mul_i32 s25, s24, s15
	s_mov_b64 s[28:29], 0
	v_mov_b32_e32 v12, v0
	s_waitcnt lgkmcnt(0)
	s_sub_i32 s37, s30, s12
	s_mul_i32 s37, s37, s15
	s_branch .LBB109_13
.LBB109_12:                             ;   in Loop: Header=BB109_13 Depth=3
	v_ashrrev_i32_e32 v7, 31, v6
	v_lshlrev_b64 v[6:7], 3, v[6:7]
	v_mov_b32_e32 v13, s9
	v_add_co_u32_e32 v6, vcc, s8, v6
	v_addc_co_u32_e32 v7, vcc, v13, v7, vcc
	v_add_u32_e32 v13, s37, v12
	v_ashrrev_i32_e32 v14, 31, v13
	v_lshlrev_b64 v[13:14], 3, v[13:14]
	v_mov_b32_e32 v15, s17
	v_add_co_u32_e32 v13, vcc, s16, v13
	v_addc_co_u32_e32 v14, vcc, v15, v14, vcc
	global_load_dwordx2 v[6:7], v[6:7], off
	v_add_u32_e32 v12, 16, v12
	global_load_dwordx2 v[13:14], v[13:14], off
	v_cmp_le_i32_e32 vcc, s15, v12
	s_or_b64 s[28:29], vcc, s[28:29]
	s_waitcnt vmcnt(0)
	v_fmac_f32_e32 v9, v6, v13
	v_fmac_f32_e32 v8, v7, v13
	v_fma_f32 v9, -v7, v14, v9
	v_fmac_f32_e32 v8, v6, v14
	s_andn2_b64 exec, exec, s[28:29]
	s_cbranch_execz .LBB109_8
.LBB109_13:                             ;   Parent Loop BB109_6 Depth=1
                                        ;     Parent Loop BB109_10 Depth=2
                                        ; =>    This Inner Loop Header: Depth=3
	s_and_b64 vcc, exec, s[20:21]
	s_cbranch_vccz .LBB109_15
; %bb.14:                               ;   in Loop: Header=BB109_13 Depth=3
	v_add_u32_e32 v6, s25, v12
	v_mad_u64_u32 v[6:7], s[30:31], v6, s14, v[5:6]
	s_cbranch_execnz .LBB109_12
	s_branch .LBB109_16
.LBB109_15:                             ;   in Loop: Header=BB109_13 Depth=3
                                        ; implicit-def: $vgpr6
.LBB109_16:                             ;   in Loop: Header=BB109_13 Depth=3
	v_add_u32_e32 v6, v11, v12
	s_branch .LBB109_12
.LBB109_17:                             ;   in Loop: Header=BB109_6 Depth=1
	s_nop 0
	v_mov_b32_dpp v6, v9 row_shr:1 row_mask:0xf bank_mask:0xf
	v_add_f32_e32 v6, v9, v6
	v_mov_b32_dpp v9, v8 row_shr:1 row_mask:0xf bank_mask:0xf
	v_add_f32_e32 v8, v8, v9
	;; [unrolled: 2-line block ×6, first 2 shown]
	v_mov_b32_dpp v7, v6 row_shr:8 row_mask:0xf bank_mask:0xc
	s_nop 0
	v_mov_b32_dpp v9, v8 row_shr:8 row_mask:0xf bank_mask:0xc
	s_and_saveexec_b64 s[24:25], s[2:3]
	s_cbranch_execz .LBB109_5
; %bb.18:                               ;   in Loop: Header=BB109_6 Depth=1
	v_add_f32_e32 v11, v6, v7
	v_add_f32_e32 v7, v8, v9
	v_mul_f32_e64 v6, v7, -v2
	v_mul_f32_e32 v7, v1, v7
	v_add_u32_e32 v8, s34, v5
	v_fmac_f32_e32 v6, v1, v11
	v_fmac_f32_e32 v7, v2, v11
	v_ashrrev_i32_e32 v9, 31, v8
	s_and_saveexec_b64 s[26:27], s[22:23]
	s_xor_b64 s[26:27], exec, s[26:27]
	s_cbranch_execz .LBB109_20
; %bb.19:                               ;   in Loop: Header=BB109_6 Depth=1
	v_lshlrev_b64 v[8:9], 3, v[8:9]
	v_mov_b32_e32 v11, s19
	v_add_co_u32_e32 v8, vcc, s18, v8
	v_addc_co_u32_e32 v9, vcc, v11, v9, vcc
	global_store_dwordx2 v[8:9], v[6:7], off
                                        ; implicit-def: $vgpr8
                                        ; implicit-def: $vgpr6
.LBB109_20:                             ;   in Loop: Header=BB109_6 Depth=1
	s_andn2_saveexec_b64 s[26:27], s[26:27]
	s_cbranch_execz .LBB109_5
; %bb.21:                               ;   in Loop: Header=BB109_6 Depth=1
	v_lshlrev_b64 v[8:9], 3, v[8:9]
	v_mov_b32_e32 v11, s19
	v_add_co_u32_e32 v8, vcc, s18, v8
	v_addc_co_u32_e32 v9, vcc, v11, v9, vcc
	global_load_dwordx2 v[11:12], v[8:9], off
	s_waitcnt vmcnt(0)
	v_fmac_f32_e32 v6, v3, v11
	v_fmac_f32_e32 v7, v4, v11
	v_fma_f32 v6, -v4, v12, v6
	v_fmac_f32_e32 v7, v3, v12
	global_store_dwordx2 v[8:9], v[6:7], off
	s_branch .LBB109_5
.LBB109_22:
	s_endpgm
	.section	.rodata,"a",@progbits
	.p2align	6, 0x0
	.amdhsa_kernel _ZN9rocsparseL23gebsrmvn_general_kernelILj64ELj16E21rocsparse_complex_numIfEEEvi20rocsparse_direction_NS_24const_host_device_scalarIT1_EEPKiS8_PKS5_iiSA_S6_PS5_21rocsparse_index_base_b
		.amdhsa_group_segment_fixed_size 0
		.amdhsa_private_segment_fixed_size 0
		.amdhsa_kernarg_size 80
		.amdhsa_user_sgpr_count 6
		.amdhsa_user_sgpr_private_segment_buffer 1
		.amdhsa_user_sgpr_dispatch_ptr 0
		.amdhsa_user_sgpr_queue_ptr 0
		.amdhsa_user_sgpr_kernarg_segment_ptr 1
		.amdhsa_user_sgpr_dispatch_id 0
		.amdhsa_user_sgpr_flat_scratch_init 0
		.amdhsa_user_sgpr_private_segment_size 0
		.amdhsa_uses_dynamic_stack 0
		.amdhsa_system_sgpr_private_segment_wavefront_offset 0
		.amdhsa_system_sgpr_workgroup_id_x 1
		.amdhsa_system_sgpr_workgroup_id_y 0
		.amdhsa_system_sgpr_workgroup_id_z 0
		.amdhsa_system_sgpr_workgroup_info 0
		.amdhsa_system_vgpr_workitem_id 0
		.amdhsa_next_free_vgpr 16
		.amdhsa_next_free_sgpr 38
		.amdhsa_reserve_vcc 1
		.amdhsa_reserve_flat_scratch 0
		.amdhsa_float_round_mode_32 0
		.amdhsa_float_round_mode_16_64 0
		.amdhsa_float_denorm_mode_32 3
		.amdhsa_float_denorm_mode_16_64 3
		.amdhsa_dx10_clamp 1
		.amdhsa_ieee_mode 1
		.amdhsa_fp16_overflow 0
		.amdhsa_exception_fp_ieee_invalid_op 0
		.amdhsa_exception_fp_denorm_src 0
		.amdhsa_exception_fp_ieee_div_zero 0
		.amdhsa_exception_fp_ieee_overflow 0
		.amdhsa_exception_fp_ieee_underflow 0
		.amdhsa_exception_fp_ieee_inexact 0
		.amdhsa_exception_int_div_zero 0
	.end_amdhsa_kernel
	.section	.text._ZN9rocsparseL23gebsrmvn_general_kernelILj64ELj16E21rocsparse_complex_numIfEEEvi20rocsparse_direction_NS_24const_host_device_scalarIT1_EEPKiS8_PKS5_iiSA_S6_PS5_21rocsparse_index_base_b,"axG",@progbits,_ZN9rocsparseL23gebsrmvn_general_kernelILj64ELj16E21rocsparse_complex_numIfEEEvi20rocsparse_direction_NS_24const_host_device_scalarIT1_EEPKiS8_PKS5_iiSA_S6_PS5_21rocsparse_index_base_b,comdat
.Lfunc_end109:
	.size	_ZN9rocsparseL23gebsrmvn_general_kernelILj64ELj16E21rocsparse_complex_numIfEEEvi20rocsparse_direction_NS_24const_host_device_scalarIT1_EEPKiS8_PKS5_iiSA_S6_PS5_21rocsparse_index_base_b, .Lfunc_end109-_ZN9rocsparseL23gebsrmvn_general_kernelILj64ELj16E21rocsparse_complex_numIfEEEvi20rocsparse_direction_NS_24const_host_device_scalarIT1_EEPKiS8_PKS5_iiSA_S6_PS5_21rocsparse_index_base_b
                                        ; -- End function
	.set _ZN9rocsparseL23gebsrmvn_general_kernelILj64ELj16E21rocsparse_complex_numIfEEEvi20rocsparse_direction_NS_24const_host_device_scalarIT1_EEPKiS8_PKS5_iiSA_S6_PS5_21rocsparse_index_base_b.num_vgpr, 16
	.set _ZN9rocsparseL23gebsrmvn_general_kernelILj64ELj16E21rocsparse_complex_numIfEEEvi20rocsparse_direction_NS_24const_host_device_scalarIT1_EEPKiS8_PKS5_iiSA_S6_PS5_21rocsparse_index_base_b.num_agpr, 0
	.set _ZN9rocsparseL23gebsrmvn_general_kernelILj64ELj16E21rocsparse_complex_numIfEEEvi20rocsparse_direction_NS_24const_host_device_scalarIT1_EEPKiS8_PKS5_iiSA_S6_PS5_21rocsparse_index_base_b.numbered_sgpr, 38
	.set _ZN9rocsparseL23gebsrmvn_general_kernelILj64ELj16E21rocsparse_complex_numIfEEEvi20rocsparse_direction_NS_24const_host_device_scalarIT1_EEPKiS8_PKS5_iiSA_S6_PS5_21rocsparse_index_base_b.num_named_barrier, 0
	.set _ZN9rocsparseL23gebsrmvn_general_kernelILj64ELj16E21rocsparse_complex_numIfEEEvi20rocsparse_direction_NS_24const_host_device_scalarIT1_EEPKiS8_PKS5_iiSA_S6_PS5_21rocsparse_index_base_b.private_seg_size, 0
	.set _ZN9rocsparseL23gebsrmvn_general_kernelILj64ELj16E21rocsparse_complex_numIfEEEvi20rocsparse_direction_NS_24const_host_device_scalarIT1_EEPKiS8_PKS5_iiSA_S6_PS5_21rocsparse_index_base_b.uses_vcc, 1
	.set _ZN9rocsparseL23gebsrmvn_general_kernelILj64ELj16E21rocsparse_complex_numIfEEEvi20rocsparse_direction_NS_24const_host_device_scalarIT1_EEPKiS8_PKS5_iiSA_S6_PS5_21rocsparse_index_base_b.uses_flat_scratch, 0
	.set _ZN9rocsparseL23gebsrmvn_general_kernelILj64ELj16E21rocsparse_complex_numIfEEEvi20rocsparse_direction_NS_24const_host_device_scalarIT1_EEPKiS8_PKS5_iiSA_S6_PS5_21rocsparse_index_base_b.has_dyn_sized_stack, 0
	.set _ZN9rocsparseL23gebsrmvn_general_kernelILj64ELj16E21rocsparse_complex_numIfEEEvi20rocsparse_direction_NS_24const_host_device_scalarIT1_EEPKiS8_PKS5_iiSA_S6_PS5_21rocsparse_index_base_b.has_recursion, 0
	.set _ZN9rocsparseL23gebsrmvn_general_kernelILj64ELj16E21rocsparse_complex_numIfEEEvi20rocsparse_direction_NS_24const_host_device_scalarIT1_EEPKiS8_PKS5_iiSA_S6_PS5_21rocsparse_index_base_b.has_indirect_call, 0
	.section	.AMDGPU.csdata,"",@progbits
; Kernel info:
; codeLenInByte = 920
; TotalNumSgprs: 42
; NumVgprs: 16
; ScratchSize: 0
; MemoryBound: 0
; FloatMode: 240
; IeeeMode: 1
; LDSByteSize: 0 bytes/workgroup (compile time only)
; SGPRBlocks: 5
; VGPRBlocks: 3
; NumSGPRsForWavesPerEU: 42
; NumVGPRsForWavesPerEU: 16
; Occupancy: 10
; WaveLimiterHint : 1
; COMPUTE_PGM_RSRC2:SCRATCH_EN: 0
; COMPUTE_PGM_RSRC2:USER_SGPR: 6
; COMPUTE_PGM_RSRC2:TRAP_HANDLER: 0
; COMPUTE_PGM_RSRC2:TGID_X_EN: 1
; COMPUTE_PGM_RSRC2:TGID_Y_EN: 0
; COMPUTE_PGM_RSRC2:TGID_Z_EN: 0
; COMPUTE_PGM_RSRC2:TIDIG_COMP_CNT: 0
	.section	.text._ZN9rocsparseL23gebsrmvn_general_kernelILj128ELj32E21rocsparse_complex_numIfEEEvi20rocsparse_direction_NS_24const_host_device_scalarIT1_EEPKiS8_PKS5_iiSA_S6_PS5_21rocsparse_index_base_b,"axG",@progbits,_ZN9rocsparseL23gebsrmvn_general_kernelILj128ELj32E21rocsparse_complex_numIfEEEvi20rocsparse_direction_NS_24const_host_device_scalarIT1_EEPKiS8_PKS5_iiSA_S6_PS5_21rocsparse_index_base_b,comdat
	.globl	_ZN9rocsparseL23gebsrmvn_general_kernelILj128ELj32E21rocsparse_complex_numIfEEEvi20rocsparse_direction_NS_24const_host_device_scalarIT1_EEPKiS8_PKS5_iiSA_S6_PS5_21rocsparse_index_base_b ; -- Begin function _ZN9rocsparseL23gebsrmvn_general_kernelILj128ELj32E21rocsparse_complex_numIfEEEvi20rocsparse_direction_NS_24const_host_device_scalarIT1_EEPKiS8_PKS5_iiSA_S6_PS5_21rocsparse_index_base_b
	.p2align	8
	.type	_ZN9rocsparseL23gebsrmvn_general_kernelILj128ELj32E21rocsparse_complex_numIfEEEvi20rocsparse_direction_NS_24const_host_device_scalarIT1_EEPKiS8_PKS5_iiSA_S6_PS5_21rocsparse_index_base_b,@function
_ZN9rocsparseL23gebsrmvn_general_kernelILj128ELj32E21rocsparse_complex_numIfEEEvi20rocsparse_direction_NS_24const_host_device_scalarIT1_EEPKiS8_PKS5_iiSA_S6_PS5_21rocsparse_index_base_b: ; @_ZN9rocsparseL23gebsrmvn_general_kernelILj128ELj32E21rocsparse_complex_numIfEEEvi20rocsparse_direction_NS_24const_host_device_scalarIT1_EEPKiS8_PKS5_iiSA_S6_PS5_21rocsparse_index_base_b
; %bb.0:
	s_load_dwordx2 s[0:1], s[4:5], 0x8
	s_load_dwordx2 s[2:3], s[4:5], 0x38
	s_load_dwordx2 s[12:13], s[4:5], 0x48
	s_add_u32 s7, s4, 8
	s_addc_u32 s8, s5, 0
	s_add_u32 s9, s4, 56
	s_addc_u32 s10, s5, 0
	s_waitcnt lgkmcnt(0)
	s_bitcmp1_b32 s13, 0
	s_cselect_b32 s1, s8, s1
	s_cselect_b32 s0, s7, s0
	v_mov_b32_e32 v1, s0
	v_mov_b32_e32 v2, s1
	flat_load_dwordx2 v[1:2], v[1:2]
	s_cselect_b32 s0, s10, s3
	s_cselect_b32 s1, s9, s2
	v_mov_b32_e32 v3, s1
	v_mov_b32_e32 v4, s0
	flat_load_dwordx2 v[3:4], v[3:4]
	s_waitcnt vmcnt(0) lgkmcnt(0)
	v_cmp_eq_f32_e32 vcc, 0, v1
	v_cmp_eq_f32_e64 s[0:1], 0, v2
	s_and_b64 s[8:9], vcc, s[0:1]
	s_mov_b64 s[0:1], -1
	s_and_saveexec_b64 s[2:3], s[8:9]
; %bb.1:
	v_cmp_neq_f32_e32 vcc, 1.0, v3
	v_cmp_neq_f32_e64 s[0:1], 0, v4
	s_or_b64 s[0:1], vcc, s[0:1]
	s_orn2_b64 s[0:1], s[0:1], exec
; %bb.2:
	s_or_b64 exec, exec, s[2:3]
	s_and_saveexec_b64 s[2:3], s[0:1]
	s_cbranch_execz .LBB110_22
; %bb.3:
	s_load_dwordx2 s[14:15], s[4:5], 0x28
	v_lshrrev_b32_e32 v5, 5, v0
	s_waitcnt lgkmcnt(0)
	v_cmp_gt_i32_e32 vcc, s14, v5
	s_and_b64 exec, exec, vcc
	s_cbranch_execz .LBB110_22
; %bb.4:
	s_load_dwordx4 s[8:11], s[4:5], 0x10
	s_load_dword s20, s[4:5], 0x4
	s_ashr_i32 s7, s6, 31
	s_lshl_b64 s[0:1], s[6:7], 2
	v_cmp_eq_f32_e32 vcc, 0, v3
	s_waitcnt lgkmcnt(0)
	s_add_u32 s0, s8, s0
	s_addc_u32 s1, s9, s1
	s_load_dwordx2 s[2:3], s[0:1], 0x0
	s_load_dwordx2 s[8:9], s[4:5], 0x20
	;; [unrolled: 1-line block ×4, first 2 shown]
	v_cmp_eq_f32_e64 s[4:5], 0, v4
	s_waitcnt lgkmcnt(0)
	s_sub_i32 s13, s2, s12
	s_sub_i32 s33, s3, s12
	s_cmp_lt_i32 s2, s3
	s_cselect_b64 s[24:25], -1, 0
	s_cmp_lg_u32 s20, 0
	s_cselect_b64 s[20:21], -1, 0
	s_and_b64 s[22:23], vcc, s[4:5]
	s_mul_i32 s4, s14, s13
	v_add_u32_e32 v6, s4, v5
	v_mul_lo_u32 v10, s15, v6
	v_and_b32_e32 v0, 31, v0
	v_cndmask_b32_e64 v6, 0, 1, s[24:25]
	v_cmp_gt_i32_e64 s[0:1], s15, v0
	v_cmp_eq_u32_e64 s[2:3], 31, v0
	s_mul_i32 s34, s14, s6
	s_lshl_b32 s35, s15, 2
	s_mul_i32 s36, s15, s14
	s_mov_b64 s[6:7], 0
	v_cmp_ne_u32_e64 s[4:5], 1, v6
	s_branch .LBB110_6
.LBB110_5:                              ;   in Loop: Header=BB110_6 Depth=1
	s_or_b64 exec, exec, s[24:25]
	v_add_u32_e32 v5, 4, v5
	v_cmp_le_i32_e32 vcc, s14, v5
	s_or_b64 s[6:7], vcc, s[6:7]
	v_add_u32_e32 v10, s35, v10
	s_andn2_b64 exec, exec, s[6:7]
	s_cbranch_execz .LBB110_22
.LBB110_6:                              ; =>This Loop Header: Depth=1
                                        ;     Child Loop BB110_10 Depth 2
                                        ;       Child Loop BB110_13 Depth 3
	v_mov_b32_e32 v8, 0
	s_and_b64 vcc, exec, s[4:5]
	v_mov_b32_e32 v9, 0
	s_cbranch_vccnz .LBB110_17
; %bb.7:                                ;   in Loop: Header=BB110_6 Depth=1
	v_mov_b32_e32 v8, 0
	v_mov_b32_e32 v11, v10
	s_mov_b32 s24, s13
	v_mov_b32_e32 v9, 0
	s_branch .LBB110_10
.LBB110_8:                              ;   in Loop: Header=BB110_10 Depth=2
	s_or_b64 exec, exec, s[28:29]
.LBB110_9:                              ;   in Loop: Header=BB110_10 Depth=2
	s_or_b64 exec, exec, s[26:27]
	s_add_i32 s24, s24, 1
	s_cmp_ge_i32 s24, s33
	v_add_u32_e32 v11, s36, v11
	s_cbranch_scc1 .LBB110_17
.LBB110_10:                             ;   Parent Loop BB110_6 Depth=1
                                        ; =>  This Loop Header: Depth=2
                                        ;       Child Loop BB110_13 Depth 3
	s_and_saveexec_b64 s[26:27], s[0:1]
	s_cbranch_execz .LBB110_9
; %bb.11:                               ;   in Loop: Header=BB110_10 Depth=2
	s_ashr_i32 s25, s24, 31
	s_lshl_b64 s[28:29], s[24:25], 2
	s_add_u32 s28, s10, s28
	s_addc_u32 s29, s11, s29
	s_load_dword s30, s[28:29], 0x0
	s_mul_i32 s25, s24, s15
	s_mov_b64 s[28:29], 0
	v_mov_b32_e32 v12, v0
	s_waitcnt lgkmcnt(0)
	s_sub_i32 s37, s30, s12
	s_mul_i32 s37, s37, s15
	s_branch .LBB110_13
.LBB110_12:                             ;   in Loop: Header=BB110_13 Depth=3
	v_ashrrev_i32_e32 v7, 31, v6
	v_lshlrev_b64 v[6:7], 3, v[6:7]
	v_mov_b32_e32 v13, s9
	v_add_co_u32_e32 v6, vcc, s8, v6
	v_addc_co_u32_e32 v7, vcc, v13, v7, vcc
	v_add_u32_e32 v13, s37, v12
	v_ashrrev_i32_e32 v14, 31, v13
	v_lshlrev_b64 v[13:14], 3, v[13:14]
	v_mov_b32_e32 v15, s17
	v_add_co_u32_e32 v13, vcc, s16, v13
	v_addc_co_u32_e32 v14, vcc, v15, v14, vcc
	global_load_dwordx2 v[6:7], v[6:7], off
	v_add_u32_e32 v12, 32, v12
	global_load_dwordx2 v[13:14], v[13:14], off
	v_cmp_le_i32_e32 vcc, s15, v12
	s_or_b64 s[28:29], vcc, s[28:29]
	s_waitcnt vmcnt(0)
	v_fmac_f32_e32 v9, v6, v13
	v_fmac_f32_e32 v8, v7, v13
	v_fma_f32 v9, -v7, v14, v9
	v_fmac_f32_e32 v8, v6, v14
	s_andn2_b64 exec, exec, s[28:29]
	s_cbranch_execz .LBB110_8
.LBB110_13:                             ;   Parent Loop BB110_6 Depth=1
                                        ;     Parent Loop BB110_10 Depth=2
                                        ; =>    This Inner Loop Header: Depth=3
	s_and_b64 vcc, exec, s[20:21]
	s_cbranch_vccz .LBB110_15
; %bb.14:                               ;   in Loop: Header=BB110_13 Depth=3
	v_add_u32_e32 v6, s25, v12
	v_mad_u64_u32 v[6:7], s[30:31], v6, s14, v[5:6]
	s_cbranch_execnz .LBB110_12
	s_branch .LBB110_16
.LBB110_15:                             ;   in Loop: Header=BB110_13 Depth=3
                                        ; implicit-def: $vgpr6
.LBB110_16:                             ;   in Loop: Header=BB110_13 Depth=3
	v_add_u32_e32 v6, v11, v12
	s_branch .LBB110_12
.LBB110_17:                             ;   in Loop: Header=BB110_6 Depth=1
	s_nop 0
	v_mov_b32_dpp v6, v9 row_shr:1 row_mask:0xf bank_mask:0xf
	v_add_f32_e32 v6, v9, v6
	v_mov_b32_dpp v9, v8 row_shr:1 row_mask:0xf bank_mask:0xf
	v_add_f32_e32 v8, v8, v9
	;; [unrolled: 2-line block ×8, first 2 shown]
	v_mov_b32_dpp v7, v6 row_bcast:15 row_mask:0xa bank_mask:0xf
	s_nop 0
	v_mov_b32_dpp v9, v8 row_bcast:15 row_mask:0xa bank_mask:0xf
	s_and_saveexec_b64 s[24:25], s[2:3]
	s_cbranch_execz .LBB110_5
; %bb.18:                               ;   in Loop: Header=BB110_6 Depth=1
	v_add_f32_e32 v11, v6, v7
	v_add_f32_e32 v7, v8, v9
	v_mul_f32_e64 v6, v7, -v2
	v_mul_f32_e32 v7, v1, v7
	v_add_u32_e32 v8, s34, v5
	v_fmac_f32_e32 v6, v1, v11
	v_fmac_f32_e32 v7, v2, v11
	v_ashrrev_i32_e32 v9, 31, v8
	s_and_saveexec_b64 s[26:27], s[22:23]
	s_xor_b64 s[26:27], exec, s[26:27]
	s_cbranch_execz .LBB110_20
; %bb.19:                               ;   in Loop: Header=BB110_6 Depth=1
	v_lshlrev_b64 v[8:9], 3, v[8:9]
	v_mov_b32_e32 v11, s19
	v_add_co_u32_e32 v8, vcc, s18, v8
	v_addc_co_u32_e32 v9, vcc, v11, v9, vcc
	global_store_dwordx2 v[8:9], v[6:7], off
                                        ; implicit-def: $vgpr8
                                        ; implicit-def: $vgpr6
.LBB110_20:                             ;   in Loop: Header=BB110_6 Depth=1
	s_andn2_saveexec_b64 s[26:27], s[26:27]
	s_cbranch_execz .LBB110_5
; %bb.21:                               ;   in Loop: Header=BB110_6 Depth=1
	v_lshlrev_b64 v[8:9], 3, v[8:9]
	v_mov_b32_e32 v11, s19
	v_add_co_u32_e32 v8, vcc, s18, v8
	v_addc_co_u32_e32 v9, vcc, v11, v9, vcc
	global_load_dwordx2 v[11:12], v[8:9], off
	s_waitcnt vmcnt(0)
	v_fmac_f32_e32 v6, v3, v11
	v_fmac_f32_e32 v7, v4, v11
	v_fma_f32 v6, -v4, v12, v6
	v_fmac_f32_e32 v7, v3, v12
	global_store_dwordx2 v[8:9], v[6:7], off
	s_branch .LBB110_5
.LBB110_22:
	s_endpgm
	.section	.rodata,"a",@progbits
	.p2align	6, 0x0
	.amdhsa_kernel _ZN9rocsparseL23gebsrmvn_general_kernelILj128ELj32E21rocsparse_complex_numIfEEEvi20rocsparse_direction_NS_24const_host_device_scalarIT1_EEPKiS8_PKS5_iiSA_S6_PS5_21rocsparse_index_base_b
		.amdhsa_group_segment_fixed_size 0
		.amdhsa_private_segment_fixed_size 0
		.amdhsa_kernarg_size 80
		.amdhsa_user_sgpr_count 6
		.amdhsa_user_sgpr_private_segment_buffer 1
		.amdhsa_user_sgpr_dispatch_ptr 0
		.amdhsa_user_sgpr_queue_ptr 0
		.amdhsa_user_sgpr_kernarg_segment_ptr 1
		.amdhsa_user_sgpr_dispatch_id 0
		.amdhsa_user_sgpr_flat_scratch_init 0
		.amdhsa_user_sgpr_private_segment_size 0
		.amdhsa_uses_dynamic_stack 0
		.amdhsa_system_sgpr_private_segment_wavefront_offset 0
		.amdhsa_system_sgpr_workgroup_id_x 1
		.amdhsa_system_sgpr_workgroup_id_y 0
		.amdhsa_system_sgpr_workgroup_id_z 0
		.amdhsa_system_sgpr_workgroup_info 0
		.amdhsa_system_vgpr_workitem_id 0
		.amdhsa_next_free_vgpr 16
		.amdhsa_next_free_sgpr 38
		.amdhsa_reserve_vcc 1
		.amdhsa_reserve_flat_scratch 0
		.amdhsa_float_round_mode_32 0
		.amdhsa_float_round_mode_16_64 0
		.amdhsa_float_denorm_mode_32 3
		.amdhsa_float_denorm_mode_16_64 3
		.amdhsa_dx10_clamp 1
		.amdhsa_ieee_mode 1
		.amdhsa_fp16_overflow 0
		.amdhsa_exception_fp_ieee_invalid_op 0
		.amdhsa_exception_fp_denorm_src 0
		.amdhsa_exception_fp_ieee_div_zero 0
		.amdhsa_exception_fp_ieee_overflow 0
		.amdhsa_exception_fp_ieee_underflow 0
		.amdhsa_exception_fp_ieee_inexact 0
		.amdhsa_exception_int_div_zero 0
	.end_amdhsa_kernel
	.section	.text._ZN9rocsparseL23gebsrmvn_general_kernelILj128ELj32E21rocsparse_complex_numIfEEEvi20rocsparse_direction_NS_24const_host_device_scalarIT1_EEPKiS8_PKS5_iiSA_S6_PS5_21rocsparse_index_base_b,"axG",@progbits,_ZN9rocsparseL23gebsrmvn_general_kernelILj128ELj32E21rocsparse_complex_numIfEEEvi20rocsparse_direction_NS_24const_host_device_scalarIT1_EEPKiS8_PKS5_iiSA_S6_PS5_21rocsparse_index_base_b,comdat
.Lfunc_end110:
	.size	_ZN9rocsparseL23gebsrmvn_general_kernelILj128ELj32E21rocsparse_complex_numIfEEEvi20rocsparse_direction_NS_24const_host_device_scalarIT1_EEPKiS8_PKS5_iiSA_S6_PS5_21rocsparse_index_base_b, .Lfunc_end110-_ZN9rocsparseL23gebsrmvn_general_kernelILj128ELj32E21rocsparse_complex_numIfEEEvi20rocsparse_direction_NS_24const_host_device_scalarIT1_EEPKiS8_PKS5_iiSA_S6_PS5_21rocsparse_index_base_b
                                        ; -- End function
	.set _ZN9rocsparseL23gebsrmvn_general_kernelILj128ELj32E21rocsparse_complex_numIfEEEvi20rocsparse_direction_NS_24const_host_device_scalarIT1_EEPKiS8_PKS5_iiSA_S6_PS5_21rocsparse_index_base_b.num_vgpr, 16
	.set _ZN9rocsparseL23gebsrmvn_general_kernelILj128ELj32E21rocsparse_complex_numIfEEEvi20rocsparse_direction_NS_24const_host_device_scalarIT1_EEPKiS8_PKS5_iiSA_S6_PS5_21rocsparse_index_base_b.num_agpr, 0
	.set _ZN9rocsparseL23gebsrmvn_general_kernelILj128ELj32E21rocsparse_complex_numIfEEEvi20rocsparse_direction_NS_24const_host_device_scalarIT1_EEPKiS8_PKS5_iiSA_S6_PS5_21rocsparse_index_base_b.numbered_sgpr, 38
	.set _ZN9rocsparseL23gebsrmvn_general_kernelILj128ELj32E21rocsparse_complex_numIfEEEvi20rocsparse_direction_NS_24const_host_device_scalarIT1_EEPKiS8_PKS5_iiSA_S6_PS5_21rocsparse_index_base_b.num_named_barrier, 0
	.set _ZN9rocsparseL23gebsrmvn_general_kernelILj128ELj32E21rocsparse_complex_numIfEEEvi20rocsparse_direction_NS_24const_host_device_scalarIT1_EEPKiS8_PKS5_iiSA_S6_PS5_21rocsparse_index_base_b.private_seg_size, 0
	.set _ZN9rocsparseL23gebsrmvn_general_kernelILj128ELj32E21rocsparse_complex_numIfEEEvi20rocsparse_direction_NS_24const_host_device_scalarIT1_EEPKiS8_PKS5_iiSA_S6_PS5_21rocsparse_index_base_b.uses_vcc, 1
	.set _ZN9rocsparseL23gebsrmvn_general_kernelILj128ELj32E21rocsparse_complex_numIfEEEvi20rocsparse_direction_NS_24const_host_device_scalarIT1_EEPKiS8_PKS5_iiSA_S6_PS5_21rocsparse_index_base_b.uses_flat_scratch, 0
	.set _ZN9rocsparseL23gebsrmvn_general_kernelILj128ELj32E21rocsparse_complex_numIfEEEvi20rocsparse_direction_NS_24const_host_device_scalarIT1_EEPKiS8_PKS5_iiSA_S6_PS5_21rocsparse_index_base_b.has_dyn_sized_stack, 0
	.set _ZN9rocsparseL23gebsrmvn_general_kernelILj128ELj32E21rocsparse_complex_numIfEEEvi20rocsparse_direction_NS_24const_host_device_scalarIT1_EEPKiS8_PKS5_iiSA_S6_PS5_21rocsparse_index_base_b.has_recursion, 0
	.set _ZN9rocsparseL23gebsrmvn_general_kernelILj128ELj32E21rocsparse_complex_numIfEEEvi20rocsparse_direction_NS_24const_host_device_scalarIT1_EEPKiS8_PKS5_iiSA_S6_PS5_21rocsparse_index_base_b.has_indirect_call, 0
	.section	.AMDGPU.csdata,"",@progbits
; Kernel info:
; codeLenInByte = 944
; TotalNumSgprs: 42
; NumVgprs: 16
; ScratchSize: 0
; MemoryBound: 0
; FloatMode: 240
; IeeeMode: 1
; LDSByteSize: 0 bytes/workgroup (compile time only)
; SGPRBlocks: 5
; VGPRBlocks: 3
; NumSGPRsForWavesPerEU: 42
; NumVGPRsForWavesPerEU: 16
; Occupancy: 10
; WaveLimiterHint : 1
; COMPUTE_PGM_RSRC2:SCRATCH_EN: 0
; COMPUTE_PGM_RSRC2:USER_SGPR: 6
; COMPUTE_PGM_RSRC2:TRAP_HANDLER: 0
; COMPUTE_PGM_RSRC2:TGID_X_EN: 1
; COMPUTE_PGM_RSRC2:TGID_Y_EN: 0
; COMPUTE_PGM_RSRC2:TGID_Z_EN: 0
; COMPUTE_PGM_RSRC2:TIDIG_COMP_CNT: 0
	.section	.text._ZN9rocsparseL19gebsrmvn_4xn_kernelILj128ELj1ELj4E21rocsparse_complex_numIdEEEvi20rocsparse_direction_NS_24const_host_device_scalarIT2_EEPKiS8_PKS5_SA_S6_PS5_21rocsparse_index_base_b,"axG",@progbits,_ZN9rocsparseL19gebsrmvn_4xn_kernelILj128ELj1ELj4E21rocsparse_complex_numIdEEEvi20rocsparse_direction_NS_24const_host_device_scalarIT2_EEPKiS8_PKS5_SA_S6_PS5_21rocsparse_index_base_b,comdat
	.globl	_ZN9rocsparseL19gebsrmvn_4xn_kernelILj128ELj1ELj4E21rocsparse_complex_numIdEEEvi20rocsparse_direction_NS_24const_host_device_scalarIT2_EEPKiS8_PKS5_SA_S6_PS5_21rocsparse_index_base_b ; -- Begin function _ZN9rocsparseL19gebsrmvn_4xn_kernelILj128ELj1ELj4E21rocsparse_complex_numIdEEEvi20rocsparse_direction_NS_24const_host_device_scalarIT2_EEPKiS8_PKS5_SA_S6_PS5_21rocsparse_index_base_b
	.p2align	8
	.type	_ZN9rocsparseL19gebsrmvn_4xn_kernelILj128ELj1ELj4E21rocsparse_complex_numIdEEEvi20rocsparse_direction_NS_24const_host_device_scalarIT2_EEPKiS8_PKS5_SA_S6_PS5_21rocsparse_index_base_b,@function
_ZN9rocsparseL19gebsrmvn_4xn_kernelILj128ELj1ELj4E21rocsparse_complex_numIdEEEvi20rocsparse_direction_NS_24const_host_device_scalarIT2_EEPKiS8_PKS5_SA_S6_PS5_21rocsparse_index_base_b: ; @_ZN9rocsparseL19gebsrmvn_4xn_kernelILj128ELj1ELj4E21rocsparse_complex_numIdEEEvi20rocsparse_direction_NS_24const_host_device_scalarIT2_EEPKiS8_PKS5_SA_S6_PS5_21rocsparse_index_base_b
; %bb.0:
	s_load_dwordx2 s[0:1], s[4:5], 0x8
	s_load_dwordx2 s[8:9], s[4:5], 0x38
	s_load_dwordx2 s[2:3], s[4:5], 0x50
	s_add_u32 s7, s4, 8
	s_addc_u32 s10, s5, 0
	s_add_u32 s11, s4, 56
	s_addc_u32 s12, s5, 0
	s_waitcnt lgkmcnt(0)
	s_bitcmp1_b32 s3, 0
	s_cselect_b32 s1, s10, s1
	s_cselect_b32 s0, s7, s0
	v_mov_b32_e32 v1, s0
	v_mov_b32_e32 v2, s1
	flat_load_dwordx4 v[1:4], v[1:2]
	s_cselect_b32 s0, s12, s9
	s_cselect_b32 s1, s11, s8
	v_mov_b32_e32 v5, s1
	v_mov_b32_e32 v6, s0
	flat_load_dwordx4 v[5:8], v[5:6]
	s_waitcnt vmcnt(0) lgkmcnt(0)
	v_cmp_eq_f64_e32 vcc, 0, v[1:2]
	v_cmp_eq_f64_e64 s[0:1], 0, v[3:4]
	s_and_b64 s[10:11], vcc, s[0:1]
	s_mov_b64 s[0:1], -1
	s_and_saveexec_b64 s[8:9], s[10:11]
	s_cbranch_execz .LBB111_2
; %bb.1:
	v_cmp_neq_f64_e32 vcc, 1.0, v[5:6]
	v_cmp_neq_f64_e64 s[0:1], 0, v[7:8]
	s_or_b64 s[0:1], vcc, s[0:1]
	s_orn2_b64 s[0:1], s[0:1], exec
.LBB111_2:
	s_or_b64 exec, exec, s[8:9]
	s_and_saveexec_b64 s[8:9], s[0:1]
	s_cbranch_execz .LBB111_21
; %bb.3:
	s_load_dwordx2 s[0:1], s[4:5], 0x0
	v_lshrrev_b32_e32 v9, 2, v0
	v_lshl_or_b32 v9, s6, 5, v9
	s_waitcnt lgkmcnt(0)
	v_cmp_gt_i32_e32 vcc, s0, v9
	s_and_b64 exec, exec, vcc
	s_cbranch_execz .LBB111_21
; %bb.4:
	s_load_dwordx8 s[8:15], s[4:5], 0x18
	v_ashrrev_i32_e32 v10, 31, v9
	v_lshlrev_b64 v[10:11], 2, v[9:10]
	v_and_b32_e32 v0, 3, v0
	s_cmp_lg_u32 s1, 0
	s_waitcnt lgkmcnt(0)
	v_mov_b32_e32 v12, s9
	v_add_co_u32_e32 v10, vcc, s8, v10
	v_addc_co_u32_e32 v11, vcc, v12, v11, vcc
	global_load_dwordx2 v[10:11], v[10:11], off
	s_waitcnt vmcnt(0)
	v_subrev_u32_e32 v10, s2, v10
	v_subrev_u32_e32 v32, s2, v11
	v_add_u32_e32 v20, v10, v0
	v_cmp_lt_i32_e64 s[0:1], v20, v32
	s_cbranch_scc0 .LBB111_10
; %bb.5:
	v_mov_b32_e32 v14, 0
	v_mov_b32_e32 v22, 0
	;; [unrolled: 1-line block ×16, first 2 shown]
	s_and_saveexec_b64 s[6:7], s[0:1]
	s_cbranch_execz .LBB111_9
; %bb.6:
	v_mov_b32_e32 v14, 0
	v_mov_b32_e32 v22, 0
	v_mov_b32_e32 v12, 0
	v_mov_b32_e32 v10, 0
	v_mov_b32_e32 v18, 0
	v_mov_b32_e32 v16, 0
	v_mov_b32_e32 v26, 0
	v_mov_b32_e32 v24, 0
	v_lshlrev_b32_e32 v28, 2, v20
	v_mov_b32_e32 v15, 0
	s_mov_b64 s[8:9], 0
	v_mov_b32_e32 v21, s11
	v_mov_b32_e32 v29, 0
	;; [unrolled: 1-line block ×12, first 2 shown]
.LBB111_7:                              ; =>This Inner Loop Header: Depth=1
	v_ashrrev_i32_e32 v31, 31, v30
	v_lshlrev_b64 v[35:36], 2, v[30:31]
	v_mov_b32_e32 v52, v29
	v_add_co_u32_e32 v35, vcc, s10, v35
	v_addc_co_u32_e32 v36, vcc, v21, v36, vcc
	global_load_dword v31, v[35:36], off
	v_lshlrev_b64 v[35:36], 4, v[28:29]
	v_add_u32_e32 v30, 4, v30
	v_add_co_u32_e32 v53, vcc, s12, v35
	v_addc_co_u32_e32 v54, vcc, v33, v36, vcc
	global_load_dwordx4 v[35:38], v[53:54], off
	global_load_dwordx4 v[39:42], v[53:54], off offset:16
	global_load_dwordx4 v[43:46], v[53:54], off offset:32
	;; [unrolled: 1-line block ×3, first 2 shown]
	v_add_u32_e32 v28, 16, v28
	s_waitcnt vmcnt(4)
	v_subrev_u32_e32 v51, s2, v31
	v_lshlrev_b64 v[51:52], 4, v[51:52]
	v_add_co_u32_e32 v51, vcc, s14, v51
	v_addc_co_u32_e32 v52, vcc, v34, v52, vcc
	global_load_dwordx4 v[51:54], v[51:52], off
	v_cmp_ge_i32_e32 vcc, v30, v32
	s_or_b64 s[8:9], vcc, s[8:9]
	s_waitcnt vmcnt(0)
	v_fma_f64 v[22:23], v[35:36], v[51:52], v[22:23]
	v_fma_f64 v[14:15], v[37:38], v[51:52], v[14:15]
	v_fma_f64 v[26:27], v[39:40], v[51:52], v[26:27]
	v_fma_f64 v[24:25], v[41:42], v[51:52], v[24:25]
	v_fma_f64 v[18:19], v[43:44], v[51:52], v[18:19]
	v_fma_f64 v[16:17], v[45:46], v[51:52], v[16:17]
	v_fma_f64 v[12:13], v[47:48], v[51:52], v[12:13]
	v_fma_f64 v[10:11], v[49:50], v[51:52], v[10:11]
	v_fma_f64 v[22:23], -v[37:38], v[53:54], v[22:23]
	v_fma_f64 v[14:15], v[35:36], v[53:54], v[14:15]
	v_fma_f64 v[26:27], -v[41:42], v[53:54], v[26:27]
	v_fma_f64 v[24:25], v[39:40], v[53:54], v[24:25]
	;; [unrolled: 2-line block ×4, first 2 shown]
	s_andn2_b64 exec, exec, s[8:9]
	s_cbranch_execnz .LBB111_7
; %bb.8:
	s_or_b64 exec, exec, s[8:9]
.LBB111_9:
	s_or_b64 exec, exec, s[6:7]
	s_cbranch_execz .LBB111_11
	s_branch .LBB111_16
.LBB111_10:
                                        ; implicit-def: $vgpr14_vgpr15
                                        ; implicit-def: $vgpr22_vgpr23
                                        ; implicit-def: $vgpr12_vgpr13
                                        ; implicit-def: $vgpr10_vgpr11
                                        ; implicit-def: $vgpr18_vgpr19
                                        ; implicit-def: $vgpr16_vgpr17
                                        ; implicit-def: $vgpr26_vgpr27
                                        ; implicit-def: $vgpr24_vgpr25
.LBB111_11:
	v_mov_b32_e32 v14, 0
	v_mov_b32_e32 v22, 0
	;; [unrolled: 1-line block ×16, first 2 shown]
	s_and_saveexec_b64 s[6:7], s[0:1]
	s_cbranch_execz .LBB111_15
; %bb.12:
	v_mov_b32_e32 v14, 0
	v_mov_b32_e32 v22, 0
	;; [unrolled: 1-line block ×8, first 2 shown]
	v_lshlrev_b32_e32 v28, 2, v20
	v_mov_b32_e32 v15, 0
	s_mov_b64 s[0:1], 0
	v_mov_b32_e32 v30, s11
	v_mov_b32_e32 v29, 0
	;; [unrolled: 1-line block ×11, first 2 shown]
.LBB111_13:                             ; =>This Inner Loop Header: Depth=1
	v_ashrrev_i32_e32 v21, 31, v20
	v_lshlrev_b64 v[34:35], 2, v[20:21]
	v_mov_b32_e32 v51, v29
	v_add_co_u32_e32 v34, vcc, s10, v34
	v_addc_co_u32_e32 v35, vcc, v30, v35, vcc
	global_load_dword v21, v[34:35], off
	v_lshlrev_b64 v[34:35], 4, v[28:29]
	v_add_u32_e32 v20, 4, v20
	v_add_co_u32_e32 v52, vcc, s12, v34
	v_addc_co_u32_e32 v53, vcc, v31, v35, vcc
	global_load_dwordx4 v[34:37], v[52:53], off
	global_load_dwordx4 v[38:41], v[52:53], off offset:16
	global_load_dwordx4 v[42:45], v[52:53], off offset:32
	;; [unrolled: 1-line block ×3, first 2 shown]
	v_add_u32_e32 v28, 16, v28
	s_waitcnt vmcnt(4)
	v_subrev_u32_e32 v50, s2, v21
	v_lshlrev_b64 v[50:51], 4, v[50:51]
	v_add_co_u32_e32 v50, vcc, s14, v50
	v_addc_co_u32_e32 v51, vcc, v33, v51, vcc
	global_load_dwordx4 v[50:53], v[50:51], off
	v_cmp_ge_i32_e32 vcc, v20, v32
	s_or_b64 s[0:1], vcc, s[0:1]
	s_waitcnt vmcnt(0)
	v_fma_f64 v[21:22], v[34:35], v[50:51], v[22:23]
	v_fma_f64 v[14:15], v[36:37], v[50:51], v[14:15]
	;; [unrolled: 1-line block ×8, first 2 shown]
	v_fma_f64 v[22:23], -v[36:37], v[52:53], v[21:22]
	v_fma_f64 v[14:15], v[34:35], v[52:53], v[14:15]
	v_fma_f64 v[26:27], -v[40:41], v[52:53], v[26:27]
	v_fma_f64 v[24:25], v[38:39], v[52:53], v[24:25]
	;; [unrolled: 2-line block ×4, first 2 shown]
	s_andn2_b64 exec, exec, s[0:1]
	s_cbranch_execnz .LBB111_13
; %bb.14:
	s_or_b64 exec, exec, s[0:1]
.LBB111_15:
	s_or_b64 exec, exec, s[6:7]
.LBB111_16:
	v_mov_b32_dpp v20, v22 row_shr:1 row_mask:0xf bank_mask:0xf
	v_mov_b32_dpp v21, v23 row_shr:1 row_mask:0xf bank_mask:0xf
	;; [unrolled: 1-line block ×4, first 2 shown]
	v_add_f64 v[20:21], v[22:23], v[20:21]
	v_mov_b32_dpp v22, v14 row_shr:1 row_mask:0xf bank_mask:0xf
	v_mov_b32_dpp v23, v15 row_shr:1 row_mask:0xf bank_mask:0xf
	v_add_f64 v[18:19], v[18:19], v[34:35]
	v_mov_b32_dpp v34, v16 row_shr:1 row_mask:0xf bank_mask:0xf
	v_mov_b32_dpp v35, v17 row_shr:1 row_mask:0xf bank_mask:0xf
	;; [unrolled: 3-line block ×6, first 2 shown]
	v_add_f64 v[26:27], v[24:25], v[26:27]
	v_add_f64 v[38:39], v[10:11], v[12:13]
	v_mov_b32_dpp v32, v20 row_shr:2 row_mask:0xf bank_mask:0xf
	v_mov_b32_dpp v33, v21 row_shr:2 row_mask:0xf bank_mask:0xf
	;; [unrolled: 1-line block ×16, first 2 shown]
	v_cmp_eq_u32_e32 vcc, 3, v0
	s_and_b64 exec, exec, vcc
	s_cbranch_execz .LBB111_21
; %bb.17:
	v_cmp_eq_f64_e32 vcc, 0, v[5:6]
	v_cmp_eq_f64_e64 s[0:1], 0, v[7:8]
	v_add_f64 v[16:17], v[20:21], v[32:33]
	v_add_f64 v[24:25], v[14:15], v[24:25]
	;; [unrolled: 1-line block ×8, first 2 shown]
	s_load_dwordx2 s[2:3], s[4:5], 0x48
	s_and_b64 s[0:1], vcc, s[0:1]
	s_and_saveexec_b64 s[4:5], s[0:1]
	s_xor_b64 s[0:1], exec, s[4:5]
	s_cbranch_execz .LBB111_19
; %bb.18:
	v_mul_f64 v[5:6], v[24:25], -v[3:4]
	v_mul_f64 v[7:8], v[1:2], v[24:25]
	v_mul_f64 v[26:27], v[22:23], -v[3:4]
	v_mul_f64 v[22:23], v[1:2], v[22:23]
	;; [unrolled: 2-line block ×4, first 2 shown]
	v_fma_f64 v[5:6], v[1:2], v[16:17], v[5:6]
	v_fma_f64 v[7:8], v[3:4], v[16:17], v[7:8]
	;; [unrolled: 1-line block ×4, first 2 shown]
	v_lshlrev_b32_e32 v24, 2, v9
	v_fma_f64 v[9:10], v[1:2], v[12:13], v[28:29]
	v_fma_f64 v[11:12], v[3:4], v[12:13], v[30:31]
	v_ashrrev_i32_e32 v25, 31, v24
	v_fma_f64 v[0:1], v[1:2], v[14:15], v[32:33]
	v_fma_f64 v[2:3], v[3:4], v[14:15], v[20:21]
	v_lshlrev_b64 v[24:25], 4, v[24:25]
	s_waitcnt lgkmcnt(0)
	v_mov_b32_e32 v34, s3
	v_add_co_u32_e32 v13, vcc, s2, v24
	v_addc_co_u32_e32 v14, vcc, v34, v25, vcc
	global_store_dwordx4 v[13:14], v[5:8], off
	global_store_dwordx4 v[13:14], v[16:19], off offset:16
	global_store_dwordx4 v[13:14], v[9:12], off offset:32
	;; [unrolled: 1-line block ×3, first 2 shown]
                                        ; implicit-def: $vgpr9
                                        ; implicit-def: $vgpr16_vgpr17
                                        ; implicit-def: $vgpr24_vgpr25
                                        ; implicit-def: $vgpr10_vgpr11
                                        ; implicit-def: $vgpr22_vgpr23
                                        ; implicit-def: $vgpr12_vgpr13
                                        ; implicit-def: $vgpr18_vgpr19
                                        ; implicit-def: $vgpr14_vgpr15
                                        ; implicit-def: $vgpr20_vgpr21
                                        ; implicit-def: $vgpr7_vgpr8
                                        ; implicit-def: $vgpr3_vgpr4
.LBB111_19:
	s_andn2_saveexec_b64 s[0:1], s[0:1]
	s_cbranch_execz .LBB111_21
; %bb.20:
	v_lshlrev_b32_e32 v26, 2, v9
	v_ashrrev_i32_e32 v27, 31, v26
	v_lshlrev_b64 v[26:27], 4, v[26:27]
	s_waitcnt lgkmcnt(0)
	v_mov_b32_e32 v0, s3
	v_add_co_u32_e32 v42, vcc, s2, v26
	v_addc_co_u32_e32 v43, vcc, v0, v27, vcc
	global_load_dwordx4 v[26:29], v[42:43], off
	global_load_dwordx4 v[30:33], v[42:43], off offset:16
	global_load_dwordx4 v[34:37], v[42:43], off offset:32
	;; [unrolled: 1-line block ×3, first 2 shown]
	v_mul_f64 v[44:45], v[24:25], -v[3:4]
	v_mul_f64 v[24:25], v[1:2], v[24:25]
	v_mul_f64 v[46:47], v[22:23], -v[3:4]
	v_mul_f64 v[22:23], v[1:2], v[22:23]
	;; [unrolled: 2-line block ×4, first 2 shown]
	v_fma_f64 v[44:45], v[1:2], v[16:17], v[44:45]
	v_fma_f64 v[16:17], v[3:4], v[16:17], v[24:25]
	;; [unrolled: 1-line block ×8, first 2 shown]
	s_waitcnt vmcnt(3)
	v_fma_f64 v[13:14], v[5:6], v[26:27], v[44:45]
	v_fma_f64 v[15:16], v[7:8], v[26:27], v[16:17]
	s_waitcnt vmcnt(2)
	v_fma_f64 v[17:18], v[5:6], v[30:31], v[24:25]
	v_fma_f64 v[19:20], v[7:8], v[30:31], v[9:10]
	;; [unrolled: 3-line block ×4, first 2 shown]
	v_fma_f64 v[0:1], -v[7:8], v[28:29], v[13:14]
	v_fma_f64 v[2:3], v[5:6], v[28:29], v[15:16]
	v_fma_f64 v[9:10], -v[7:8], v[32:33], v[17:18]
	v_fma_f64 v[11:12], v[5:6], v[32:33], v[19:20]
	;; [unrolled: 2-line block ×4, first 2 shown]
	global_store_dwordx4 v[42:43], v[0:3], off
	global_store_dwordx4 v[42:43], v[9:12], off offset:16
	global_store_dwordx4 v[42:43], v[13:16], off offset:32
	global_store_dwordx4 v[42:43], v[17:20], off offset:48
.LBB111_21:
	s_endpgm
	.section	.rodata,"a",@progbits
	.p2align	6, 0x0
	.amdhsa_kernel _ZN9rocsparseL19gebsrmvn_4xn_kernelILj128ELj1ELj4E21rocsparse_complex_numIdEEEvi20rocsparse_direction_NS_24const_host_device_scalarIT2_EEPKiS8_PKS5_SA_S6_PS5_21rocsparse_index_base_b
		.amdhsa_group_segment_fixed_size 0
		.amdhsa_private_segment_fixed_size 0
		.amdhsa_kernarg_size 88
		.amdhsa_user_sgpr_count 6
		.amdhsa_user_sgpr_private_segment_buffer 1
		.amdhsa_user_sgpr_dispatch_ptr 0
		.amdhsa_user_sgpr_queue_ptr 0
		.amdhsa_user_sgpr_kernarg_segment_ptr 1
		.amdhsa_user_sgpr_dispatch_id 0
		.amdhsa_user_sgpr_flat_scratch_init 0
		.amdhsa_user_sgpr_private_segment_size 0
		.amdhsa_uses_dynamic_stack 0
		.amdhsa_system_sgpr_private_segment_wavefront_offset 0
		.amdhsa_system_sgpr_workgroup_id_x 1
		.amdhsa_system_sgpr_workgroup_id_y 0
		.amdhsa_system_sgpr_workgroup_id_z 0
		.amdhsa_system_sgpr_workgroup_info 0
		.amdhsa_system_vgpr_workitem_id 0
		.amdhsa_next_free_vgpr 55
		.amdhsa_next_free_sgpr 16
		.amdhsa_reserve_vcc 1
		.amdhsa_reserve_flat_scratch 0
		.amdhsa_float_round_mode_32 0
		.amdhsa_float_round_mode_16_64 0
		.amdhsa_float_denorm_mode_32 3
		.amdhsa_float_denorm_mode_16_64 3
		.amdhsa_dx10_clamp 1
		.amdhsa_ieee_mode 1
		.amdhsa_fp16_overflow 0
		.amdhsa_exception_fp_ieee_invalid_op 0
		.amdhsa_exception_fp_denorm_src 0
		.amdhsa_exception_fp_ieee_div_zero 0
		.amdhsa_exception_fp_ieee_overflow 0
		.amdhsa_exception_fp_ieee_underflow 0
		.amdhsa_exception_fp_ieee_inexact 0
		.amdhsa_exception_int_div_zero 0
	.end_amdhsa_kernel
	.section	.text._ZN9rocsparseL19gebsrmvn_4xn_kernelILj128ELj1ELj4E21rocsparse_complex_numIdEEEvi20rocsparse_direction_NS_24const_host_device_scalarIT2_EEPKiS8_PKS5_SA_S6_PS5_21rocsparse_index_base_b,"axG",@progbits,_ZN9rocsparseL19gebsrmvn_4xn_kernelILj128ELj1ELj4E21rocsparse_complex_numIdEEEvi20rocsparse_direction_NS_24const_host_device_scalarIT2_EEPKiS8_PKS5_SA_S6_PS5_21rocsparse_index_base_b,comdat
.Lfunc_end111:
	.size	_ZN9rocsparseL19gebsrmvn_4xn_kernelILj128ELj1ELj4E21rocsparse_complex_numIdEEEvi20rocsparse_direction_NS_24const_host_device_scalarIT2_EEPKiS8_PKS5_SA_S6_PS5_21rocsparse_index_base_b, .Lfunc_end111-_ZN9rocsparseL19gebsrmvn_4xn_kernelILj128ELj1ELj4E21rocsparse_complex_numIdEEEvi20rocsparse_direction_NS_24const_host_device_scalarIT2_EEPKiS8_PKS5_SA_S6_PS5_21rocsparse_index_base_b
                                        ; -- End function
	.set _ZN9rocsparseL19gebsrmvn_4xn_kernelILj128ELj1ELj4E21rocsparse_complex_numIdEEEvi20rocsparse_direction_NS_24const_host_device_scalarIT2_EEPKiS8_PKS5_SA_S6_PS5_21rocsparse_index_base_b.num_vgpr, 55
	.set _ZN9rocsparseL19gebsrmvn_4xn_kernelILj128ELj1ELj4E21rocsparse_complex_numIdEEEvi20rocsparse_direction_NS_24const_host_device_scalarIT2_EEPKiS8_PKS5_SA_S6_PS5_21rocsparse_index_base_b.num_agpr, 0
	.set _ZN9rocsparseL19gebsrmvn_4xn_kernelILj128ELj1ELj4E21rocsparse_complex_numIdEEEvi20rocsparse_direction_NS_24const_host_device_scalarIT2_EEPKiS8_PKS5_SA_S6_PS5_21rocsparse_index_base_b.numbered_sgpr, 16
	.set _ZN9rocsparseL19gebsrmvn_4xn_kernelILj128ELj1ELj4E21rocsparse_complex_numIdEEEvi20rocsparse_direction_NS_24const_host_device_scalarIT2_EEPKiS8_PKS5_SA_S6_PS5_21rocsparse_index_base_b.num_named_barrier, 0
	.set _ZN9rocsparseL19gebsrmvn_4xn_kernelILj128ELj1ELj4E21rocsparse_complex_numIdEEEvi20rocsparse_direction_NS_24const_host_device_scalarIT2_EEPKiS8_PKS5_SA_S6_PS5_21rocsparse_index_base_b.private_seg_size, 0
	.set _ZN9rocsparseL19gebsrmvn_4xn_kernelILj128ELj1ELj4E21rocsparse_complex_numIdEEEvi20rocsparse_direction_NS_24const_host_device_scalarIT2_EEPKiS8_PKS5_SA_S6_PS5_21rocsparse_index_base_b.uses_vcc, 1
	.set _ZN9rocsparseL19gebsrmvn_4xn_kernelILj128ELj1ELj4E21rocsparse_complex_numIdEEEvi20rocsparse_direction_NS_24const_host_device_scalarIT2_EEPKiS8_PKS5_SA_S6_PS5_21rocsparse_index_base_b.uses_flat_scratch, 0
	.set _ZN9rocsparseL19gebsrmvn_4xn_kernelILj128ELj1ELj4E21rocsparse_complex_numIdEEEvi20rocsparse_direction_NS_24const_host_device_scalarIT2_EEPKiS8_PKS5_SA_S6_PS5_21rocsparse_index_base_b.has_dyn_sized_stack, 0
	.set _ZN9rocsparseL19gebsrmvn_4xn_kernelILj128ELj1ELj4E21rocsparse_complex_numIdEEEvi20rocsparse_direction_NS_24const_host_device_scalarIT2_EEPKiS8_PKS5_SA_S6_PS5_21rocsparse_index_base_b.has_recursion, 0
	.set _ZN9rocsparseL19gebsrmvn_4xn_kernelILj128ELj1ELj4E21rocsparse_complex_numIdEEEvi20rocsparse_direction_NS_24const_host_device_scalarIT2_EEPKiS8_PKS5_SA_S6_PS5_21rocsparse_index_base_b.has_indirect_call, 0
	.section	.AMDGPU.csdata,"",@progbits
; Kernel info:
; codeLenInByte = 2164
; TotalNumSgprs: 20
; NumVgprs: 55
; ScratchSize: 0
; MemoryBound: 0
; FloatMode: 240
; IeeeMode: 1
; LDSByteSize: 0 bytes/workgroup (compile time only)
; SGPRBlocks: 2
; VGPRBlocks: 13
; NumSGPRsForWavesPerEU: 20
; NumVGPRsForWavesPerEU: 55
; Occupancy: 4
; WaveLimiterHint : 1
; COMPUTE_PGM_RSRC2:SCRATCH_EN: 0
; COMPUTE_PGM_RSRC2:USER_SGPR: 6
; COMPUTE_PGM_RSRC2:TRAP_HANDLER: 0
; COMPUTE_PGM_RSRC2:TGID_X_EN: 1
; COMPUTE_PGM_RSRC2:TGID_Y_EN: 0
; COMPUTE_PGM_RSRC2:TGID_Z_EN: 0
; COMPUTE_PGM_RSRC2:TIDIG_COMP_CNT: 0
	.section	.text._ZN9rocsparseL19gebsrmvn_4xn_kernelILj128ELj1ELj8E21rocsparse_complex_numIdEEEvi20rocsparse_direction_NS_24const_host_device_scalarIT2_EEPKiS8_PKS5_SA_S6_PS5_21rocsparse_index_base_b,"axG",@progbits,_ZN9rocsparseL19gebsrmvn_4xn_kernelILj128ELj1ELj8E21rocsparse_complex_numIdEEEvi20rocsparse_direction_NS_24const_host_device_scalarIT2_EEPKiS8_PKS5_SA_S6_PS5_21rocsparse_index_base_b,comdat
	.globl	_ZN9rocsparseL19gebsrmvn_4xn_kernelILj128ELj1ELj8E21rocsparse_complex_numIdEEEvi20rocsparse_direction_NS_24const_host_device_scalarIT2_EEPKiS8_PKS5_SA_S6_PS5_21rocsparse_index_base_b ; -- Begin function _ZN9rocsparseL19gebsrmvn_4xn_kernelILj128ELj1ELj8E21rocsparse_complex_numIdEEEvi20rocsparse_direction_NS_24const_host_device_scalarIT2_EEPKiS8_PKS5_SA_S6_PS5_21rocsparse_index_base_b
	.p2align	8
	.type	_ZN9rocsparseL19gebsrmvn_4xn_kernelILj128ELj1ELj8E21rocsparse_complex_numIdEEEvi20rocsparse_direction_NS_24const_host_device_scalarIT2_EEPKiS8_PKS5_SA_S6_PS5_21rocsparse_index_base_b,@function
_ZN9rocsparseL19gebsrmvn_4xn_kernelILj128ELj1ELj8E21rocsparse_complex_numIdEEEvi20rocsparse_direction_NS_24const_host_device_scalarIT2_EEPKiS8_PKS5_SA_S6_PS5_21rocsparse_index_base_b: ; @_ZN9rocsparseL19gebsrmvn_4xn_kernelILj128ELj1ELj8E21rocsparse_complex_numIdEEEvi20rocsparse_direction_NS_24const_host_device_scalarIT2_EEPKiS8_PKS5_SA_S6_PS5_21rocsparse_index_base_b
; %bb.0:
	s_load_dwordx2 s[0:1], s[4:5], 0x8
	s_load_dwordx2 s[8:9], s[4:5], 0x38
	;; [unrolled: 1-line block ×3, first 2 shown]
	s_add_u32 s7, s4, 8
	s_addc_u32 s10, s5, 0
	s_add_u32 s11, s4, 56
	s_addc_u32 s12, s5, 0
	s_waitcnt lgkmcnt(0)
	s_bitcmp1_b32 s3, 0
	s_cselect_b32 s1, s10, s1
	s_cselect_b32 s0, s7, s0
	v_mov_b32_e32 v1, s0
	v_mov_b32_e32 v2, s1
	flat_load_dwordx4 v[1:4], v[1:2]
	s_cselect_b32 s0, s12, s9
	s_cselect_b32 s1, s11, s8
	v_mov_b32_e32 v5, s1
	v_mov_b32_e32 v6, s0
	flat_load_dwordx4 v[5:8], v[5:6]
	s_waitcnt vmcnt(0) lgkmcnt(0)
	v_cmp_eq_f64_e32 vcc, 0, v[1:2]
	v_cmp_eq_f64_e64 s[0:1], 0, v[3:4]
	s_and_b64 s[10:11], vcc, s[0:1]
	s_mov_b64 s[0:1], -1
	s_and_saveexec_b64 s[8:9], s[10:11]
	s_cbranch_execz .LBB112_2
; %bb.1:
	v_cmp_neq_f64_e32 vcc, 1.0, v[5:6]
	v_cmp_neq_f64_e64 s[0:1], 0, v[7:8]
	s_or_b64 s[0:1], vcc, s[0:1]
	s_orn2_b64 s[0:1], s[0:1], exec
.LBB112_2:
	s_or_b64 exec, exec, s[8:9]
	s_and_saveexec_b64 s[8:9], s[0:1]
	s_cbranch_execz .LBB112_21
; %bb.3:
	s_load_dwordx2 s[0:1], s[4:5], 0x0
	v_lshrrev_b32_e32 v9, 3, v0
	v_lshl_or_b32 v9, s6, 4, v9
	s_waitcnt lgkmcnt(0)
	v_cmp_gt_i32_e32 vcc, s0, v9
	s_and_b64 exec, exec, vcc
	s_cbranch_execz .LBB112_21
; %bb.4:
	s_load_dwordx8 s[8:15], s[4:5], 0x18
	v_ashrrev_i32_e32 v10, 31, v9
	v_lshlrev_b64 v[10:11], 2, v[9:10]
	v_and_b32_e32 v0, 7, v0
	s_cmp_lg_u32 s1, 0
	s_waitcnt lgkmcnt(0)
	v_mov_b32_e32 v12, s9
	v_add_co_u32_e32 v10, vcc, s8, v10
	v_addc_co_u32_e32 v11, vcc, v12, v11, vcc
	global_load_dwordx2 v[10:11], v[10:11], off
	s_waitcnt vmcnt(0)
	v_subrev_u32_e32 v10, s2, v10
	v_subrev_u32_e32 v32, s2, v11
	v_add_u32_e32 v20, v10, v0
	v_cmp_lt_i32_e64 s[0:1], v20, v32
	s_cbranch_scc0 .LBB112_10
; %bb.5:
	v_mov_b32_e32 v16, 0
	v_mov_b32_e32 v26, 0
	v_mov_b32_e32 v12, 0
	v_mov_b32_e32 v10, 0
	v_mov_b32_e32 v18, 0
	v_mov_b32_e32 v14, 0
	v_mov_b32_e32 v24, 0
	v_mov_b32_e32 v22, 0
	v_mov_b32_e32 v17, 0
	v_mov_b32_e32 v27, 0
	v_mov_b32_e32 v13, 0
	v_mov_b32_e32 v11, 0
	v_mov_b32_e32 v19, 0
	v_mov_b32_e32 v15, 0
	v_mov_b32_e32 v25, 0
	v_mov_b32_e32 v23, 0
	s_and_saveexec_b64 s[6:7], s[0:1]
	s_cbranch_execz .LBB112_9
; %bb.6:
	v_mov_b32_e32 v16, 0
	v_mov_b32_e32 v26, 0
	;; [unrolled: 1-line block ×8, first 2 shown]
	v_lshlrev_b32_e32 v28, 2, v20
	v_mov_b32_e32 v17, 0
	s_mov_b64 s[8:9], 0
	v_mov_b32_e32 v21, s11
	v_mov_b32_e32 v29, 0
	;; [unrolled: 1-line block ×12, first 2 shown]
.LBB112_7:                              ; =>This Inner Loop Header: Depth=1
	v_ashrrev_i32_e32 v31, 31, v30
	v_lshlrev_b64 v[35:36], 2, v[30:31]
	v_mov_b32_e32 v52, v29
	v_add_co_u32_e32 v35, vcc, s10, v35
	v_addc_co_u32_e32 v36, vcc, v21, v36, vcc
	global_load_dword v31, v[35:36], off
	v_lshlrev_b64 v[35:36], 4, v[28:29]
	v_add_u32_e32 v30, 8, v30
	v_add_co_u32_e32 v53, vcc, s12, v35
	v_addc_co_u32_e32 v54, vcc, v33, v36, vcc
	global_load_dwordx4 v[35:38], v[53:54], off
	global_load_dwordx4 v[39:42], v[53:54], off offset:16
	global_load_dwordx4 v[43:46], v[53:54], off offset:32
	;; [unrolled: 1-line block ×3, first 2 shown]
	v_add_u32_e32 v28, 32, v28
	s_waitcnt vmcnt(4)
	v_subrev_u32_e32 v51, s2, v31
	v_lshlrev_b64 v[51:52], 4, v[51:52]
	v_add_co_u32_e32 v51, vcc, s14, v51
	v_addc_co_u32_e32 v52, vcc, v34, v52, vcc
	global_load_dwordx4 v[51:54], v[51:52], off
	v_cmp_ge_i32_e32 vcc, v30, v32
	s_or_b64 s[8:9], vcc, s[8:9]
	s_waitcnt vmcnt(0)
	v_fma_f64 v[26:27], v[35:36], v[51:52], v[26:27]
	v_fma_f64 v[16:17], v[37:38], v[51:52], v[16:17]
	;; [unrolled: 1-line block ×8, first 2 shown]
	v_fma_f64 v[26:27], -v[37:38], v[53:54], v[26:27]
	v_fma_f64 v[16:17], v[35:36], v[53:54], v[16:17]
	v_fma_f64 v[24:25], -v[41:42], v[53:54], v[24:25]
	v_fma_f64 v[22:23], v[39:40], v[53:54], v[22:23]
	;; [unrolled: 2-line block ×4, first 2 shown]
	s_andn2_b64 exec, exec, s[8:9]
	s_cbranch_execnz .LBB112_7
; %bb.8:
	s_or_b64 exec, exec, s[8:9]
.LBB112_9:
	s_or_b64 exec, exec, s[6:7]
	s_cbranch_execz .LBB112_11
	s_branch .LBB112_16
.LBB112_10:
                                        ; implicit-def: $vgpr16_vgpr17
                                        ; implicit-def: $vgpr26_vgpr27
                                        ; implicit-def: $vgpr12_vgpr13
                                        ; implicit-def: $vgpr10_vgpr11
                                        ; implicit-def: $vgpr18_vgpr19
                                        ; implicit-def: $vgpr14_vgpr15
                                        ; implicit-def: $vgpr24_vgpr25
                                        ; implicit-def: $vgpr22_vgpr23
.LBB112_11:
	v_mov_b32_e32 v16, 0
	v_mov_b32_e32 v26, 0
	;; [unrolled: 1-line block ×16, first 2 shown]
	s_and_saveexec_b64 s[6:7], s[0:1]
	s_cbranch_execz .LBB112_15
; %bb.12:
	v_mov_b32_e32 v16, 0
	v_mov_b32_e32 v26, 0
	;; [unrolled: 1-line block ×8, first 2 shown]
	v_lshlrev_b32_e32 v28, 2, v20
	v_mov_b32_e32 v17, 0
	s_mov_b64 s[0:1], 0
	v_mov_b32_e32 v30, s11
	v_mov_b32_e32 v29, 0
	;; [unrolled: 1-line block ×11, first 2 shown]
.LBB112_13:                             ; =>This Inner Loop Header: Depth=1
	v_ashrrev_i32_e32 v21, 31, v20
	v_lshlrev_b64 v[34:35], 2, v[20:21]
	v_mov_b32_e32 v51, v29
	v_add_co_u32_e32 v34, vcc, s10, v34
	v_addc_co_u32_e32 v35, vcc, v30, v35, vcc
	global_load_dword v21, v[34:35], off
	v_lshlrev_b64 v[34:35], 4, v[28:29]
	v_add_u32_e32 v20, 8, v20
	v_add_co_u32_e32 v52, vcc, s12, v34
	v_addc_co_u32_e32 v53, vcc, v31, v35, vcc
	global_load_dwordx4 v[34:37], v[52:53], off
	global_load_dwordx4 v[38:41], v[52:53], off offset:16
	global_load_dwordx4 v[42:45], v[52:53], off offset:32
	;; [unrolled: 1-line block ×3, first 2 shown]
	v_add_u32_e32 v28, 32, v28
	s_waitcnt vmcnt(4)
	v_subrev_u32_e32 v50, s2, v21
	v_lshlrev_b64 v[50:51], 4, v[50:51]
	v_add_co_u32_e32 v50, vcc, s14, v50
	v_addc_co_u32_e32 v51, vcc, v33, v51, vcc
	global_load_dwordx4 v[50:53], v[50:51], off
	v_cmp_ge_i32_e32 vcc, v20, v32
	s_or_b64 s[0:1], vcc, s[0:1]
	s_waitcnt vmcnt(0)
	v_fma_f64 v[26:27], v[34:35], v[50:51], v[26:27]
	v_fma_f64 v[16:17], v[36:37], v[50:51], v[16:17]
	;; [unrolled: 1-line block ×8, first 2 shown]
	v_fma_f64 v[26:27], -v[36:37], v[52:53], v[26:27]
	v_fma_f64 v[16:17], v[34:35], v[52:53], v[16:17]
	v_fma_f64 v[24:25], -v[40:41], v[52:53], v[24:25]
	v_fma_f64 v[22:23], v[38:39], v[52:53], v[21:22]
	;; [unrolled: 2-line block ×4, first 2 shown]
	s_andn2_b64 exec, exec, s[0:1]
	s_cbranch_execnz .LBB112_13
; %bb.14:
	s_or_b64 exec, exec, s[0:1]
.LBB112_15:
	s_or_b64 exec, exec, s[6:7]
.LBB112_16:
	v_mov_b32_dpp v20, v26 row_shr:1 row_mask:0xf bank_mask:0xf
	v_mov_b32_dpp v21, v27 row_shr:1 row_mask:0xf bank_mask:0xf
	;; [unrolled: 1-line block ×4, first 2 shown]
	v_add_f64 v[20:21], v[26:27], v[20:21]
	v_mov_b32_dpp v26, v16 row_shr:1 row_mask:0xf bank_mask:0xf
	v_mov_b32_dpp v27, v17 row_shr:1 row_mask:0xf bank_mask:0xf
	v_add_f64 v[24:25], v[24:25], v[28:29]
	v_mov_b32_dpp v28, v22 row_shr:1 row_mask:0xf bank_mask:0xf
	v_mov_b32_dpp v29, v23 row_shr:1 row_mask:0xf bank_mask:0xf
	v_add_f64 v[26:27], v[16:17], v[26:27]
	v_add_f64 v[28:29], v[22:23], v[28:29]
	v_mov_b32_dpp v16, v20 row_shr:2 row_mask:0xf bank_mask:0xf
	v_mov_b32_dpp v17, v21 row_shr:2 row_mask:0xf bank_mask:0xf
	v_add_f64 v[16:17], v[20:21], v[16:17]
	v_mov_b32_dpp v22, v24 row_shr:2 row_mask:0xf bank_mask:0xf
	v_mov_b32_dpp v23, v25 row_shr:2 row_mask:0xf bank_mask:0xf
	;; [unrolled: 3-line block ×3, first 2 shown]
	v_mov_b32_dpp v24, v28 row_shr:2 row_mask:0xf bank_mask:0xf
	v_mov_b32_dpp v25, v29 row_shr:2 row_mask:0xf bank_mask:0xf
	v_add_f64 v[20:21], v[26:27], v[20:21]
	v_add_f64 v[26:27], v[28:29], v[24:25]
	v_mov_b32_dpp v24, v18 row_shr:1 row_mask:0xf bank_mask:0xf
	v_mov_b32_dpp v25, v19 row_shr:1 row_mask:0xf bank_mask:0xf
	v_add_f64 v[32:33], v[18:19], v[24:25]
	v_mov_b32_dpp v36, v14 row_shr:1 row_mask:0xf bank_mask:0xf
	v_mov_b32_dpp v37, v15 row_shr:1 row_mask:0xf bank_mask:0xf
	;; [unrolled: 3-line block ×9, first 2 shown]
	v_mov_b32_dpp v24, v20 row_shr:4 row_mask:0xf bank_mask:0xe
	v_mov_b32_dpp v25, v21 row_shr:4 row_mask:0xf bank_mask:0xe
	;; [unrolled: 1-line block ×14, first 2 shown]
	v_cmp_eq_u32_e32 vcc, 7, v0
	s_and_b64 exec, exec, vcc
	s_cbranch_execz .LBB112_21
; %bb.17:
	v_cmp_eq_f64_e32 vcc, 0, v[5:6]
	v_cmp_eq_f64_e64 s[0:1], 0, v[7:8]
	v_add_f64 v[16:17], v[16:17], v[30:31]
	v_add_f64 v[24:25], v[20:21], v[24:25]
	;; [unrolled: 1-line block ×8, first 2 shown]
	s_load_dwordx2 s[2:3], s[4:5], 0x48
	s_and_b64 s[0:1], vcc, s[0:1]
	s_and_saveexec_b64 s[4:5], s[0:1]
	s_xor_b64 s[0:1], exec, s[4:5]
	s_cbranch_execz .LBB112_19
; %bb.18:
	v_mul_f64 v[5:6], v[24:25], -v[3:4]
	v_mul_f64 v[7:8], v[1:2], v[24:25]
	v_mul_f64 v[26:27], v[22:23], -v[3:4]
	v_mul_f64 v[22:23], v[1:2], v[22:23]
	;; [unrolled: 2-line block ×4, first 2 shown]
	v_fma_f64 v[5:6], v[1:2], v[16:17], v[5:6]
	v_fma_f64 v[7:8], v[3:4], v[16:17], v[7:8]
	;; [unrolled: 1-line block ×4, first 2 shown]
	v_lshlrev_b32_e32 v24, 2, v9
	v_fma_f64 v[9:10], v[1:2], v[12:13], v[28:29]
	v_fma_f64 v[11:12], v[3:4], v[12:13], v[30:31]
	v_ashrrev_i32_e32 v25, 31, v24
	v_fma_f64 v[0:1], v[1:2], v[14:15], v[32:33]
	v_fma_f64 v[2:3], v[3:4], v[14:15], v[20:21]
	v_lshlrev_b64 v[24:25], 4, v[24:25]
	s_waitcnt lgkmcnt(0)
	v_mov_b32_e32 v34, s3
	v_add_co_u32_e32 v13, vcc, s2, v24
	v_addc_co_u32_e32 v14, vcc, v34, v25, vcc
	global_store_dwordx4 v[13:14], v[5:8], off
	global_store_dwordx4 v[13:14], v[16:19], off offset:16
	global_store_dwordx4 v[13:14], v[9:12], off offset:32
	;; [unrolled: 1-line block ×3, first 2 shown]
                                        ; implicit-def: $vgpr9
                                        ; implicit-def: $vgpr16_vgpr17
                                        ; implicit-def: $vgpr24_vgpr25
                                        ; implicit-def: $vgpr10_vgpr11
                                        ; implicit-def: $vgpr22_vgpr23
                                        ; implicit-def: $vgpr12_vgpr13
                                        ; implicit-def: $vgpr18_vgpr19
                                        ; implicit-def: $vgpr14_vgpr15
                                        ; implicit-def: $vgpr20_vgpr21
                                        ; implicit-def: $vgpr7_vgpr8
                                        ; implicit-def: $vgpr3_vgpr4
.LBB112_19:
	s_andn2_saveexec_b64 s[0:1], s[0:1]
	s_cbranch_execz .LBB112_21
; %bb.20:
	v_lshlrev_b32_e32 v26, 2, v9
	v_ashrrev_i32_e32 v27, 31, v26
	v_lshlrev_b64 v[26:27], 4, v[26:27]
	s_waitcnt lgkmcnt(0)
	v_mov_b32_e32 v0, s3
	v_add_co_u32_e32 v42, vcc, s2, v26
	v_addc_co_u32_e32 v43, vcc, v0, v27, vcc
	global_load_dwordx4 v[26:29], v[42:43], off
	global_load_dwordx4 v[30:33], v[42:43], off offset:16
	global_load_dwordx4 v[34:37], v[42:43], off offset:32
	;; [unrolled: 1-line block ×3, first 2 shown]
	v_mul_f64 v[44:45], v[24:25], -v[3:4]
	v_mul_f64 v[24:25], v[1:2], v[24:25]
	v_mul_f64 v[46:47], v[22:23], -v[3:4]
	v_mul_f64 v[22:23], v[1:2], v[22:23]
	;; [unrolled: 2-line block ×4, first 2 shown]
	v_fma_f64 v[44:45], v[1:2], v[16:17], v[44:45]
	v_fma_f64 v[16:17], v[3:4], v[16:17], v[24:25]
	v_fma_f64 v[24:25], v[1:2], v[10:11], v[46:47]
	v_fma_f64 v[9:10], v[3:4], v[10:11], v[22:23]
	v_fma_f64 v[22:23], v[1:2], v[12:13], v[48:49]
	v_fma_f64 v[11:12], v[3:4], v[12:13], v[18:19]
	v_fma_f64 v[0:1], v[1:2], v[14:15], v[50:51]
	v_fma_f64 v[2:3], v[3:4], v[14:15], v[20:21]
	s_waitcnt vmcnt(3)
	v_fma_f64 v[13:14], v[5:6], v[26:27], v[44:45]
	v_fma_f64 v[15:16], v[7:8], v[26:27], v[16:17]
	s_waitcnt vmcnt(2)
	v_fma_f64 v[17:18], v[5:6], v[30:31], v[24:25]
	v_fma_f64 v[19:20], v[7:8], v[30:31], v[9:10]
	;; [unrolled: 3-line block ×4, first 2 shown]
	v_fma_f64 v[0:1], -v[7:8], v[28:29], v[13:14]
	v_fma_f64 v[2:3], v[5:6], v[28:29], v[15:16]
	v_fma_f64 v[9:10], -v[7:8], v[32:33], v[17:18]
	v_fma_f64 v[11:12], v[5:6], v[32:33], v[19:20]
	v_fma_f64 v[13:14], -v[7:8], v[36:37], v[21:22]
	v_fma_f64 v[15:16], v[5:6], v[36:37], v[23:24]
	v_fma_f64 v[17:18], -v[7:8], v[40:41], v[25:26]
	v_fma_f64 v[19:20], v[5:6], v[40:41], v[30:31]
	global_store_dwordx4 v[42:43], v[0:3], off
	global_store_dwordx4 v[42:43], v[9:12], off offset:16
	global_store_dwordx4 v[42:43], v[13:16], off offset:32
	;; [unrolled: 1-line block ×3, first 2 shown]
.LBB112_21:
	s_endpgm
	.section	.rodata,"a",@progbits
	.p2align	6, 0x0
	.amdhsa_kernel _ZN9rocsparseL19gebsrmvn_4xn_kernelILj128ELj1ELj8E21rocsparse_complex_numIdEEEvi20rocsparse_direction_NS_24const_host_device_scalarIT2_EEPKiS8_PKS5_SA_S6_PS5_21rocsparse_index_base_b
		.amdhsa_group_segment_fixed_size 0
		.amdhsa_private_segment_fixed_size 0
		.amdhsa_kernarg_size 88
		.amdhsa_user_sgpr_count 6
		.amdhsa_user_sgpr_private_segment_buffer 1
		.amdhsa_user_sgpr_dispatch_ptr 0
		.amdhsa_user_sgpr_queue_ptr 0
		.amdhsa_user_sgpr_kernarg_segment_ptr 1
		.amdhsa_user_sgpr_dispatch_id 0
		.amdhsa_user_sgpr_flat_scratch_init 0
		.amdhsa_user_sgpr_private_segment_size 0
		.amdhsa_uses_dynamic_stack 0
		.amdhsa_system_sgpr_private_segment_wavefront_offset 0
		.amdhsa_system_sgpr_workgroup_id_x 1
		.amdhsa_system_sgpr_workgroup_id_y 0
		.amdhsa_system_sgpr_workgroup_id_z 0
		.amdhsa_system_sgpr_workgroup_info 0
		.amdhsa_system_vgpr_workitem_id 0
		.amdhsa_next_free_vgpr 55
		.amdhsa_next_free_sgpr 16
		.amdhsa_reserve_vcc 1
		.amdhsa_reserve_flat_scratch 0
		.amdhsa_float_round_mode_32 0
		.amdhsa_float_round_mode_16_64 0
		.amdhsa_float_denorm_mode_32 3
		.amdhsa_float_denorm_mode_16_64 3
		.amdhsa_dx10_clamp 1
		.amdhsa_ieee_mode 1
		.amdhsa_fp16_overflow 0
		.amdhsa_exception_fp_ieee_invalid_op 0
		.amdhsa_exception_fp_denorm_src 0
		.amdhsa_exception_fp_ieee_div_zero 0
		.amdhsa_exception_fp_ieee_overflow 0
		.amdhsa_exception_fp_ieee_underflow 0
		.amdhsa_exception_fp_ieee_inexact 0
		.amdhsa_exception_int_div_zero 0
	.end_amdhsa_kernel
	.section	.text._ZN9rocsparseL19gebsrmvn_4xn_kernelILj128ELj1ELj8E21rocsparse_complex_numIdEEEvi20rocsparse_direction_NS_24const_host_device_scalarIT2_EEPKiS8_PKS5_SA_S6_PS5_21rocsparse_index_base_b,"axG",@progbits,_ZN9rocsparseL19gebsrmvn_4xn_kernelILj128ELj1ELj8E21rocsparse_complex_numIdEEEvi20rocsparse_direction_NS_24const_host_device_scalarIT2_EEPKiS8_PKS5_SA_S6_PS5_21rocsparse_index_base_b,comdat
.Lfunc_end112:
	.size	_ZN9rocsparseL19gebsrmvn_4xn_kernelILj128ELj1ELj8E21rocsparse_complex_numIdEEEvi20rocsparse_direction_NS_24const_host_device_scalarIT2_EEPKiS8_PKS5_SA_S6_PS5_21rocsparse_index_base_b, .Lfunc_end112-_ZN9rocsparseL19gebsrmvn_4xn_kernelILj128ELj1ELj8E21rocsparse_complex_numIdEEEvi20rocsparse_direction_NS_24const_host_device_scalarIT2_EEPKiS8_PKS5_SA_S6_PS5_21rocsparse_index_base_b
                                        ; -- End function
	.set _ZN9rocsparseL19gebsrmvn_4xn_kernelILj128ELj1ELj8E21rocsparse_complex_numIdEEEvi20rocsparse_direction_NS_24const_host_device_scalarIT2_EEPKiS8_PKS5_SA_S6_PS5_21rocsparse_index_base_b.num_vgpr, 55
	.set _ZN9rocsparseL19gebsrmvn_4xn_kernelILj128ELj1ELj8E21rocsparse_complex_numIdEEEvi20rocsparse_direction_NS_24const_host_device_scalarIT2_EEPKiS8_PKS5_SA_S6_PS5_21rocsparse_index_base_b.num_agpr, 0
	.set _ZN9rocsparseL19gebsrmvn_4xn_kernelILj128ELj1ELj8E21rocsparse_complex_numIdEEEvi20rocsparse_direction_NS_24const_host_device_scalarIT2_EEPKiS8_PKS5_SA_S6_PS5_21rocsparse_index_base_b.numbered_sgpr, 16
	.set _ZN9rocsparseL19gebsrmvn_4xn_kernelILj128ELj1ELj8E21rocsparse_complex_numIdEEEvi20rocsparse_direction_NS_24const_host_device_scalarIT2_EEPKiS8_PKS5_SA_S6_PS5_21rocsparse_index_base_b.num_named_barrier, 0
	.set _ZN9rocsparseL19gebsrmvn_4xn_kernelILj128ELj1ELj8E21rocsparse_complex_numIdEEEvi20rocsparse_direction_NS_24const_host_device_scalarIT2_EEPKiS8_PKS5_SA_S6_PS5_21rocsparse_index_base_b.private_seg_size, 0
	.set _ZN9rocsparseL19gebsrmvn_4xn_kernelILj128ELj1ELj8E21rocsparse_complex_numIdEEEvi20rocsparse_direction_NS_24const_host_device_scalarIT2_EEPKiS8_PKS5_SA_S6_PS5_21rocsparse_index_base_b.uses_vcc, 1
	.set _ZN9rocsparseL19gebsrmvn_4xn_kernelILj128ELj1ELj8E21rocsparse_complex_numIdEEEvi20rocsparse_direction_NS_24const_host_device_scalarIT2_EEPKiS8_PKS5_SA_S6_PS5_21rocsparse_index_base_b.uses_flat_scratch, 0
	.set _ZN9rocsparseL19gebsrmvn_4xn_kernelILj128ELj1ELj8E21rocsparse_complex_numIdEEEvi20rocsparse_direction_NS_24const_host_device_scalarIT2_EEPKiS8_PKS5_SA_S6_PS5_21rocsparse_index_base_b.has_dyn_sized_stack, 0
	.set _ZN9rocsparseL19gebsrmvn_4xn_kernelILj128ELj1ELj8E21rocsparse_complex_numIdEEEvi20rocsparse_direction_NS_24const_host_device_scalarIT2_EEPKiS8_PKS5_SA_S6_PS5_21rocsparse_index_base_b.has_recursion, 0
	.set _ZN9rocsparseL19gebsrmvn_4xn_kernelILj128ELj1ELj8E21rocsparse_complex_numIdEEEvi20rocsparse_direction_NS_24const_host_device_scalarIT2_EEPKiS8_PKS5_SA_S6_PS5_21rocsparse_index_base_b.has_indirect_call, 0
	.section	.AMDGPU.csdata,"",@progbits
; Kernel info:
; codeLenInByte = 2356
; TotalNumSgprs: 20
; NumVgprs: 55
; ScratchSize: 0
; MemoryBound: 0
; FloatMode: 240
; IeeeMode: 1
; LDSByteSize: 0 bytes/workgroup (compile time only)
; SGPRBlocks: 2
; VGPRBlocks: 13
; NumSGPRsForWavesPerEU: 20
; NumVGPRsForWavesPerEU: 55
; Occupancy: 4
; WaveLimiterHint : 1
; COMPUTE_PGM_RSRC2:SCRATCH_EN: 0
; COMPUTE_PGM_RSRC2:USER_SGPR: 6
; COMPUTE_PGM_RSRC2:TRAP_HANDLER: 0
; COMPUTE_PGM_RSRC2:TGID_X_EN: 1
; COMPUTE_PGM_RSRC2:TGID_Y_EN: 0
; COMPUTE_PGM_RSRC2:TGID_Z_EN: 0
; COMPUTE_PGM_RSRC2:TIDIG_COMP_CNT: 0
	.section	.text._ZN9rocsparseL19gebsrmvn_4xn_kernelILj128ELj1ELj16E21rocsparse_complex_numIdEEEvi20rocsparse_direction_NS_24const_host_device_scalarIT2_EEPKiS8_PKS5_SA_S6_PS5_21rocsparse_index_base_b,"axG",@progbits,_ZN9rocsparseL19gebsrmvn_4xn_kernelILj128ELj1ELj16E21rocsparse_complex_numIdEEEvi20rocsparse_direction_NS_24const_host_device_scalarIT2_EEPKiS8_PKS5_SA_S6_PS5_21rocsparse_index_base_b,comdat
	.globl	_ZN9rocsparseL19gebsrmvn_4xn_kernelILj128ELj1ELj16E21rocsparse_complex_numIdEEEvi20rocsparse_direction_NS_24const_host_device_scalarIT2_EEPKiS8_PKS5_SA_S6_PS5_21rocsparse_index_base_b ; -- Begin function _ZN9rocsparseL19gebsrmvn_4xn_kernelILj128ELj1ELj16E21rocsparse_complex_numIdEEEvi20rocsparse_direction_NS_24const_host_device_scalarIT2_EEPKiS8_PKS5_SA_S6_PS5_21rocsparse_index_base_b
	.p2align	8
	.type	_ZN9rocsparseL19gebsrmvn_4xn_kernelILj128ELj1ELj16E21rocsparse_complex_numIdEEEvi20rocsparse_direction_NS_24const_host_device_scalarIT2_EEPKiS8_PKS5_SA_S6_PS5_21rocsparse_index_base_b,@function
_ZN9rocsparseL19gebsrmvn_4xn_kernelILj128ELj1ELj16E21rocsparse_complex_numIdEEEvi20rocsparse_direction_NS_24const_host_device_scalarIT2_EEPKiS8_PKS5_SA_S6_PS5_21rocsparse_index_base_b: ; @_ZN9rocsparseL19gebsrmvn_4xn_kernelILj128ELj1ELj16E21rocsparse_complex_numIdEEEvi20rocsparse_direction_NS_24const_host_device_scalarIT2_EEPKiS8_PKS5_SA_S6_PS5_21rocsparse_index_base_b
; %bb.0:
	s_load_dwordx2 s[0:1], s[4:5], 0x8
	s_load_dwordx2 s[8:9], s[4:5], 0x38
	;; [unrolled: 1-line block ×3, first 2 shown]
	s_add_u32 s7, s4, 8
	s_addc_u32 s10, s5, 0
	s_add_u32 s11, s4, 56
	s_addc_u32 s12, s5, 0
	s_waitcnt lgkmcnt(0)
	s_bitcmp1_b32 s3, 0
	s_cselect_b32 s1, s10, s1
	s_cselect_b32 s0, s7, s0
	v_mov_b32_e32 v1, s0
	v_mov_b32_e32 v2, s1
	flat_load_dwordx4 v[1:4], v[1:2]
	s_cselect_b32 s0, s12, s9
	s_cselect_b32 s1, s11, s8
	v_mov_b32_e32 v5, s1
	v_mov_b32_e32 v6, s0
	flat_load_dwordx4 v[5:8], v[5:6]
	s_waitcnt vmcnt(0) lgkmcnt(0)
	v_cmp_eq_f64_e32 vcc, 0, v[1:2]
	v_cmp_eq_f64_e64 s[0:1], 0, v[3:4]
	s_and_b64 s[10:11], vcc, s[0:1]
	s_mov_b64 s[0:1], -1
	s_and_saveexec_b64 s[8:9], s[10:11]
	s_cbranch_execz .LBB113_2
; %bb.1:
	v_cmp_neq_f64_e32 vcc, 1.0, v[5:6]
	v_cmp_neq_f64_e64 s[0:1], 0, v[7:8]
	s_or_b64 s[0:1], vcc, s[0:1]
	s_orn2_b64 s[0:1], s[0:1], exec
.LBB113_2:
	s_or_b64 exec, exec, s[8:9]
	s_and_saveexec_b64 s[8:9], s[0:1]
	s_cbranch_execz .LBB113_21
; %bb.3:
	s_load_dwordx2 s[0:1], s[4:5], 0x0
	v_lshrrev_b32_e32 v9, 4, v0
	v_lshl_or_b32 v9, s6, 3, v9
	s_waitcnt lgkmcnt(0)
	v_cmp_gt_i32_e32 vcc, s0, v9
	s_and_b64 exec, exec, vcc
	s_cbranch_execz .LBB113_21
; %bb.4:
	s_load_dwordx8 s[8:15], s[4:5], 0x18
	v_ashrrev_i32_e32 v10, 31, v9
	v_lshlrev_b64 v[10:11], 2, v[9:10]
	v_and_b32_e32 v0, 15, v0
	s_cmp_lg_u32 s1, 0
	s_waitcnt lgkmcnt(0)
	v_mov_b32_e32 v12, s9
	v_add_co_u32_e32 v10, vcc, s8, v10
	v_addc_co_u32_e32 v11, vcc, v12, v11, vcc
	global_load_dwordx2 v[10:11], v[10:11], off
	s_waitcnt vmcnt(0)
	v_subrev_u32_e32 v10, s2, v10
	v_subrev_u32_e32 v32, s2, v11
	v_add_u32_e32 v24, v10, v0
	v_cmp_lt_i32_e64 s[0:1], v24, v32
	s_cbranch_scc0 .LBB113_10
; %bb.5:
	v_mov_b32_e32 v18, 0
	v_mov_b32_e32 v26, 0
	;; [unrolled: 1-line block ×16, first 2 shown]
	s_and_saveexec_b64 s[6:7], s[0:1]
	s_cbranch_execz .LBB113_9
; %bb.6:
	v_mov_b32_e32 v18, 0
	v_mov_b32_e32 v26, 0
	;; [unrolled: 1-line block ×8, first 2 shown]
	v_lshlrev_b32_e32 v28, 2, v24
	v_mov_b32_e32 v19, 0
	s_mov_b64 s[8:9], 0
	v_mov_b32_e32 v25, s11
	v_mov_b32_e32 v29, 0
	v_mov_b32_e32 v33, s13
	v_mov_b32_e32 v34, s15
	v_mov_b32_e32 v27, 0
	v_mov_b32_e32 v13, 0
	v_mov_b32_e32 v11, 0
	v_mov_b32_e32 v17, 0
	v_mov_b32_e32 v15, 0
	v_mov_b32_e32 v21, 0
	v_mov_b32_e32 v23, 0
	v_mov_b32_e32 v30, v24
.LBB113_7:                              ; =>This Inner Loop Header: Depth=1
	v_ashrrev_i32_e32 v31, 31, v30
	v_lshlrev_b64 v[35:36], 2, v[30:31]
	v_mov_b32_e32 v52, v29
	v_add_co_u32_e32 v35, vcc, s10, v35
	v_addc_co_u32_e32 v36, vcc, v25, v36, vcc
	global_load_dword v31, v[35:36], off
	v_lshlrev_b64 v[35:36], 4, v[28:29]
	v_add_u32_e32 v30, 16, v30
	v_add_co_u32_e32 v53, vcc, s12, v35
	v_addc_co_u32_e32 v54, vcc, v33, v36, vcc
	global_load_dwordx4 v[35:38], v[53:54], off
	global_load_dwordx4 v[39:42], v[53:54], off offset:16
	global_load_dwordx4 v[43:46], v[53:54], off offset:32
	;; [unrolled: 1-line block ×3, first 2 shown]
	v_add_u32_e32 v28, 64, v28
	s_waitcnt vmcnt(4)
	v_subrev_u32_e32 v51, s2, v31
	v_lshlrev_b64 v[51:52], 4, v[51:52]
	v_add_co_u32_e32 v51, vcc, s14, v51
	v_addc_co_u32_e32 v52, vcc, v34, v52, vcc
	global_load_dwordx4 v[51:54], v[51:52], off
	v_cmp_ge_i32_e32 vcc, v30, v32
	s_or_b64 s[8:9], vcc, s[8:9]
	s_waitcnt vmcnt(0)
	v_fma_f64 v[26:27], v[35:36], v[51:52], v[26:27]
	v_fma_f64 v[18:19], v[37:38], v[51:52], v[18:19]
	;; [unrolled: 1-line block ×8, first 2 shown]
	v_fma_f64 v[26:27], -v[37:38], v[53:54], v[26:27]
	v_fma_f64 v[18:19], v[35:36], v[53:54], v[18:19]
	v_fma_f64 v[20:21], -v[41:42], v[53:54], v[20:21]
	v_fma_f64 v[22:23], v[39:40], v[53:54], v[22:23]
	v_fma_f64 v[16:17], -v[45:46], v[53:54], v[16:17]
	v_fma_f64 v[14:15], v[43:44], v[53:54], v[14:15]
	v_fma_f64 v[12:13], -v[49:50], v[53:54], v[12:13]
	v_fma_f64 v[10:11], v[47:48], v[53:54], v[10:11]
	s_andn2_b64 exec, exec, s[8:9]
	s_cbranch_execnz .LBB113_7
; %bb.8:
	s_or_b64 exec, exec, s[8:9]
.LBB113_9:
	s_or_b64 exec, exec, s[6:7]
	s_cbranch_execz .LBB113_11
	s_branch .LBB113_16
.LBB113_10:
                                        ; implicit-def: $vgpr18_vgpr19
                                        ; implicit-def: $vgpr26_vgpr27
                                        ; implicit-def: $vgpr12_vgpr13
                                        ; implicit-def: $vgpr10_vgpr11
                                        ; implicit-def: $vgpr16_vgpr17
                                        ; implicit-def: $vgpr14_vgpr15
                                        ; implicit-def: $vgpr20_vgpr21
                                        ; implicit-def: $vgpr22_vgpr23
.LBB113_11:
	v_mov_b32_e32 v18, 0
	v_mov_b32_e32 v26, 0
	;; [unrolled: 1-line block ×16, first 2 shown]
	s_and_saveexec_b64 s[6:7], s[0:1]
	s_cbranch_execz .LBB113_15
; %bb.12:
	v_mov_b32_e32 v18, 0
	v_mov_b32_e32 v26, 0
	;; [unrolled: 1-line block ×8, first 2 shown]
	v_lshlrev_b32_e32 v28, 2, v24
	v_mov_b32_e32 v19, 0
	s_mov_b64 s[0:1], 0
	v_mov_b32_e32 v30, s11
	v_mov_b32_e32 v29, 0
	;; [unrolled: 1-line block ×11, first 2 shown]
.LBB113_13:                             ; =>This Inner Loop Header: Depth=1
	v_ashrrev_i32_e32 v25, 31, v24
	v_lshlrev_b64 v[34:35], 2, v[24:25]
	v_mov_b32_e32 v51, v29
	v_add_co_u32_e32 v34, vcc, s10, v34
	v_addc_co_u32_e32 v35, vcc, v30, v35, vcc
	global_load_dword v25, v[34:35], off
	v_lshlrev_b64 v[34:35], 4, v[28:29]
	v_add_u32_e32 v24, 16, v24
	v_add_co_u32_e32 v52, vcc, s12, v34
	v_addc_co_u32_e32 v53, vcc, v31, v35, vcc
	global_load_dwordx4 v[34:37], v[52:53], off
	global_load_dwordx4 v[38:41], v[52:53], off offset:16
	global_load_dwordx4 v[42:45], v[52:53], off offset:32
	;; [unrolled: 1-line block ×3, first 2 shown]
	v_add_u32_e32 v28, 64, v28
	s_waitcnt vmcnt(4)
	v_subrev_u32_e32 v50, s2, v25
	v_lshlrev_b64 v[50:51], 4, v[50:51]
	v_add_co_u32_e32 v50, vcc, s14, v50
	v_addc_co_u32_e32 v51, vcc, v33, v51, vcc
	global_load_dwordx4 v[50:53], v[50:51], off
	v_cmp_ge_i32_e32 vcc, v24, v32
	s_or_b64 s[0:1], vcc, s[0:1]
	s_waitcnt vmcnt(0)
	v_fma_f64 v[25:26], v[34:35], v[50:51], v[26:27]
	v_fma_f64 v[18:19], v[36:37], v[50:51], v[18:19]
	;; [unrolled: 1-line block ×8, first 2 shown]
	v_fma_f64 v[26:27], -v[36:37], v[52:53], v[25:26]
	v_fma_f64 v[18:19], v[34:35], v[52:53], v[18:19]
	v_fma_f64 v[20:21], -v[40:41], v[52:53], v[20:21]
	v_fma_f64 v[22:23], v[38:39], v[52:53], v[22:23]
	;; [unrolled: 2-line block ×4, first 2 shown]
	s_andn2_b64 exec, exec, s[0:1]
	s_cbranch_execnz .LBB113_13
; %bb.14:
	s_or_b64 exec, exec, s[0:1]
.LBB113_15:
	s_or_b64 exec, exec, s[6:7]
.LBB113_16:
	v_mov_b32_dpp v24, v26 row_shr:1 row_mask:0xf bank_mask:0xf
	v_mov_b32_dpp v25, v27 row_shr:1 row_mask:0xf bank_mask:0xf
	v_add_f64 v[24:25], v[26:27], v[24:25]
	v_mov_b32_dpp v26, v18 row_shr:1 row_mask:0xf bank_mask:0xf
	v_mov_b32_dpp v27, v19 row_shr:1 row_mask:0xf bank_mask:0xf
	v_add_f64 v[18:19], v[18:19], v[26:27]
	;; [unrolled: 3-line block ×3, first 2 shown]
	v_mov_b32_dpp v35, v14 row_shr:1 row_mask:0xf bank_mask:0xf
	v_mov_b32_dpp v28, v24 row_shr:2 row_mask:0xf bank_mask:0xf
	;; [unrolled: 1-line block ×3, first 2 shown]
	v_add_f64 v[24:25], v[24:25], v[28:29]
	v_mov_b32_dpp v28, v18 row_shr:2 row_mask:0xf bank_mask:0xf
	v_mov_b32_dpp v29, v19 row_shr:2 row_mask:0xf bank_mask:0xf
	v_add_f64 v[28:29], v[18:19], v[28:29]
	v_mov_b32_dpp v18, v22 row_shr:1 row_mask:0xf bank_mask:0xf
	v_mov_b32_dpp v19, v23 row_shr:1 row_mask:0xf bank_mask:0xf
	;; [unrolled: 3-line block ×3, first 2 shown]
	v_add_f64 v[26:27], v[20:21], v[26:27]
	v_mov_b32_dpp v36, v15 row_shr:1 row_mask:0xf bank_mask:0xf
	v_add_f64 v[14:15], v[14:15], v[35:36]
	v_mov_b32_dpp v35, v12 row_shr:1 row_mask:0xf bank_mask:0xf
	v_mov_b32_dpp v36, v13 row_shr:1 row_mask:0xf bank_mask:0xf
	;; [unrolled: 1-line block ×4, first 2 shown]
	v_add_f64 v[30:31], v[22:23], v[20:21]
	v_mov_b32_dpp v20, v16 row_shr:1 row_mask:0xf bank_mask:0xf
	v_mov_b32_dpp v21, v17 row_shr:1 row_mask:0xf bank_mask:0xf
	v_add_f64 v[16:17], v[16:17], v[20:21]
	v_add_f64 v[12:13], v[12:13], v[35:36]
	v_mov_b32_dpp v35, v10 row_shr:1 row_mask:0xf bank_mask:0xf
	v_mov_b32_dpp v36, v11 row_shr:1 row_mask:0xf bank_mask:0xf
	v_add_f64 v[10:11], v[10:11], v[35:36]
	v_mov_b32_dpp v18, v24 row_shr:4 row_mask:0xf bank_mask:0xe
	v_mov_b32_dpp v19, v25 row_shr:4 row_mask:0xf bank_mask:0xe
	;; [unrolled: 3-line block ×4, first 2 shown]
	v_mov_b32_dpp v24, v30 row_shr:4 row_mask:0xf bank_mask:0xe
	v_mov_b32_dpp v25, v31 row_shr:4 row_mask:0xf bank_mask:0xe
	v_add_f64 v[22:23], v[26:27], v[22:23]
	v_add_f64 v[26:27], v[30:31], v[24:25]
	v_mov_b32_dpp v24, v16 row_shr:2 row_mask:0xf bank_mask:0xf
	v_mov_b32_dpp v25, v17 row_shr:2 row_mask:0xf bank_mask:0xf
	v_add_f64 v[32:33], v[16:17], v[24:25]
	v_mov_b32_dpp v36, v14 row_shr:2 row_mask:0xf bank_mask:0xf
	v_mov_b32_dpp v37, v15 row_shr:2 row_mask:0xf bank_mask:0xf
	;; [unrolled: 3-line block ×9, first 2 shown]
	v_mov_b32_dpp v24, v20 row_shr:8 row_mask:0xf bank_mask:0xc
	v_mov_b32_dpp v25, v21 row_shr:8 row_mask:0xf bank_mask:0xc
	;; [unrolled: 1-line block ×14, first 2 shown]
	v_cmp_eq_u32_e32 vcc, 15, v0
	s_and_b64 exec, exec, vcc
	s_cbranch_execz .LBB113_21
; %bb.17:
	v_cmp_eq_f64_e32 vcc, 0, v[5:6]
	v_cmp_eq_f64_e64 s[0:1], 0, v[7:8]
	v_add_f64 v[16:17], v[18:19], v[16:17]
	v_add_f64 v[24:25], v[20:21], v[24:25]
	;; [unrolled: 1-line block ×8, first 2 shown]
	s_load_dwordx2 s[2:3], s[4:5], 0x48
	s_and_b64 s[0:1], vcc, s[0:1]
	s_and_saveexec_b64 s[4:5], s[0:1]
	s_xor_b64 s[0:1], exec, s[4:5]
	s_cbranch_execz .LBB113_19
; %bb.18:
	v_mul_f64 v[5:6], v[24:25], -v[3:4]
	v_mul_f64 v[7:8], v[1:2], v[24:25]
	v_mul_f64 v[26:27], v[22:23], -v[3:4]
	v_mul_f64 v[22:23], v[1:2], v[22:23]
	;; [unrolled: 2-line block ×4, first 2 shown]
	v_fma_f64 v[5:6], v[1:2], v[16:17], v[5:6]
	v_fma_f64 v[7:8], v[3:4], v[16:17], v[7:8]
	;; [unrolled: 1-line block ×4, first 2 shown]
	v_lshlrev_b32_e32 v24, 2, v9
	v_fma_f64 v[9:10], v[1:2], v[12:13], v[28:29]
	v_fma_f64 v[11:12], v[3:4], v[12:13], v[30:31]
	v_ashrrev_i32_e32 v25, 31, v24
	v_fma_f64 v[0:1], v[1:2], v[14:15], v[32:33]
	v_fma_f64 v[2:3], v[3:4], v[14:15], v[20:21]
	v_lshlrev_b64 v[24:25], 4, v[24:25]
	s_waitcnt lgkmcnt(0)
	v_mov_b32_e32 v34, s3
	v_add_co_u32_e32 v13, vcc, s2, v24
	v_addc_co_u32_e32 v14, vcc, v34, v25, vcc
	global_store_dwordx4 v[13:14], v[5:8], off
	global_store_dwordx4 v[13:14], v[16:19], off offset:16
	global_store_dwordx4 v[13:14], v[9:12], off offset:32
	;; [unrolled: 1-line block ×3, first 2 shown]
                                        ; implicit-def: $vgpr9
                                        ; implicit-def: $vgpr16_vgpr17
                                        ; implicit-def: $vgpr24_vgpr25
                                        ; implicit-def: $vgpr10_vgpr11
                                        ; implicit-def: $vgpr22_vgpr23
                                        ; implicit-def: $vgpr12_vgpr13
                                        ; implicit-def: $vgpr18_vgpr19
                                        ; implicit-def: $vgpr14_vgpr15
                                        ; implicit-def: $vgpr20_vgpr21
                                        ; implicit-def: $vgpr7_vgpr8
                                        ; implicit-def: $vgpr3_vgpr4
.LBB113_19:
	s_andn2_saveexec_b64 s[0:1], s[0:1]
	s_cbranch_execz .LBB113_21
; %bb.20:
	v_lshlrev_b32_e32 v26, 2, v9
	v_ashrrev_i32_e32 v27, 31, v26
	v_lshlrev_b64 v[26:27], 4, v[26:27]
	s_waitcnt lgkmcnt(0)
	v_mov_b32_e32 v0, s3
	v_add_co_u32_e32 v42, vcc, s2, v26
	v_addc_co_u32_e32 v43, vcc, v0, v27, vcc
	global_load_dwordx4 v[26:29], v[42:43], off
	global_load_dwordx4 v[30:33], v[42:43], off offset:16
	global_load_dwordx4 v[34:37], v[42:43], off offset:32
	global_load_dwordx4 v[38:41], v[42:43], off offset:48
	v_mul_f64 v[44:45], v[24:25], -v[3:4]
	v_mul_f64 v[24:25], v[1:2], v[24:25]
	v_mul_f64 v[46:47], v[22:23], -v[3:4]
	v_mul_f64 v[22:23], v[1:2], v[22:23]
	;; [unrolled: 2-line block ×4, first 2 shown]
	v_fma_f64 v[44:45], v[1:2], v[16:17], v[44:45]
	v_fma_f64 v[16:17], v[3:4], v[16:17], v[24:25]
	;; [unrolled: 1-line block ×8, first 2 shown]
	s_waitcnt vmcnt(3)
	v_fma_f64 v[13:14], v[5:6], v[26:27], v[44:45]
	v_fma_f64 v[15:16], v[7:8], v[26:27], v[16:17]
	s_waitcnt vmcnt(2)
	v_fma_f64 v[17:18], v[5:6], v[30:31], v[24:25]
	v_fma_f64 v[19:20], v[7:8], v[30:31], v[9:10]
	;; [unrolled: 3-line block ×4, first 2 shown]
	v_fma_f64 v[0:1], -v[7:8], v[28:29], v[13:14]
	v_fma_f64 v[2:3], v[5:6], v[28:29], v[15:16]
	v_fma_f64 v[9:10], -v[7:8], v[32:33], v[17:18]
	v_fma_f64 v[11:12], v[5:6], v[32:33], v[19:20]
	;; [unrolled: 2-line block ×4, first 2 shown]
	global_store_dwordx4 v[42:43], v[0:3], off
	global_store_dwordx4 v[42:43], v[9:12], off offset:16
	global_store_dwordx4 v[42:43], v[13:16], off offset:32
	;; [unrolled: 1-line block ×3, first 2 shown]
.LBB113_21:
	s_endpgm
	.section	.rodata,"a",@progbits
	.p2align	6, 0x0
	.amdhsa_kernel _ZN9rocsparseL19gebsrmvn_4xn_kernelILj128ELj1ELj16E21rocsparse_complex_numIdEEEvi20rocsparse_direction_NS_24const_host_device_scalarIT2_EEPKiS8_PKS5_SA_S6_PS5_21rocsparse_index_base_b
		.amdhsa_group_segment_fixed_size 0
		.amdhsa_private_segment_fixed_size 0
		.amdhsa_kernarg_size 88
		.amdhsa_user_sgpr_count 6
		.amdhsa_user_sgpr_private_segment_buffer 1
		.amdhsa_user_sgpr_dispatch_ptr 0
		.amdhsa_user_sgpr_queue_ptr 0
		.amdhsa_user_sgpr_kernarg_segment_ptr 1
		.amdhsa_user_sgpr_dispatch_id 0
		.amdhsa_user_sgpr_flat_scratch_init 0
		.amdhsa_user_sgpr_private_segment_size 0
		.amdhsa_uses_dynamic_stack 0
		.amdhsa_system_sgpr_private_segment_wavefront_offset 0
		.amdhsa_system_sgpr_workgroup_id_x 1
		.amdhsa_system_sgpr_workgroup_id_y 0
		.amdhsa_system_sgpr_workgroup_id_z 0
		.amdhsa_system_sgpr_workgroup_info 0
		.amdhsa_system_vgpr_workitem_id 0
		.amdhsa_next_free_vgpr 55
		.amdhsa_next_free_sgpr 16
		.amdhsa_reserve_vcc 1
		.amdhsa_reserve_flat_scratch 0
		.amdhsa_float_round_mode_32 0
		.amdhsa_float_round_mode_16_64 0
		.amdhsa_float_denorm_mode_32 3
		.amdhsa_float_denorm_mode_16_64 3
		.amdhsa_dx10_clamp 1
		.amdhsa_ieee_mode 1
		.amdhsa_fp16_overflow 0
		.amdhsa_exception_fp_ieee_invalid_op 0
		.amdhsa_exception_fp_denorm_src 0
		.amdhsa_exception_fp_ieee_div_zero 0
		.amdhsa_exception_fp_ieee_overflow 0
		.amdhsa_exception_fp_ieee_underflow 0
		.amdhsa_exception_fp_ieee_inexact 0
		.amdhsa_exception_int_div_zero 0
	.end_amdhsa_kernel
	.section	.text._ZN9rocsparseL19gebsrmvn_4xn_kernelILj128ELj1ELj16E21rocsparse_complex_numIdEEEvi20rocsparse_direction_NS_24const_host_device_scalarIT2_EEPKiS8_PKS5_SA_S6_PS5_21rocsparse_index_base_b,"axG",@progbits,_ZN9rocsparseL19gebsrmvn_4xn_kernelILj128ELj1ELj16E21rocsparse_complex_numIdEEEvi20rocsparse_direction_NS_24const_host_device_scalarIT2_EEPKiS8_PKS5_SA_S6_PS5_21rocsparse_index_base_b,comdat
.Lfunc_end113:
	.size	_ZN9rocsparseL19gebsrmvn_4xn_kernelILj128ELj1ELj16E21rocsparse_complex_numIdEEEvi20rocsparse_direction_NS_24const_host_device_scalarIT2_EEPKiS8_PKS5_SA_S6_PS5_21rocsparse_index_base_b, .Lfunc_end113-_ZN9rocsparseL19gebsrmvn_4xn_kernelILj128ELj1ELj16E21rocsparse_complex_numIdEEEvi20rocsparse_direction_NS_24const_host_device_scalarIT2_EEPKiS8_PKS5_SA_S6_PS5_21rocsparse_index_base_b
                                        ; -- End function
	.set _ZN9rocsparseL19gebsrmvn_4xn_kernelILj128ELj1ELj16E21rocsparse_complex_numIdEEEvi20rocsparse_direction_NS_24const_host_device_scalarIT2_EEPKiS8_PKS5_SA_S6_PS5_21rocsparse_index_base_b.num_vgpr, 55
	.set _ZN9rocsparseL19gebsrmvn_4xn_kernelILj128ELj1ELj16E21rocsparse_complex_numIdEEEvi20rocsparse_direction_NS_24const_host_device_scalarIT2_EEPKiS8_PKS5_SA_S6_PS5_21rocsparse_index_base_b.num_agpr, 0
	.set _ZN9rocsparseL19gebsrmvn_4xn_kernelILj128ELj1ELj16E21rocsparse_complex_numIdEEEvi20rocsparse_direction_NS_24const_host_device_scalarIT2_EEPKiS8_PKS5_SA_S6_PS5_21rocsparse_index_base_b.numbered_sgpr, 16
	.set _ZN9rocsparseL19gebsrmvn_4xn_kernelILj128ELj1ELj16E21rocsparse_complex_numIdEEEvi20rocsparse_direction_NS_24const_host_device_scalarIT2_EEPKiS8_PKS5_SA_S6_PS5_21rocsparse_index_base_b.num_named_barrier, 0
	.set _ZN9rocsparseL19gebsrmvn_4xn_kernelILj128ELj1ELj16E21rocsparse_complex_numIdEEEvi20rocsparse_direction_NS_24const_host_device_scalarIT2_EEPKiS8_PKS5_SA_S6_PS5_21rocsparse_index_base_b.private_seg_size, 0
	.set _ZN9rocsparseL19gebsrmvn_4xn_kernelILj128ELj1ELj16E21rocsparse_complex_numIdEEEvi20rocsparse_direction_NS_24const_host_device_scalarIT2_EEPKiS8_PKS5_SA_S6_PS5_21rocsparse_index_base_b.uses_vcc, 1
	.set _ZN9rocsparseL19gebsrmvn_4xn_kernelILj128ELj1ELj16E21rocsparse_complex_numIdEEEvi20rocsparse_direction_NS_24const_host_device_scalarIT2_EEPKiS8_PKS5_SA_S6_PS5_21rocsparse_index_base_b.uses_flat_scratch, 0
	.set _ZN9rocsparseL19gebsrmvn_4xn_kernelILj128ELj1ELj16E21rocsparse_complex_numIdEEEvi20rocsparse_direction_NS_24const_host_device_scalarIT2_EEPKiS8_PKS5_SA_S6_PS5_21rocsparse_index_base_b.has_dyn_sized_stack, 0
	.set _ZN9rocsparseL19gebsrmvn_4xn_kernelILj128ELj1ELj16E21rocsparse_complex_numIdEEEvi20rocsparse_direction_NS_24const_host_device_scalarIT2_EEPKiS8_PKS5_SA_S6_PS5_21rocsparse_index_base_b.has_recursion, 0
	.set _ZN9rocsparseL19gebsrmvn_4xn_kernelILj128ELj1ELj16E21rocsparse_complex_numIdEEEvi20rocsparse_direction_NS_24const_host_device_scalarIT2_EEPKiS8_PKS5_SA_S6_PS5_21rocsparse_index_base_b.has_indirect_call, 0
	.section	.AMDGPU.csdata,"",@progbits
; Kernel info:
; codeLenInByte = 2548
; TotalNumSgprs: 20
; NumVgprs: 55
; ScratchSize: 0
; MemoryBound: 0
; FloatMode: 240
; IeeeMode: 1
; LDSByteSize: 0 bytes/workgroup (compile time only)
; SGPRBlocks: 2
; VGPRBlocks: 13
; NumSGPRsForWavesPerEU: 20
; NumVGPRsForWavesPerEU: 55
; Occupancy: 4
; WaveLimiterHint : 1
; COMPUTE_PGM_RSRC2:SCRATCH_EN: 0
; COMPUTE_PGM_RSRC2:USER_SGPR: 6
; COMPUTE_PGM_RSRC2:TRAP_HANDLER: 0
; COMPUTE_PGM_RSRC2:TGID_X_EN: 1
; COMPUTE_PGM_RSRC2:TGID_Y_EN: 0
; COMPUTE_PGM_RSRC2:TGID_Z_EN: 0
; COMPUTE_PGM_RSRC2:TIDIG_COMP_CNT: 0
	.section	.text._ZN9rocsparseL19gebsrmvn_4xn_kernelILj128ELj1ELj32E21rocsparse_complex_numIdEEEvi20rocsparse_direction_NS_24const_host_device_scalarIT2_EEPKiS8_PKS5_SA_S6_PS5_21rocsparse_index_base_b,"axG",@progbits,_ZN9rocsparseL19gebsrmvn_4xn_kernelILj128ELj1ELj32E21rocsparse_complex_numIdEEEvi20rocsparse_direction_NS_24const_host_device_scalarIT2_EEPKiS8_PKS5_SA_S6_PS5_21rocsparse_index_base_b,comdat
	.globl	_ZN9rocsparseL19gebsrmvn_4xn_kernelILj128ELj1ELj32E21rocsparse_complex_numIdEEEvi20rocsparse_direction_NS_24const_host_device_scalarIT2_EEPKiS8_PKS5_SA_S6_PS5_21rocsparse_index_base_b ; -- Begin function _ZN9rocsparseL19gebsrmvn_4xn_kernelILj128ELj1ELj32E21rocsparse_complex_numIdEEEvi20rocsparse_direction_NS_24const_host_device_scalarIT2_EEPKiS8_PKS5_SA_S6_PS5_21rocsparse_index_base_b
	.p2align	8
	.type	_ZN9rocsparseL19gebsrmvn_4xn_kernelILj128ELj1ELj32E21rocsparse_complex_numIdEEEvi20rocsparse_direction_NS_24const_host_device_scalarIT2_EEPKiS8_PKS5_SA_S6_PS5_21rocsparse_index_base_b,@function
_ZN9rocsparseL19gebsrmvn_4xn_kernelILj128ELj1ELj32E21rocsparse_complex_numIdEEEvi20rocsparse_direction_NS_24const_host_device_scalarIT2_EEPKiS8_PKS5_SA_S6_PS5_21rocsparse_index_base_b: ; @_ZN9rocsparseL19gebsrmvn_4xn_kernelILj128ELj1ELj32E21rocsparse_complex_numIdEEEvi20rocsparse_direction_NS_24const_host_device_scalarIT2_EEPKiS8_PKS5_SA_S6_PS5_21rocsparse_index_base_b
; %bb.0:
	s_load_dwordx2 s[0:1], s[4:5], 0x8
	s_load_dwordx2 s[8:9], s[4:5], 0x38
	;; [unrolled: 1-line block ×3, first 2 shown]
	s_add_u32 s7, s4, 8
	s_addc_u32 s10, s5, 0
	s_add_u32 s11, s4, 56
	s_addc_u32 s12, s5, 0
	s_waitcnt lgkmcnt(0)
	s_bitcmp1_b32 s3, 0
	s_cselect_b32 s1, s10, s1
	s_cselect_b32 s0, s7, s0
	v_mov_b32_e32 v1, s0
	v_mov_b32_e32 v2, s1
	flat_load_dwordx4 v[1:4], v[1:2]
	s_cselect_b32 s0, s12, s9
	s_cselect_b32 s1, s11, s8
	v_mov_b32_e32 v5, s1
	v_mov_b32_e32 v6, s0
	flat_load_dwordx4 v[5:8], v[5:6]
	s_waitcnt vmcnt(0) lgkmcnt(0)
	v_cmp_eq_f64_e32 vcc, 0, v[1:2]
	v_cmp_eq_f64_e64 s[0:1], 0, v[3:4]
	s_and_b64 s[10:11], vcc, s[0:1]
	s_mov_b64 s[0:1], -1
	s_and_saveexec_b64 s[8:9], s[10:11]
	s_cbranch_execz .LBB114_2
; %bb.1:
	v_cmp_neq_f64_e32 vcc, 1.0, v[5:6]
	v_cmp_neq_f64_e64 s[0:1], 0, v[7:8]
	s_or_b64 s[0:1], vcc, s[0:1]
	s_orn2_b64 s[0:1], s[0:1], exec
.LBB114_2:
	s_or_b64 exec, exec, s[8:9]
	s_and_saveexec_b64 s[8:9], s[0:1]
	s_cbranch_execz .LBB114_21
; %bb.3:
	s_load_dwordx2 s[0:1], s[4:5], 0x0
	v_lshrrev_b32_e32 v9, 5, v0
	v_lshl_or_b32 v9, s6, 2, v9
	s_waitcnt lgkmcnt(0)
	v_cmp_gt_i32_e32 vcc, s0, v9
	s_and_b64 exec, exec, vcc
	s_cbranch_execz .LBB114_21
; %bb.4:
	s_load_dwordx8 s[8:15], s[4:5], 0x18
	v_ashrrev_i32_e32 v10, 31, v9
	v_lshlrev_b64 v[10:11], 2, v[9:10]
	v_and_b32_e32 v0, 31, v0
	s_cmp_lg_u32 s1, 0
	s_waitcnt lgkmcnt(0)
	v_mov_b32_e32 v12, s9
	v_add_co_u32_e32 v10, vcc, s8, v10
	v_addc_co_u32_e32 v11, vcc, v12, v11, vcc
	global_load_dwordx2 v[10:11], v[10:11], off
	s_waitcnt vmcnt(0)
	v_subrev_u32_e32 v10, s2, v10
	v_subrev_u32_e32 v32, s2, v11
	v_add_u32_e32 v24, v10, v0
	v_cmp_lt_i32_e64 s[0:1], v24, v32
	s_cbranch_scc0 .LBB114_10
; %bb.5:
	v_mov_b32_e32 v18, 0
	v_mov_b32_e32 v26, 0
	;; [unrolled: 1-line block ×16, first 2 shown]
	s_and_saveexec_b64 s[6:7], s[0:1]
	s_cbranch_execz .LBB114_9
; %bb.6:
	v_mov_b32_e32 v18, 0
	v_mov_b32_e32 v26, 0
	v_mov_b32_e32 v12, 0
	v_mov_b32_e32 v10, 0
	v_mov_b32_e32 v16, 0
	v_mov_b32_e32 v14, 0
	v_mov_b32_e32 v22, 0
	v_mov_b32_e32 v20, 0
	v_lshlrev_b32_e32 v28, 2, v24
	v_mov_b32_e32 v19, 0
	s_mov_b64 s[8:9], 0
	v_mov_b32_e32 v25, s11
	v_mov_b32_e32 v29, 0
	;; [unrolled: 1-line block ×12, first 2 shown]
.LBB114_7:                              ; =>This Inner Loop Header: Depth=1
	v_ashrrev_i32_e32 v31, 31, v30
	v_lshlrev_b64 v[35:36], 2, v[30:31]
	v_mov_b32_e32 v52, v29
	v_add_co_u32_e32 v35, vcc, s10, v35
	v_addc_co_u32_e32 v36, vcc, v25, v36, vcc
	global_load_dword v31, v[35:36], off
	v_lshlrev_b64 v[35:36], 4, v[28:29]
	v_add_u32_e32 v30, 32, v30
	v_add_co_u32_e32 v53, vcc, s12, v35
	v_addc_co_u32_e32 v54, vcc, v33, v36, vcc
	global_load_dwordx4 v[35:38], v[53:54], off
	global_load_dwordx4 v[39:42], v[53:54], off offset:16
	global_load_dwordx4 v[43:46], v[53:54], off offset:32
	;; [unrolled: 1-line block ×3, first 2 shown]
	v_add_u32_e32 v28, 0x80, v28
	s_waitcnt vmcnt(4)
	v_subrev_u32_e32 v51, s2, v31
	v_lshlrev_b64 v[51:52], 4, v[51:52]
	v_add_co_u32_e32 v51, vcc, s14, v51
	v_addc_co_u32_e32 v52, vcc, v34, v52, vcc
	global_load_dwordx4 v[51:54], v[51:52], off
	v_cmp_ge_i32_e32 vcc, v30, v32
	s_or_b64 s[8:9], vcc, s[8:9]
	s_waitcnt vmcnt(0)
	v_fma_f64 v[26:27], v[35:36], v[51:52], v[26:27]
	v_fma_f64 v[18:19], v[37:38], v[51:52], v[18:19]
	;; [unrolled: 1-line block ×8, first 2 shown]
	v_fma_f64 v[26:27], -v[37:38], v[53:54], v[26:27]
	v_fma_f64 v[18:19], v[35:36], v[53:54], v[18:19]
	v_fma_f64 v[22:23], -v[41:42], v[53:54], v[22:23]
	v_fma_f64 v[20:21], v[39:40], v[53:54], v[20:21]
	;; [unrolled: 2-line block ×4, first 2 shown]
	s_andn2_b64 exec, exec, s[8:9]
	s_cbranch_execnz .LBB114_7
; %bb.8:
	s_or_b64 exec, exec, s[8:9]
.LBB114_9:
	s_or_b64 exec, exec, s[6:7]
	s_cbranch_execz .LBB114_11
	s_branch .LBB114_16
.LBB114_10:
                                        ; implicit-def: $vgpr18_vgpr19
                                        ; implicit-def: $vgpr26_vgpr27
                                        ; implicit-def: $vgpr12_vgpr13
                                        ; implicit-def: $vgpr10_vgpr11
                                        ; implicit-def: $vgpr16_vgpr17
                                        ; implicit-def: $vgpr14_vgpr15
                                        ; implicit-def: $vgpr22_vgpr23
                                        ; implicit-def: $vgpr20_vgpr21
.LBB114_11:
	v_mov_b32_e32 v18, 0
	v_mov_b32_e32 v26, 0
	v_mov_b32_e32 v12, 0
	v_mov_b32_e32 v10, 0
	v_mov_b32_e32 v16, 0
	v_mov_b32_e32 v14, 0
	v_mov_b32_e32 v22, 0
	v_mov_b32_e32 v20, 0
	v_mov_b32_e32 v19, 0
	v_mov_b32_e32 v27, 0
	v_mov_b32_e32 v13, 0
	v_mov_b32_e32 v11, 0
	v_mov_b32_e32 v17, 0
	v_mov_b32_e32 v15, 0
	v_mov_b32_e32 v23, 0
	v_mov_b32_e32 v21, 0
	s_and_saveexec_b64 s[6:7], s[0:1]
	s_cbranch_execz .LBB114_15
; %bb.12:
	v_mov_b32_e32 v18, 0
	v_mov_b32_e32 v26, 0
	;; [unrolled: 1-line block ×8, first 2 shown]
	v_lshlrev_b32_e32 v28, 2, v24
	v_mov_b32_e32 v19, 0
	s_mov_b64 s[0:1], 0
	v_mov_b32_e32 v30, s11
	v_mov_b32_e32 v29, 0
	v_mov_b32_e32 v31, s13
	v_mov_b32_e32 v27, 0
	v_mov_b32_e32 v13, 0
	v_mov_b32_e32 v11, 0
	v_mov_b32_e32 v17, 0
	v_mov_b32_e32 v15, 0
	v_mov_b32_e32 v23, 0
	v_mov_b32_e32 v21, 0
	v_mov_b32_e32 v33, s15
.LBB114_13:                             ; =>This Inner Loop Header: Depth=1
	v_ashrrev_i32_e32 v25, 31, v24
	v_lshlrev_b64 v[34:35], 2, v[24:25]
	v_mov_b32_e32 v51, v29
	v_add_co_u32_e32 v34, vcc, s10, v34
	v_addc_co_u32_e32 v35, vcc, v30, v35, vcc
	global_load_dword v25, v[34:35], off
	v_lshlrev_b64 v[34:35], 4, v[28:29]
	v_add_u32_e32 v24, 32, v24
	v_add_co_u32_e32 v52, vcc, s12, v34
	v_addc_co_u32_e32 v53, vcc, v31, v35, vcc
	global_load_dwordx4 v[34:37], v[52:53], off
	global_load_dwordx4 v[38:41], v[52:53], off offset:16
	global_load_dwordx4 v[42:45], v[52:53], off offset:32
	;; [unrolled: 1-line block ×3, first 2 shown]
	v_add_u32_e32 v28, 0x80, v28
	s_waitcnt vmcnt(4)
	v_subrev_u32_e32 v50, s2, v25
	v_lshlrev_b64 v[50:51], 4, v[50:51]
	v_add_co_u32_e32 v50, vcc, s14, v50
	v_addc_co_u32_e32 v51, vcc, v33, v51, vcc
	global_load_dwordx4 v[50:53], v[50:51], off
	v_cmp_ge_i32_e32 vcc, v24, v32
	s_or_b64 s[0:1], vcc, s[0:1]
	s_waitcnt vmcnt(0)
	v_fma_f64 v[25:26], v[34:35], v[50:51], v[26:27]
	v_fma_f64 v[18:19], v[36:37], v[50:51], v[18:19]
	;; [unrolled: 1-line block ×8, first 2 shown]
	v_fma_f64 v[26:27], -v[36:37], v[52:53], v[25:26]
	v_fma_f64 v[18:19], v[34:35], v[52:53], v[18:19]
	v_fma_f64 v[22:23], -v[40:41], v[52:53], v[22:23]
	v_fma_f64 v[20:21], v[38:39], v[52:53], v[20:21]
	;; [unrolled: 2-line block ×4, first 2 shown]
	s_andn2_b64 exec, exec, s[0:1]
	s_cbranch_execnz .LBB114_13
; %bb.14:
	s_or_b64 exec, exec, s[0:1]
.LBB114_15:
	s_or_b64 exec, exec, s[6:7]
.LBB114_16:
	v_mov_b32_dpp v24, v26 row_shr:1 row_mask:0xf bank_mask:0xf
	v_mov_b32_dpp v25, v27 row_shr:1 row_mask:0xf bank_mask:0xf
	v_add_f64 v[24:25], v[26:27], v[24:25]
	v_mov_b32_dpp v26, v18 row_shr:1 row_mask:0xf bank_mask:0xf
	v_mov_b32_dpp v27, v19 row_shr:1 row_mask:0xf bank_mask:0xf
	v_add_f64 v[18:19], v[18:19], v[26:27]
	v_mov_b32_dpp v26, v22 row_shr:1 row_mask:0xf bank_mask:0xf
	v_mov_b32_dpp v29, v21 row_shr:1 row_mask:0xf bank_mask:0xf
	v_cmp_eq_u32_e32 vcc, 31, v0
	v_mov_b32_dpp v27, v24 row_shr:2 row_mask:0xf bank_mask:0xf
	v_mov_b32_dpp v28, v25 row_shr:2 row_mask:0xf bank_mask:0xf
	v_add_f64 v[24:25], v[24:25], v[27:28]
	v_mov_b32_dpp v27, v23 row_shr:1 row_mask:0xf bank_mask:0xf
	v_mov_b32_dpp v28, v20 row_shr:1 row_mask:0xf bank_mask:0xf
	v_add_f64 v[22:23], v[22:23], v[26:27]
	v_add_f64 v[20:21], v[20:21], v[28:29]
	v_mov_b32_dpp v26, v18 row_shr:2 row_mask:0xf bank_mask:0xf
	v_mov_b32_dpp v27, v19 row_shr:2 row_mask:0xf bank_mask:0xf
	v_add_f64 v[18:19], v[18:19], v[26:27]
	v_mov_b32_dpp v26, v24 row_shr:4 row_mask:0xf bank_mask:0xe
	v_mov_b32_dpp v27, v25 row_shr:4 row_mask:0xf bank_mask:0xe
	;; [unrolled: 3-line block ×6, first 2 shown]
	v_mov_b32_dpp v27, v23 row_shr:4 row_mask:0xf bank_mask:0xe
	v_add_f64 v[22:23], v[22:23], v[26:27]
	v_mov_b32_dpp v26, v20 row_shr:4 row_mask:0xf bank_mask:0xe
	v_mov_b32_dpp v27, v21 row_shr:4 row_mask:0xf bank_mask:0xe
	v_add_f64 v[26:27], v[20:21], v[26:27]
	v_mov_b32_dpp v20, v16 row_shr:1 row_mask:0xf bank_mask:0xf
	;; [unrolled: 3-line block ×3, first 2 shown]
	v_add_f64 v[18:19], v[24:25], v[18:19]
	v_mov_b32_dpp v24, v28 row_shr:8 row_mask:0xf bank_mask:0xc
	v_mov_b32_dpp v25, v29 row_shr:8 row_mask:0xf bank_mask:0xc
	v_add_f64 v[20:21], v[28:29], v[24:25]
	v_mov_b32_dpp v24, v22 row_shr:8 row_mask:0xf bank_mask:0xc
	v_mov_b32_dpp v25, v23 row_shr:8 row_mask:0xf bank_mask:0xc
	;; [unrolled: 3-line block ×4, first 2 shown]
	v_add_f64 v[32:33], v[16:17], v[24:25]
	v_mov_b32_dpp v16, v18 row_bcast:15 row_mask:0xa bank_mask:0xf
	v_mov_b32_dpp v17, v19 row_bcast:15 row_mask:0xa bank_mask:0xf
	v_mov_b32_dpp v24, v20 row_bcast:15 row_mask:0xa bank_mask:0xf
	v_mov_b32_dpp v25, v21 row_bcast:15 row_mask:0xa bank_mask:0xf
	v_mov_b32_dpp v30, v22 row_bcast:15 row_mask:0xa bank_mask:0xf
	v_mov_b32_dpp v31, v23 row_bcast:15 row_mask:0xa bank_mask:0xf
	v_mov_b32_dpp v28, v26 row_bcast:15 row_mask:0xa bank_mask:0xf
	v_mov_b32_dpp v34, v32 row_shr:4 row_mask:0xf bank_mask:0xe
	v_mov_b32_dpp v35, v33 row_shr:4 row_mask:0xf bank_mask:0xe
	v_add_f64 v[32:33], v[32:33], v[34:35]
	v_mov_b32_dpp v34, v14 row_shr:1 row_mask:0xf bank_mask:0xf
	v_mov_b32_dpp v35, v15 row_shr:1 row_mask:0xf bank_mask:0xf
	v_add_f64 v[14:15], v[14:15], v[34:35]
	;; [unrolled: 3-line block ×4, first 2 shown]
	v_mov_b32_dpp v34, v32 row_shr:8 row_mask:0xf bank_mask:0xc
	v_mov_b32_dpp v35, v14 row_shr:2 row_mask:0xf bank_mask:0xf
	v_mov_b32_dpp v36, v15 row_shr:2 row_mask:0xf bank_mask:0xf
	v_add_f64 v[14:15], v[14:15], v[35:36]
	v_mov_b32_dpp v35, v12 row_shr:2 row_mask:0xf bank_mask:0xf
	v_mov_b32_dpp v36, v13 row_shr:2 row_mask:0xf bank_mask:0xf
	v_add_f64 v[12:13], v[12:13], v[35:36]
	v_mov_b32_dpp v35, v10 row_shr:2 row_mask:0xf bank_mask:0xf
	v_mov_b32_dpp v36, v11 row_shr:2 row_mask:0xf bank_mask:0xf
	;; [unrolled: 3-line block ×3, first 2 shown]
	v_mov_b32_dpp v37, v15 row_shr:4 row_mask:0xf bank_mask:0xe
	v_add_f64 v[14:15], v[14:15], v[36:37]
	v_mov_b32_dpp v36, v12 row_shr:4 row_mask:0xf bank_mask:0xe
	v_mov_b32_dpp v37, v13 row_shr:4 row_mask:0xf bank_mask:0xe
	v_add_f64 v[36:37], v[12:13], v[36:37]
	v_mov_b32_dpp v12, v10 row_shr:4 row_mask:0xf bank_mask:0xe
	v_mov_b32_dpp v13, v11 row_shr:4 row_mask:0xf bank_mask:0xe
	v_add_f64 v[10:11], v[10:11], v[12:13]
	v_add_f64 v[12:13], v[32:33], v[34:35]
	v_mov_b32_dpp v32, v14 row_shr:8 row_mask:0xf bank_mask:0xc
	v_mov_b32_dpp v33, v15 row_shr:8 row_mask:0xf bank_mask:0xc
	v_add_f64 v[14:15], v[14:15], v[32:33]
	v_mov_b32_dpp v32, v36 row_shr:8 row_mask:0xf bank_mask:0xc
	v_mov_b32_dpp v33, v37 row_shr:8 row_mask:0xf bank_mask:0xc
	;; [unrolled: 3-line block ×3, first 2 shown]
	v_add_f64 v[32:33], v[10:11], v[32:33]
	v_mov_b32_dpp v29, v27 row_bcast:15 row_mask:0xa bank_mask:0xf
	v_mov_b32_dpp v42, v12 row_bcast:15 row_mask:0xa bank_mask:0xf
	;; [unrolled: 1-line block ×9, first 2 shown]
	s_and_b64 exec, exec, vcc
	s_cbranch_execz .LBB114_21
; %bb.17:
	v_cmp_eq_f64_e32 vcc, 0, v[5:6]
	v_cmp_eq_f64_e64 s[0:1], 0, v[7:8]
	v_add_f64 v[16:17], v[18:19], v[16:17]
	v_add_f64 v[24:25], v[20:21], v[24:25]
	;; [unrolled: 1-line block ×8, first 2 shown]
	s_load_dwordx2 s[2:3], s[4:5], 0x48
	s_and_b64 s[0:1], vcc, s[0:1]
	s_and_saveexec_b64 s[4:5], s[0:1]
	s_xor_b64 s[0:1], exec, s[4:5]
	s_cbranch_execz .LBB114_19
; %bb.18:
	v_mul_f64 v[5:6], v[24:25], -v[3:4]
	v_mul_f64 v[7:8], v[1:2], v[24:25]
	v_mul_f64 v[26:27], v[22:23], -v[3:4]
	v_mul_f64 v[22:23], v[1:2], v[22:23]
	;; [unrolled: 2-line block ×4, first 2 shown]
	v_fma_f64 v[5:6], v[1:2], v[16:17], v[5:6]
	v_fma_f64 v[7:8], v[3:4], v[16:17], v[7:8]
	;; [unrolled: 1-line block ×4, first 2 shown]
	v_lshlrev_b32_e32 v24, 2, v9
	v_fma_f64 v[9:10], v[1:2], v[12:13], v[28:29]
	v_fma_f64 v[11:12], v[3:4], v[12:13], v[30:31]
	v_ashrrev_i32_e32 v25, 31, v24
	v_fma_f64 v[0:1], v[1:2], v[14:15], v[32:33]
	v_fma_f64 v[2:3], v[3:4], v[14:15], v[20:21]
	v_lshlrev_b64 v[24:25], 4, v[24:25]
	s_waitcnt lgkmcnt(0)
	v_mov_b32_e32 v34, s3
	v_add_co_u32_e32 v13, vcc, s2, v24
	v_addc_co_u32_e32 v14, vcc, v34, v25, vcc
	global_store_dwordx4 v[13:14], v[5:8], off
	global_store_dwordx4 v[13:14], v[16:19], off offset:16
	global_store_dwordx4 v[13:14], v[9:12], off offset:32
	;; [unrolled: 1-line block ×3, first 2 shown]
                                        ; implicit-def: $vgpr9
                                        ; implicit-def: $vgpr16_vgpr17
                                        ; implicit-def: $vgpr24_vgpr25
                                        ; implicit-def: $vgpr10_vgpr11
                                        ; implicit-def: $vgpr22_vgpr23
                                        ; implicit-def: $vgpr12_vgpr13
                                        ; implicit-def: $vgpr18_vgpr19
                                        ; implicit-def: $vgpr14_vgpr15
                                        ; implicit-def: $vgpr20_vgpr21
                                        ; implicit-def: $vgpr7_vgpr8
                                        ; implicit-def: $vgpr3_vgpr4
.LBB114_19:
	s_andn2_saveexec_b64 s[0:1], s[0:1]
	s_cbranch_execz .LBB114_21
; %bb.20:
	v_lshlrev_b32_e32 v26, 2, v9
	v_ashrrev_i32_e32 v27, 31, v26
	v_lshlrev_b64 v[26:27], 4, v[26:27]
	s_waitcnt lgkmcnt(0)
	v_mov_b32_e32 v0, s3
	v_add_co_u32_e32 v42, vcc, s2, v26
	v_addc_co_u32_e32 v43, vcc, v0, v27, vcc
	global_load_dwordx4 v[26:29], v[42:43], off
	global_load_dwordx4 v[30:33], v[42:43], off offset:16
	global_load_dwordx4 v[34:37], v[42:43], off offset:32
	;; [unrolled: 1-line block ×3, first 2 shown]
	v_mul_f64 v[44:45], v[24:25], -v[3:4]
	v_mul_f64 v[24:25], v[1:2], v[24:25]
	v_mul_f64 v[46:47], v[22:23], -v[3:4]
	v_mul_f64 v[22:23], v[1:2], v[22:23]
	;; [unrolled: 2-line block ×4, first 2 shown]
	v_fma_f64 v[44:45], v[1:2], v[16:17], v[44:45]
	v_fma_f64 v[16:17], v[3:4], v[16:17], v[24:25]
	;; [unrolled: 1-line block ×8, first 2 shown]
	s_waitcnt vmcnt(3)
	v_fma_f64 v[13:14], v[5:6], v[26:27], v[44:45]
	v_fma_f64 v[15:16], v[7:8], v[26:27], v[16:17]
	s_waitcnt vmcnt(2)
	v_fma_f64 v[17:18], v[5:6], v[30:31], v[24:25]
	v_fma_f64 v[19:20], v[7:8], v[30:31], v[9:10]
	;; [unrolled: 3-line block ×4, first 2 shown]
	v_fma_f64 v[0:1], -v[7:8], v[28:29], v[13:14]
	v_fma_f64 v[2:3], v[5:6], v[28:29], v[15:16]
	v_fma_f64 v[9:10], -v[7:8], v[32:33], v[17:18]
	v_fma_f64 v[11:12], v[5:6], v[32:33], v[19:20]
	;; [unrolled: 2-line block ×4, first 2 shown]
	global_store_dwordx4 v[42:43], v[0:3], off
	global_store_dwordx4 v[42:43], v[9:12], off offset:16
	global_store_dwordx4 v[42:43], v[13:16], off offset:32
	;; [unrolled: 1-line block ×3, first 2 shown]
.LBB114_21:
	s_endpgm
	.section	.rodata,"a",@progbits
	.p2align	6, 0x0
	.amdhsa_kernel _ZN9rocsparseL19gebsrmvn_4xn_kernelILj128ELj1ELj32E21rocsparse_complex_numIdEEEvi20rocsparse_direction_NS_24const_host_device_scalarIT2_EEPKiS8_PKS5_SA_S6_PS5_21rocsparse_index_base_b
		.amdhsa_group_segment_fixed_size 0
		.amdhsa_private_segment_fixed_size 0
		.amdhsa_kernarg_size 88
		.amdhsa_user_sgpr_count 6
		.amdhsa_user_sgpr_private_segment_buffer 1
		.amdhsa_user_sgpr_dispatch_ptr 0
		.amdhsa_user_sgpr_queue_ptr 0
		.amdhsa_user_sgpr_kernarg_segment_ptr 1
		.amdhsa_user_sgpr_dispatch_id 0
		.amdhsa_user_sgpr_flat_scratch_init 0
		.amdhsa_user_sgpr_private_segment_size 0
		.amdhsa_uses_dynamic_stack 0
		.amdhsa_system_sgpr_private_segment_wavefront_offset 0
		.amdhsa_system_sgpr_workgroup_id_x 1
		.amdhsa_system_sgpr_workgroup_id_y 0
		.amdhsa_system_sgpr_workgroup_id_z 0
		.amdhsa_system_sgpr_workgroup_info 0
		.amdhsa_system_vgpr_workitem_id 0
		.amdhsa_next_free_vgpr 55
		.amdhsa_next_free_sgpr 16
		.amdhsa_reserve_vcc 1
		.amdhsa_reserve_flat_scratch 0
		.amdhsa_float_round_mode_32 0
		.amdhsa_float_round_mode_16_64 0
		.amdhsa_float_denorm_mode_32 3
		.amdhsa_float_denorm_mode_16_64 3
		.amdhsa_dx10_clamp 1
		.amdhsa_ieee_mode 1
		.amdhsa_fp16_overflow 0
		.amdhsa_exception_fp_ieee_invalid_op 0
		.amdhsa_exception_fp_denorm_src 0
		.amdhsa_exception_fp_ieee_div_zero 0
		.amdhsa_exception_fp_ieee_overflow 0
		.amdhsa_exception_fp_ieee_underflow 0
		.amdhsa_exception_fp_ieee_inexact 0
		.amdhsa_exception_int_div_zero 0
	.end_amdhsa_kernel
	.section	.text._ZN9rocsparseL19gebsrmvn_4xn_kernelILj128ELj1ELj32E21rocsparse_complex_numIdEEEvi20rocsparse_direction_NS_24const_host_device_scalarIT2_EEPKiS8_PKS5_SA_S6_PS5_21rocsparse_index_base_b,"axG",@progbits,_ZN9rocsparseL19gebsrmvn_4xn_kernelILj128ELj1ELj32E21rocsparse_complex_numIdEEEvi20rocsparse_direction_NS_24const_host_device_scalarIT2_EEPKiS8_PKS5_SA_S6_PS5_21rocsparse_index_base_b,comdat
.Lfunc_end114:
	.size	_ZN9rocsparseL19gebsrmvn_4xn_kernelILj128ELj1ELj32E21rocsparse_complex_numIdEEEvi20rocsparse_direction_NS_24const_host_device_scalarIT2_EEPKiS8_PKS5_SA_S6_PS5_21rocsparse_index_base_b, .Lfunc_end114-_ZN9rocsparseL19gebsrmvn_4xn_kernelILj128ELj1ELj32E21rocsparse_complex_numIdEEEvi20rocsparse_direction_NS_24const_host_device_scalarIT2_EEPKiS8_PKS5_SA_S6_PS5_21rocsparse_index_base_b
                                        ; -- End function
	.set _ZN9rocsparseL19gebsrmvn_4xn_kernelILj128ELj1ELj32E21rocsparse_complex_numIdEEEvi20rocsparse_direction_NS_24const_host_device_scalarIT2_EEPKiS8_PKS5_SA_S6_PS5_21rocsparse_index_base_b.num_vgpr, 55
	.set _ZN9rocsparseL19gebsrmvn_4xn_kernelILj128ELj1ELj32E21rocsparse_complex_numIdEEEvi20rocsparse_direction_NS_24const_host_device_scalarIT2_EEPKiS8_PKS5_SA_S6_PS5_21rocsparse_index_base_b.num_agpr, 0
	.set _ZN9rocsparseL19gebsrmvn_4xn_kernelILj128ELj1ELj32E21rocsparse_complex_numIdEEEvi20rocsparse_direction_NS_24const_host_device_scalarIT2_EEPKiS8_PKS5_SA_S6_PS5_21rocsparse_index_base_b.numbered_sgpr, 16
	.set _ZN9rocsparseL19gebsrmvn_4xn_kernelILj128ELj1ELj32E21rocsparse_complex_numIdEEEvi20rocsparse_direction_NS_24const_host_device_scalarIT2_EEPKiS8_PKS5_SA_S6_PS5_21rocsparse_index_base_b.num_named_barrier, 0
	.set _ZN9rocsparseL19gebsrmvn_4xn_kernelILj128ELj1ELj32E21rocsparse_complex_numIdEEEvi20rocsparse_direction_NS_24const_host_device_scalarIT2_EEPKiS8_PKS5_SA_S6_PS5_21rocsparse_index_base_b.private_seg_size, 0
	.set _ZN9rocsparseL19gebsrmvn_4xn_kernelILj128ELj1ELj32E21rocsparse_complex_numIdEEEvi20rocsparse_direction_NS_24const_host_device_scalarIT2_EEPKiS8_PKS5_SA_S6_PS5_21rocsparse_index_base_b.uses_vcc, 1
	.set _ZN9rocsparseL19gebsrmvn_4xn_kernelILj128ELj1ELj32E21rocsparse_complex_numIdEEEvi20rocsparse_direction_NS_24const_host_device_scalarIT2_EEPKiS8_PKS5_SA_S6_PS5_21rocsparse_index_base_b.uses_flat_scratch, 0
	.set _ZN9rocsparseL19gebsrmvn_4xn_kernelILj128ELj1ELj32E21rocsparse_complex_numIdEEEvi20rocsparse_direction_NS_24const_host_device_scalarIT2_EEPKiS8_PKS5_SA_S6_PS5_21rocsparse_index_base_b.has_dyn_sized_stack, 0
	.set _ZN9rocsparseL19gebsrmvn_4xn_kernelILj128ELj1ELj32E21rocsparse_complex_numIdEEEvi20rocsparse_direction_NS_24const_host_device_scalarIT2_EEPKiS8_PKS5_SA_S6_PS5_21rocsparse_index_base_b.has_recursion, 0
	.set _ZN9rocsparseL19gebsrmvn_4xn_kernelILj128ELj1ELj32E21rocsparse_complex_numIdEEEvi20rocsparse_direction_NS_24const_host_device_scalarIT2_EEPKiS8_PKS5_SA_S6_PS5_21rocsparse_index_base_b.has_indirect_call, 0
	.section	.AMDGPU.csdata,"",@progbits
; Kernel info:
; codeLenInByte = 2748
; TotalNumSgprs: 20
; NumVgprs: 55
; ScratchSize: 0
; MemoryBound: 0
; FloatMode: 240
; IeeeMode: 1
; LDSByteSize: 0 bytes/workgroup (compile time only)
; SGPRBlocks: 2
; VGPRBlocks: 13
; NumSGPRsForWavesPerEU: 20
; NumVGPRsForWavesPerEU: 55
; Occupancy: 4
; WaveLimiterHint : 1
; COMPUTE_PGM_RSRC2:SCRATCH_EN: 0
; COMPUTE_PGM_RSRC2:USER_SGPR: 6
; COMPUTE_PGM_RSRC2:TRAP_HANDLER: 0
; COMPUTE_PGM_RSRC2:TGID_X_EN: 1
; COMPUTE_PGM_RSRC2:TGID_Y_EN: 0
; COMPUTE_PGM_RSRC2:TGID_Z_EN: 0
; COMPUTE_PGM_RSRC2:TIDIG_COMP_CNT: 0
	.section	.text._ZN9rocsparseL19gebsrmvn_4xn_kernelILj128ELj1ELj64E21rocsparse_complex_numIdEEEvi20rocsparse_direction_NS_24const_host_device_scalarIT2_EEPKiS8_PKS5_SA_S6_PS5_21rocsparse_index_base_b,"axG",@progbits,_ZN9rocsparseL19gebsrmvn_4xn_kernelILj128ELj1ELj64E21rocsparse_complex_numIdEEEvi20rocsparse_direction_NS_24const_host_device_scalarIT2_EEPKiS8_PKS5_SA_S6_PS5_21rocsparse_index_base_b,comdat
	.globl	_ZN9rocsparseL19gebsrmvn_4xn_kernelILj128ELj1ELj64E21rocsparse_complex_numIdEEEvi20rocsparse_direction_NS_24const_host_device_scalarIT2_EEPKiS8_PKS5_SA_S6_PS5_21rocsparse_index_base_b ; -- Begin function _ZN9rocsparseL19gebsrmvn_4xn_kernelILj128ELj1ELj64E21rocsparse_complex_numIdEEEvi20rocsparse_direction_NS_24const_host_device_scalarIT2_EEPKiS8_PKS5_SA_S6_PS5_21rocsparse_index_base_b
	.p2align	8
	.type	_ZN9rocsparseL19gebsrmvn_4xn_kernelILj128ELj1ELj64E21rocsparse_complex_numIdEEEvi20rocsparse_direction_NS_24const_host_device_scalarIT2_EEPKiS8_PKS5_SA_S6_PS5_21rocsparse_index_base_b,@function
_ZN9rocsparseL19gebsrmvn_4xn_kernelILj128ELj1ELj64E21rocsparse_complex_numIdEEEvi20rocsparse_direction_NS_24const_host_device_scalarIT2_EEPKiS8_PKS5_SA_S6_PS5_21rocsparse_index_base_b: ; @_ZN9rocsparseL19gebsrmvn_4xn_kernelILj128ELj1ELj64E21rocsparse_complex_numIdEEEvi20rocsparse_direction_NS_24const_host_device_scalarIT2_EEPKiS8_PKS5_SA_S6_PS5_21rocsparse_index_base_b
; %bb.0:
	s_load_dwordx2 s[0:1], s[4:5], 0x8
	s_load_dwordx2 s[8:9], s[4:5], 0x38
	;; [unrolled: 1-line block ×3, first 2 shown]
	s_add_u32 s7, s4, 8
	s_addc_u32 s10, s5, 0
	s_add_u32 s11, s4, 56
	s_addc_u32 s12, s5, 0
	s_waitcnt lgkmcnt(0)
	s_bitcmp1_b32 s3, 0
	s_cselect_b32 s1, s10, s1
	s_cselect_b32 s0, s7, s0
	v_mov_b32_e32 v1, s0
	v_mov_b32_e32 v2, s1
	flat_load_dwordx4 v[1:4], v[1:2]
	s_cselect_b32 s0, s12, s9
	s_cselect_b32 s1, s11, s8
	v_mov_b32_e32 v5, s1
	v_mov_b32_e32 v6, s0
	flat_load_dwordx4 v[5:8], v[5:6]
	s_waitcnt vmcnt(0) lgkmcnt(0)
	v_cmp_eq_f64_e32 vcc, 0, v[1:2]
	v_cmp_eq_f64_e64 s[0:1], 0, v[3:4]
	s_and_b64 s[10:11], vcc, s[0:1]
	s_mov_b64 s[0:1], -1
	s_and_saveexec_b64 s[8:9], s[10:11]
	s_cbranch_execz .LBB115_2
; %bb.1:
	v_cmp_neq_f64_e32 vcc, 1.0, v[5:6]
	v_cmp_neq_f64_e64 s[0:1], 0, v[7:8]
	s_or_b64 s[0:1], vcc, s[0:1]
	s_orn2_b64 s[0:1], s[0:1], exec
.LBB115_2:
	s_or_b64 exec, exec, s[8:9]
	s_and_saveexec_b64 s[8:9], s[0:1]
	s_cbranch_execz .LBB115_21
; %bb.3:
	s_load_dwordx2 s[0:1], s[4:5], 0x0
	v_lshrrev_b32_e32 v9, 6, v0
	v_lshl_or_b32 v9, s6, 1, v9
	s_waitcnt lgkmcnt(0)
	v_cmp_gt_i32_e32 vcc, s0, v9
	s_and_b64 exec, exec, vcc
	s_cbranch_execz .LBB115_21
; %bb.4:
	s_load_dwordx8 s[8:15], s[4:5], 0x18
	v_ashrrev_i32_e32 v10, 31, v9
	v_lshlrev_b64 v[10:11], 2, v[9:10]
	v_and_b32_e32 v0, 63, v0
	s_cmp_lg_u32 s1, 0
	s_waitcnt lgkmcnt(0)
	v_mov_b32_e32 v12, s9
	v_add_co_u32_e32 v10, vcc, s8, v10
	v_addc_co_u32_e32 v11, vcc, v12, v11, vcc
	global_load_dwordx2 v[10:11], v[10:11], off
	s_waitcnt vmcnt(0)
	v_subrev_u32_e32 v10, s2, v10
	v_subrev_u32_e32 v32, s2, v11
	v_add_u32_e32 v24, v10, v0
	v_cmp_lt_i32_e64 s[0:1], v24, v32
	s_cbranch_scc0 .LBB115_10
; %bb.5:
	v_mov_b32_e32 v22, 0
	v_mov_b32_e32 v26, 0
	;; [unrolled: 1-line block ×16, first 2 shown]
	s_and_saveexec_b64 s[6:7], s[0:1]
	s_cbranch_execz .LBB115_9
; %bb.6:
	v_mov_b32_e32 v22, 0
	v_mov_b32_e32 v26, 0
	;; [unrolled: 1-line block ×8, first 2 shown]
	v_lshlrev_b32_e32 v28, 2, v24
	v_mov_b32_e32 v23, 0
	s_mov_b64 s[8:9], 0
	v_mov_b32_e32 v25, s11
	v_mov_b32_e32 v29, 0
	;; [unrolled: 1-line block ×12, first 2 shown]
.LBB115_7:                              ; =>This Inner Loop Header: Depth=1
	v_ashrrev_i32_e32 v31, 31, v30
	v_lshlrev_b64 v[35:36], 2, v[30:31]
	v_mov_b32_e32 v52, v29
	v_add_co_u32_e32 v35, vcc, s10, v35
	v_addc_co_u32_e32 v36, vcc, v25, v36, vcc
	global_load_dword v31, v[35:36], off
	v_lshlrev_b64 v[35:36], 4, v[28:29]
	v_add_u32_e32 v30, 64, v30
	v_add_co_u32_e32 v53, vcc, s12, v35
	v_addc_co_u32_e32 v54, vcc, v33, v36, vcc
	global_load_dwordx4 v[35:38], v[53:54], off
	global_load_dwordx4 v[39:42], v[53:54], off offset:16
	global_load_dwordx4 v[43:46], v[53:54], off offset:32
	;; [unrolled: 1-line block ×3, first 2 shown]
	v_add_u32_e32 v28, 0x100, v28
	s_waitcnt vmcnt(4)
	v_subrev_u32_e32 v51, s2, v31
	v_lshlrev_b64 v[51:52], 4, v[51:52]
	v_add_co_u32_e32 v51, vcc, s14, v51
	v_addc_co_u32_e32 v52, vcc, v34, v52, vcc
	global_load_dwordx4 v[51:54], v[51:52], off
	v_cmp_ge_i32_e32 vcc, v30, v32
	s_or_b64 s[8:9], vcc, s[8:9]
	s_waitcnt vmcnt(0)
	v_fma_f64 v[26:27], v[35:36], v[51:52], v[26:27]
	v_fma_f64 v[22:23], v[37:38], v[51:52], v[22:23]
	;; [unrolled: 1-line block ×8, first 2 shown]
	v_fma_f64 v[26:27], -v[37:38], v[53:54], v[26:27]
	v_fma_f64 v[22:23], v[35:36], v[53:54], v[22:23]
	v_fma_f64 v[20:21], -v[41:42], v[53:54], v[20:21]
	v_fma_f64 v[18:19], v[39:40], v[53:54], v[18:19]
	;; [unrolled: 2-line block ×4, first 2 shown]
	s_andn2_b64 exec, exec, s[8:9]
	s_cbranch_execnz .LBB115_7
; %bb.8:
	s_or_b64 exec, exec, s[8:9]
.LBB115_9:
	s_or_b64 exec, exec, s[6:7]
	s_cbranch_execz .LBB115_11
	s_branch .LBB115_16
.LBB115_10:
                                        ; implicit-def: $vgpr22_vgpr23
                                        ; implicit-def: $vgpr26_vgpr27
                                        ; implicit-def: $vgpr12_vgpr13
                                        ; implicit-def: $vgpr10_vgpr11
                                        ; implicit-def: $vgpr16_vgpr17
                                        ; implicit-def: $vgpr14_vgpr15
                                        ; implicit-def: $vgpr20_vgpr21
                                        ; implicit-def: $vgpr18_vgpr19
.LBB115_11:
	v_mov_b32_e32 v22, 0
	v_mov_b32_e32 v26, 0
	;; [unrolled: 1-line block ×16, first 2 shown]
	s_and_saveexec_b64 s[6:7], s[0:1]
	s_cbranch_execz .LBB115_15
; %bb.12:
	v_mov_b32_e32 v22, 0
	v_mov_b32_e32 v26, 0
	;; [unrolled: 1-line block ×8, first 2 shown]
	v_lshlrev_b32_e32 v28, 2, v24
	v_mov_b32_e32 v23, 0
	s_mov_b64 s[0:1], 0
	v_mov_b32_e32 v30, s11
	v_mov_b32_e32 v29, 0
	;; [unrolled: 1-line block ×11, first 2 shown]
.LBB115_13:                             ; =>This Inner Loop Header: Depth=1
	v_ashrrev_i32_e32 v25, 31, v24
	v_lshlrev_b64 v[34:35], 2, v[24:25]
	v_mov_b32_e32 v51, v29
	v_add_co_u32_e32 v34, vcc, s10, v34
	v_addc_co_u32_e32 v35, vcc, v30, v35, vcc
	global_load_dword v25, v[34:35], off
	v_lshlrev_b64 v[34:35], 4, v[28:29]
	v_add_u32_e32 v24, 64, v24
	v_add_co_u32_e32 v52, vcc, s12, v34
	v_addc_co_u32_e32 v53, vcc, v31, v35, vcc
	global_load_dwordx4 v[34:37], v[52:53], off
	global_load_dwordx4 v[38:41], v[52:53], off offset:16
	global_load_dwordx4 v[42:45], v[52:53], off offset:32
	;; [unrolled: 1-line block ×3, first 2 shown]
	v_add_u32_e32 v28, 0x100, v28
	s_waitcnt vmcnt(4)
	v_subrev_u32_e32 v50, s2, v25
	v_lshlrev_b64 v[50:51], 4, v[50:51]
	v_add_co_u32_e32 v50, vcc, s14, v50
	v_addc_co_u32_e32 v51, vcc, v33, v51, vcc
	global_load_dwordx4 v[50:53], v[50:51], off
	v_cmp_ge_i32_e32 vcc, v24, v32
	s_or_b64 s[0:1], vcc, s[0:1]
	s_waitcnt vmcnt(0)
	v_fma_f64 v[25:26], v[34:35], v[50:51], v[26:27]
	v_fma_f64 v[22:23], v[36:37], v[50:51], v[22:23]
	;; [unrolled: 1-line block ×8, first 2 shown]
	v_fma_f64 v[26:27], -v[36:37], v[52:53], v[25:26]
	v_fma_f64 v[22:23], v[34:35], v[52:53], v[22:23]
	v_fma_f64 v[20:21], -v[40:41], v[52:53], v[20:21]
	v_fma_f64 v[18:19], v[38:39], v[52:53], v[18:19]
	;; [unrolled: 2-line block ×4, first 2 shown]
	s_andn2_b64 exec, exec, s[0:1]
	s_cbranch_execnz .LBB115_13
; %bb.14:
	s_or_b64 exec, exec, s[0:1]
.LBB115_15:
	s_or_b64 exec, exec, s[6:7]
.LBB115_16:
	v_mov_b32_dpp v24, v26 row_shr:1 row_mask:0xf bank_mask:0xf
	v_mov_b32_dpp v25, v27 row_shr:1 row_mask:0xf bank_mask:0xf
	v_add_f64 v[24:25], v[26:27], v[24:25]
	v_mov_b32_dpp v26, v22 row_shr:1 row_mask:0xf bank_mask:0xf
	v_mov_b32_dpp v27, v23 row_shr:1 row_mask:0xf bank_mask:0xf
	v_add_f64 v[22:23], v[22:23], v[26:27]
	v_mov_b32_dpp v28, v18 row_shr:1 row_mask:0xf bank_mask:0xf
	v_mov_b32_dpp v29, v19 row_shr:1 row_mask:0xf bank_mask:0xf
	v_add_f64 v[18:19], v[18:19], v[28:29]
	v_mov_b32_dpp v36, v14 row_shr:1 row_mask:0xf bank_mask:0xf
	v_mov_b32_dpp v26, v24 row_shr:2 row_mask:0xf bank_mask:0xf
	v_mov_b32_dpp v27, v25 row_shr:2 row_mask:0xf bank_mask:0xf
	v_add_f64 v[24:25], v[24:25], v[26:27]
	v_mov_b32_dpp v26, v22 row_shr:2 row_mask:0xf bank_mask:0xf
	v_mov_b32_dpp v27, v23 row_shr:2 row_mask:0xf bank_mask:0xf
	v_add_f64 v[22:23], v[22:23], v[26:27]
	v_mov_b32_dpp v26, v20 row_shr:1 row_mask:0xf bank_mask:0xf
	v_mov_b32_dpp v27, v21 row_shr:1 row_mask:0xf bank_mask:0xf
	v_add_f64 v[20:21], v[20:21], v[26:27]
	v_mov_b32_dpp v37, v15 row_shr:1 row_mask:0xf bank_mask:0xf
	;; [unrolled: 10-line block ×3, first 2 shown]
	v_mov_b32_dpp v27, v19 row_shr:2 row_mask:0xf bank_mask:0xf
	v_add_f64 v[26:27], v[18:19], v[26:27]
	v_mov_b32_dpp v28, v24 row_shr:8 row_mask:0xf bank_mask:0xc
	v_mov_b32_dpp v29, v25 row_shr:8 row_mask:0xf bank_mask:0xc
	v_add_f64 v[24:25], v[24:25], v[28:29]
	v_mov_b32_dpp v28, v22 row_shr:8 row_mask:0xf bank_mask:0xc
	;; [unrolled: 3-line block ×5, first 2 shown]
	v_mov_b32_dpp v29, v17 row_shr:1 row_mask:0xf bank_mask:0xf
	v_add_f64 v[16:17], v[16:17], v[28:29]
	v_mov_b32_dpp v18, v24 row_bcast:15 row_mask:0xa bank_mask:0xf
	v_mov_b32_dpp v28, v20 row_shr:8 row_mask:0xf bank_mask:0xc
	v_mov_b32_dpp v29, v21 row_shr:8 row_mask:0xf bank_mask:0xc
	v_add_f64 v[28:29], v[20:21], v[28:29]
	v_mov_b32_dpp v20, v26 row_shr:8 row_mask:0xf bank_mask:0xc
	v_mov_b32_dpp v21, v27 row_shr:8 row_mask:0xf bank_mask:0xc
	v_add_f64 v[26:27], v[26:27], v[20:21]
	;; [unrolled: 3-line block ×3, first 2 shown]
	v_mov_b32_dpp v19, v25 row_bcast:15 row_mask:0xa bank_mask:0xf
	v_add_f64 v[18:19], v[24:25], v[18:19]
	v_mov_b32_dpp v24, v22 row_bcast:15 row_mask:0xa bank_mask:0xf
	v_mov_b32_dpp v25, v23 row_bcast:15 row_mask:0xa bank_mask:0xf
	v_add_f64 v[20:21], v[22:23], v[24:25]
	v_mov_b32_dpp v24, v26 row_bcast:15 row_mask:0xa bank_mask:0xf
	v_mov_b32_dpp v25, v27 row_bcast:15 row_mask:0xa bank_mask:0xf
	v_add_f64 v[26:27], v[26:27], v[24:25]
	v_mov_b32_dpp v24, v16 row_shr:4 row_mask:0xf bank_mask:0xe
	v_mov_b32_dpp v25, v17 row_shr:4 row_mask:0xf bank_mask:0xe
	v_add_f64 v[32:33], v[16:17], v[24:25]
	v_add_f64 v[14:15], v[14:15], v[36:37]
	v_mov_b32_dpp v36, v12 row_shr:1 row_mask:0xf bank_mask:0xf
	v_mov_b32_dpp v37, v13 row_shr:1 row_mask:0xf bank_mask:0xf
	v_add_f64 v[12:13], v[12:13], v[36:37]
	v_mov_b32_dpp v36, v10 row_shr:1 row_mask:0xf bank_mask:0xf
	v_mov_b32_dpp v37, v11 row_shr:1 row_mask:0xf bank_mask:0xf
	;; [unrolled: 3-line block ×6, first 2 shown]
	v_add_f64 v[10:11], v[10:11], v[34:35]
	v_mov_b32_dpp v34, v32 row_bcast:15 row_mask:0xa bank_mask:0xf
	v_mov_b32_dpp v35, v14 row_shr:4 row_mask:0xf bank_mask:0xe
	v_mov_b32_dpp v36, v15 row_shr:4 row_mask:0xf bank_mask:0xe
	v_add_f64 v[14:15], v[14:15], v[35:36]
	v_mov_b32_dpp v35, v12 row_shr:4 row_mask:0xf bank_mask:0xe
	v_mov_b32_dpp v36, v13 row_shr:4 row_mask:0xf bank_mask:0xe
	v_add_f64 v[12:13], v[12:13], v[35:36]
	;; [unrolled: 3-line block ×3, first 2 shown]
	v_mov_b32_dpp v35, v33 row_bcast:15 row_mask:0xa bank_mask:0xf
	v_mov_b32_dpp v36, v14 row_shr:8 row_mask:0xf bank_mask:0xc
	v_mov_b32_dpp v37, v15 row_shr:8 row_mask:0xf bank_mask:0xc
	v_add_f64 v[14:15], v[14:15], v[36:37]
	v_mov_b32_dpp v36, v12 row_shr:8 row_mask:0xf bank_mask:0xc
	v_mov_b32_dpp v37, v13 row_shr:8 row_mask:0xf bank_mask:0xc
	v_add_f64 v[36:37], v[12:13], v[36:37]
	;; [unrolled: 3-line block ×3, first 2 shown]
	v_add_f64 v[12:13], v[32:33], v[34:35]
	v_mov_b32_dpp v32, v14 row_bcast:15 row_mask:0xa bank_mask:0xf
	v_mov_b32_dpp v33, v15 row_bcast:15 row_mask:0xa bank_mask:0xf
	v_add_f64 v[14:15], v[14:15], v[32:33]
	v_mov_b32_dpp v32, v36 row_bcast:15 row_mask:0xa bank_mask:0xf
	v_mov_b32_dpp v33, v37 row_bcast:15 row_mask:0xa bank_mask:0xf
	v_mov_b32_dpp v22, v28 row_bcast:15 row_mask:0xa bank_mask:0xf
	v_mov_b32_dpp v23, v29 row_bcast:15 row_mask:0xa bank_mask:0xf
	v_add_f64 v[34:35], v[36:37], v[32:33]
	v_mov_b32_dpp v32, v10 row_bcast:15 row_mask:0xa bank_mask:0xf
	v_mov_b32_dpp v33, v11 row_bcast:15 row_mask:0xa bank_mask:0xf
	v_add_f64 v[22:23], v[28:29], v[22:23]
	v_add_f64 v[32:33], v[10:11], v[32:33]
	v_mov_b32_dpp v16, v18 row_bcast:31 row_mask:0xc bank_mask:0xf
	v_mov_b32_dpp v17, v19 row_bcast:31 row_mask:0xc bank_mask:0xf
	;; [unrolled: 1-line block ×16, first 2 shown]
	v_cmp_eq_u32_e32 vcc, 63, v0
	s_and_b64 exec, exec, vcc
	s_cbranch_execz .LBB115_21
; %bb.17:
	v_cmp_eq_f64_e32 vcc, 0, v[5:6]
	v_cmp_eq_f64_e64 s[0:1], 0, v[7:8]
	v_add_f64 v[16:17], v[18:19], v[16:17]
	v_add_f64 v[24:25], v[20:21], v[24:25]
	;; [unrolled: 1-line block ×8, first 2 shown]
	s_load_dwordx2 s[2:3], s[4:5], 0x48
	s_and_b64 s[0:1], vcc, s[0:1]
	s_and_saveexec_b64 s[4:5], s[0:1]
	s_xor_b64 s[0:1], exec, s[4:5]
	s_cbranch_execz .LBB115_19
; %bb.18:
	v_mul_f64 v[5:6], v[24:25], -v[3:4]
	v_mul_f64 v[7:8], v[1:2], v[24:25]
	v_mul_f64 v[26:27], v[22:23], -v[3:4]
	v_mul_f64 v[22:23], v[1:2], v[22:23]
	;; [unrolled: 2-line block ×4, first 2 shown]
	v_fma_f64 v[5:6], v[1:2], v[16:17], v[5:6]
	v_fma_f64 v[7:8], v[3:4], v[16:17], v[7:8]
	;; [unrolled: 1-line block ×4, first 2 shown]
	v_lshlrev_b32_e32 v24, 2, v9
	v_fma_f64 v[9:10], v[1:2], v[12:13], v[28:29]
	v_fma_f64 v[11:12], v[3:4], v[12:13], v[30:31]
	v_ashrrev_i32_e32 v25, 31, v24
	v_fma_f64 v[0:1], v[1:2], v[14:15], v[32:33]
	v_fma_f64 v[2:3], v[3:4], v[14:15], v[20:21]
	v_lshlrev_b64 v[24:25], 4, v[24:25]
	s_waitcnt lgkmcnt(0)
	v_mov_b32_e32 v34, s3
	v_add_co_u32_e32 v13, vcc, s2, v24
	v_addc_co_u32_e32 v14, vcc, v34, v25, vcc
	global_store_dwordx4 v[13:14], v[5:8], off
	global_store_dwordx4 v[13:14], v[16:19], off offset:16
	global_store_dwordx4 v[13:14], v[9:12], off offset:32
	;; [unrolled: 1-line block ×3, first 2 shown]
                                        ; implicit-def: $vgpr9
                                        ; implicit-def: $vgpr16_vgpr17
                                        ; implicit-def: $vgpr24_vgpr25
                                        ; implicit-def: $vgpr10_vgpr11
                                        ; implicit-def: $vgpr22_vgpr23
                                        ; implicit-def: $vgpr12_vgpr13
                                        ; implicit-def: $vgpr18_vgpr19
                                        ; implicit-def: $vgpr14_vgpr15
                                        ; implicit-def: $vgpr20_vgpr21
                                        ; implicit-def: $vgpr7_vgpr8
                                        ; implicit-def: $vgpr3_vgpr4
.LBB115_19:
	s_andn2_saveexec_b64 s[0:1], s[0:1]
	s_cbranch_execz .LBB115_21
; %bb.20:
	v_lshlrev_b32_e32 v26, 2, v9
	v_ashrrev_i32_e32 v27, 31, v26
	v_lshlrev_b64 v[26:27], 4, v[26:27]
	s_waitcnt lgkmcnt(0)
	v_mov_b32_e32 v0, s3
	v_add_co_u32_e32 v42, vcc, s2, v26
	v_addc_co_u32_e32 v43, vcc, v0, v27, vcc
	global_load_dwordx4 v[26:29], v[42:43], off
	global_load_dwordx4 v[30:33], v[42:43], off offset:16
	global_load_dwordx4 v[34:37], v[42:43], off offset:32
	;; [unrolled: 1-line block ×3, first 2 shown]
	v_mul_f64 v[44:45], v[24:25], -v[3:4]
	v_mul_f64 v[24:25], v[1:2], v[24:25]
	v_mul_f64 v[46:47], v[22:23], -v[3:4]
	v_mul_f64 v[22:23], v[1:2], v[22:23]
	;; [unrolled: 2-line block ×4, first 2 shown]
	v_fma_f64 v[44:45], v[1:2], v[16:17], v[44:45]
	v_fma_f64 v[16:17], v[3:4], v[16:17], v[24:25]
	;; [unrolled: 1-line block ×8, first 2 shown]
	s_waitcnt vmcnt(3)
	v_fma_f64 v[13:14], v[5:6], v[26:27], v[44:45]
	v_fma_f64 v[15:16], v[7:8], v[26:27], v[16:17]
	s_waitcnt vmcnt(2)
	v_fma_f64 v[17:18], v[5:6], v[30:31], v[24:25]
	v_fma_f64 v[19:20], v[7:8], v[30:31], v[9:10]
	;; [unrolled: 3-line block ×4, first 2 shown]
	v_fma_f64 v[0:1], -v[7:8], v[28:29], v[13:14]
	v_fma_f64 v[2:3], v[5:6], v[28:29], v[15:16]
	v_fma_f64 v[9:10], -v[7:8], v[32:33], v[17:18]
	v_fma_f64 v[11:12], v[5:6], v[32:33], v[19:20]
	;; [unrolled: 2-line block ×4, first 2 shown]
	global_store_dwordx4 v[42:43], v[0:3], off
	global_store_dwordx4 v[42:43], v[9:12], off offset:16
	global_store_dwordx4 v[42:43], v[13:16], off offset:32
	;; [unrolled: 1-line block ×3, first 2 shown]
.LBB115_21:
	s_endpgm
	.section	.rodata,"a",@progbits
	.p2align	6, 0x0
	.amdhsa_kernel _ZN9rocsparseL19gebsrmvn_4xn_kernelILj128ELj1ELj64E21rocsparse_complex_numIdEEEvi20rocsparse_direction_NS_24const_host_device_scalarIT2_EEPKiS8_PKS5_SA_S6_PS5_21rocsparse_index_base_b
		.amdhsa_group_segment_fixed_size 0
		.amdhsa_private_segment_fixed_size 0
		.amdhsa_kernarg_size 88
		.amdhsa_user_sgpr_count 6
		.amdhsa_user_sgpr_private_segment_buffer 1
		.amdhsa_user_sgpr_dispatch_ptr 0
		.amdhsa_user_sgpr_queue_ptr 0
		.amdhsa_user_sgpr_kernarg_segment_ptr 1
		.amdhsa_user_sgpr_dispatch_id 0
		.amdhsa_user_sgpr_flat_scratch_init 0
		.amdhsa_user_sgpr_private_segment_size 0
		.amdhsa_uses_dynamic_stack 0
		.amdhsa_system_sgpr_private_segment_wavefront_offset 0
		.amdhsa_system_sgpr_workgroup_id_x 1
		.amdhsa_system_sgpr_workgroup_id_y 0
		.amdhsa_system_sgpr_workgroup_id_z 0
		.amdhsa_system_sgpr_workgroup_info 0
		.amdhsa_system_vgpr_workitem_id 0
		.amdhsa_next_free_vgpr 55
		.amdhsa_next_free_sgpr 16
		.amdhsa_reserve_vcc 1
		.amdhsa_reserve_flat_scratch 0
		.amdhsa_float_round_mode_32 0
		.amdhsa_float_round_mode_16_64 0
		.amdhsa_float_denorm_mode_32 3
		.amdhsa_float_denorm_mode_16_64 3
		.amdhsa_dx10_clamp 1
		.amdhsa_ieee_mode 1
		.amdhsa_fp16_overflow 0
		.amdhsa_exception_fp_ieee_invalid_op 0
		.amdhsa_exception_fp_denorm_src 0
		.amdhsa_exception_fp_ieee_div_zero 0
		.amdhsa_exception_fp_ieee_overflow 0
		.amdhsa_exception_fp_ieee_underflow 0
		.amdhsa_exception_fp_ieee_inexact 0
		.amdhsa_exception_int_div_zero 0
	.end_amdhsa_kernel
	.section	.text._ZN9rocsparseL19gebsrmvn_4xn_kernelILj128ELj1ELj64E21rocsparse_complex_numIdEEEvi20rocsparse_direction_NS_24const_host_device_scalarIT2_EEPKiS8_PKS5_SA_S6_PS5_21rocsparse_index_base_b,"axG",@progbits,_ZN9rocsparseL19gebsrmvn_4xn_kernelILj128ELj1ELj64E21rocsparse_complex_numIdEEEvi20rocsparse_direction_NS_24const_host_device_scalarIT2_EEPKiS8_PKS5_SA_S6_PS5_21rocsparse_index_base_b,comdat
.Lfunc_end115:
	.size	_ZN9rocsparseL19gebsrmvn_4xn_kernelILj128ELj1ELj64E21rocsparse_complex_numIdEEEvi20rocsparse_direction_NS_24const_host_device_scalarIT2_EEPKiS8_PKS5_SA_S6_PS5_21rocsparse_index_base_b, .Lfunc_end115-_ZN9rocsparseL19gebsrmvn_4xn_kernelILj128ELj1ELj64E21rocsparse_complex_numIdEEEvi20rocsparse_direction_NS_24const_host_device_scalarIT2_EEPKiS8_PKS5_SA_S6_PS5_21rocsparse_index_base_b
                                        ; -- End function
	.set _ZN9rocsparseL19gebsrmvn_4xn_kernelILj128ELj1ELj64E21rocsparse_complex_numIdEEEvi20rocsparse_direction_NS_24const_host_device_scalarIT2_EEPKiS8_PKS5_SA_S6_PS5_21rocsparse_index_base_b.num_vgpr, 55
	.set _ZN9rocsparseL19gebsrmvn_4xn_kernelILj128ELj1ELj64E21rocsparse_complex_numIdEEEvi20rocsparse_direction_NS_24const_host_device_scalarIT2_EEPKiS8_PKS5_SA_S6_PS5_21rocsparse_index_base_b.num_agpr, 0
	.set _ZN9rocsparseL19gebsrmvn_4xn_kernelILj128ELj1ELj64E21rocsparse_complex_numIdEEEvi20rocsparse_direction_NS_24const_host_device_scalarIT2_EEPKiS8_PKS5_SA_S6_PS5_21rocsparse_index_base_b.numbered_sgpr, 16
	.set _ZN9rocsparseL19gebsrmvn_4xn_kernelILj128ELj1ELj64E21rocsparse_complex_numIdEEEvi20rocsparse_direction_NS_24const_host_device_scalarIT2_EEPKiS8_PKS5_SA_S6_PS5_21rocsparse_index_base_b.num_named_barrier, 0
	.set _ZN9rocsparseL19gebsrmvn_4xn_kernelILj128ELj1ELj64E21rocsparse_complex_numIdEEEvi20rocsparse_direction_NS_24const_host_device_scalarIT2_EEPKiS8_PKS5_SA_S6_PS5_21rocsparse_index_base_b.private_seg_size, 0
	.set _ZN9rocsparseL19gebsrmvn_4xn_kernelILj128ELj1ELj64E21rocsparse_complex_numIdEEEvi20rocsparse_direction_NS_24const_host_device_scalarIT2_EEPKiS8_PKS5_SA_S6_PS5_21rocsparse_index_base_b.uses_vcc, 1
	.set _ZN9rocsparseL19gebsrmvn_4xn_kernelILj128ELj1ELj64E21rocsparse_complex_numIdEEEvi20rocsparse_direction_NS_24const_host_device_scalarIT2_EEPKiS8_PKS5_SA_S6_PS5_21rocsparse_index_base_b.uses_flat_scratch, 0
	.set _ZN9rocsparseL19gebsrmvn_4xn_kernelILj128ELj1ELj64E21rocsparse_complex_numIdEEEvi20rocsparse_direction_NS_24const_host_device_scalarIT2_EEPKiS8_PKS5_SA_S6_PS5_21rocsparse_index_base_b.has_dyn_sized_stack, 0
	.set _ZN9rocsparseL19gebsrmvn_4xn_kernelILj128ELj1ELj64E21rocsparse_complex_numIdEEEvi20rocsparse_direction_NS_24const_host_device_scalarIT2_EEPKiS8_PKS5_SA_S6_PS5_21rocsparse_index_base_b.has_recursion, 0
	.set _ZN9rocsparseL19gebsrmvn_4xn_kernelILj128ELj1ELj64E21rocsparse_complex_numIdEEEvi20rocsparse_direction_NS_24const_host_device_scalarIT2_EEPKiS8_PKS5_SA_S6_PS5_21rocsparse_index_base_b.has_indirect_call, 0
	.section	.AMDGPU.csdata,"",@progbits
; Kernel info:
; codeLenInByte = 2940
; TotalNumSgprs: 20
; NumVgprs: 55
; ScratchSize: 0
; MemoryBound: 0
; FloatMode: 240
; IeeeMode: 1
; LDSByteSize: 0 bytes/workgroup (compile time only)
; SGPRBlocks: 2
; VGPRBlocks: 13
; NumSGPRsForWavesPerEU: 20
; NumVGPRsForWavesPerEU: 55
; Occupancy: 4
; WaveLimiterHint : 1
; COMPUTE_PGM_RSRC2:SCRATCH_EN: 0
; COMPUTE_PGM_RSRC2:USER_SGPR: 6
; COMPUTE_PGM_RSRC2:TRAP_HANDLER: 0
; COMPUTE_PGM_RSRC2:TGID_X_EN: 1
; COMPUTE_PGM_RSRC2:TGID_Y_EN: 0
; COMPUTE_PGM_RSRC2:TGID_Z_EN: 0
; COMPUTE_PGM_RSRC2:TIDIG_COMP_CNT: 0
	.section	.text._ZN9rocsparseL19gebsrmvn_4xn_kernelILj128ELj2ELj4E21rocsparse_complex_numIdEEEvi20rocsparse_direction_NS_24const_host_device_scalarIT2_EEPKiS8_PKS5_SA_S6_PS5_21rocsparse_index_base_b,"axG",@progbits,_ZN9rocsparseL19gebsrmvn_4xn_kernelILj128ELj2ELj4E21rocsparse_complex_numIdEEEvi20rocsparse_direction_NS_24const_host_device_scalarIT2_EEPKiS8_PKS5_SA_S6_PS5_21rocsparse_index_base_b,comdat
	.globl	_ZN9rocsparseL19gebsrmvn_4xn_kernelILj128ELj2ELj4E21rocsparse_complex_numIdEEEvi20rocsparse_direction_NS_24const_host_device_scalarIT2_EEPKiS8_PKS5_SA_S6_PS5_21rocsparse_index_base_b ; -- Begin function _ZN9rocsparseL19gebsrmvn_4xn_kernelILj128ELj2ELj4E21rocsparse_complex_numIdEEEvi20rocsparse_direction_NS_24const_host_device_scalarIT2_EEPKiS8_PKS5_SA_S6_PS5_21rocsparse_index_base_b
	.p2align	8
	.type	_ZN9rocsparseL19gebsrmvn_4xn_kernelILj128ELj2ELj4E21rocsparse_complex_numIdEEEvi20rocsparse_direction_NS_24const_host_device_scalarIT2_EEPKiS8_PKS5_SA_S6_PS5_21rocsparse_index_base_b,@function
_ZN9rocsparseL19gebsrmvn_4xn_kernelILj128ELj2ELj4E21rocsparse_complex_numIdEEEvi20rocsparse_direction_NS_24const_host_device_scalarIT2_EEPKiS8_PKS5_SA_S6_PS5_21rocsparse_index_base_b: ; @_ZN9rocsparseL19gebsrmvn_4xn_kernelILj128ELj2ELj4E21rocsparse_complex_numIdEEEvi20rocsparse_direction_NS_24const_host_device_scalarIT2_EEPKiS8_PKS5_SA_S6_PS5_21rocsparse_index_base_b
; %bb.0:
	s_load_dwordx2 s[0:1], s[4:5], 0x8
	s_load_dwordx2 s[8:9], s[4:5], 0x38
	;; [unrolled: 1-line block ×3, first 2 shown]
	s_add_u32 s7, s4, 8
	s_addc_u32 s10, s5, 0
	s_add_u32 s11, s4, 56
	s_addc_u32 s12, s5, 0
	s_waitcnt lgkmcnt(0)
	s_bitcmp1_b32 s3, 0
	s_cselect_b32 s1, s10, s1
	s_cselect_b32 s0, s7, s0
	v_mov_b32_e32 v1, s0
	v_mov_b32_e32 v2, s1
	flat_load_dwordx4 v[1:4], v[1:2]
	s_cselect_b32 s0, s12, s9
	s_cselect_b32 s1, s11, s8
	v_mov_b32_e32 v5, s1
	v_mov_b32_e32 v6, s0
	flat_load_dwordx4 v[5:8], v[5:6]
	s_waitcnt vmcnt(0) lgkmcnt(0)
	v_cmp_eq_f64_e32 vcc, 0, v[1:2]
	v_cmp_eq_f64_e64 s[0:1], 0, v[3:4]
	s_and_b64 s[10:11], vcc, s[0:1]
	s_mov_b64 s[0:1], -1
	s_and_saveexec_b64 s[8:9], s[10:11]
	s_cbranch_execz .LBB116_2
; %bb.1:
	v_cmp_neq_f64_e32 vcc, 1.0, v[5:6]
	v_cmp_neq_f64_e64 s[0:1], 0, v[7:8]
	s_or_b64 s[0:1], vcc, s[0:1]
	s_orn2_b64 s[0:1], s[0:1], exec
.LBB116_2:
	s_or_b64 exec, exec, s[8:9]
	s_and_saveexec_b64 s[8:9], s[0:1]
	s_cbranch_execz .LBB116_21
; %bb.3:
	s_load_dwordx2 s[0:1], s[4:5], 0x0
	v_lshrrev_b32_e32 v9, 2, v0
	v_lshl_or_b32 v9, s6, 5, v9
	s_waitcnt lgkmcnt(0)
	v_cmp_gt_i32_e32 vcc, s0, v9
	s_and_b64 exec, exec, vcc
	s_cbranch_execz .LBB116_21
; %bb.4:
	s_load_dwordx8 s[8:15], s[4:5], 0x18
	v_ashrrev_i32_e32 v10, 31, v9
	v_lshlrev_b64 v[10:11], 2, v[9:10]
	v_and_b32_e32 v0, 3, v0
	s_cmp_lg_u32 s1, 0
	s_waitcnt lgkmcnt(0)
	v_mov_b32_e32 v12, s9
	v_add_co_u32_e32 v10, vcc, s8, v10
	v_addc_co_u32_e32 v11, vcc, v12, v11, vcc
	global_load_dwordx2 v[10:11], v[10:11], off
	s_waitcnt vmcnt(0)
	v_subrev_u32_e32 v10, s2, v10
	v_subrev_u32_e32 v32, s2, v11
	v_add_u32_e32 v10, v10, v0
	v_cmp_lt_i32_e64 s[0:1], v10, v32
	s_cbranch_scc0 .LBB116_10
; %bb.5:
	v_mov_b32_e32 v16, 0
	v_mov_b32_e32 v18, 0
	;; [unrolled: 1-line block ×16, first 2 shown]
	s_and_saveexec_b64 s[6:7], s[0:1]
	s_cbranch_execz .LBB116_9
; %bb.6:
	v_mov_b32_e32 v16, 0
	v_mov_b32_e32 v18, 0
	;; [unrolled: 1-line block ×8, first 2 shown]
	v_lshlrev_b32_e32 v28, 3, v10
	v_mov_b32_e32 v17, 0
	s_mov_b64 s[8:9], 0
	v_mov_b32_e32 v11, s11
	v_mov_b32_e32 v29, 0
	;; [unrolled: 1-line block ×12, first 2 shown]
.LBB116_7:                              ; =>This Inner Loop Header: Depth=1
	v_lshlrev_b64 v[35:36], 4, v[28:29]
	v_ashrrev_i32_e32 v31, 31, v30
	v_lshlrev_b64 v[37:38], 2, v[30:31]
	v_add_co_u32_e32 v43, vcc, s12, v35
	v_addc_co_u32_e32 v44, vcc, v33, v36, vcc
	v_add_co_u32_e32 v41, vcc, s10, v37
	v_addc_co_u32_e32 v42, vcc, v11, v38, vcc
	global_load_dwordx4 v[35:38], v[43:44], off
	global_load_dword v31, v[41:42], off
	v_mov_b32_e32 v40, v29
	v_add_u32_e32 v30, 4, v30
	v_add_u32_e32 v28, 32, v28
	s_waitcnt vmcnt(0)
	v_subrev_u32_e32 v31, s2, v31
	v_lshlrev_b32_e32 v39, 1, v31
	v_lshlrev_b64 v[39:40], 4, v[39:40]
	v_add_co_u32_e32 v45, vcc, s14, v39
	v_addc_co_u32_e32 v46, vcc, v34, v40, vcc
	global_load_dwordx4 v[39:42], v[45:46], off
	v_cmp_ge_i32_e32 vcc, v30, v32
	s_or_b64 s[8:9], vcc, s[8:9]
	s_waitcnt vmcnt(0)
	v_fma_f64 v[18:19], v[35:36], v[39:40], v[18:19]
	v_fma_f64 v[16:17], v[37:38], v[39:40], v[16:17]
	v_fma_f64 v[47:48], -v[37:38], v[41:42], v[18:19]
	v_fma_f64 v[49:50], v[35:36], v[41:42], v[16:17]
	global_load_dwordx4 v[16:19], v[43:44], off offset:16
	s_waitcnt vmcnt(0)
	v_fma_f64 v[26:27], v[16:17], v[39:40], v[26:27]
	v_fma_f64 v[24:25], v[18:19], v[39:40], v[24:25]
	v_fma_f64 v[26:27], -v[18:19], v[41:42], v[26:27]
	v_fma_f64 v[24:25], v[16:17], v[41:42], v[24:25]
	global_load_dwordx4 v[16:19], v[43:44], off offset:32
	;; [unrolled: 6-line block ×4, first 2 shown]
	global_load_dwordx4 v[35:38], v[45:46], off offset:16
	s_waitcnt vmcnt(0)
	v_fma_f64 v[16:17], v[12:13], v[35:36], v[47:48]
	v_fma_f64 v[39:40], v[14:15], v[35:36], v[49:50]
	v_fma_f64 v[18:19], -v[14:15], v[37:38], v[16:17]
	v_fma_f64 v[16:17], v[12:13], v[37:38], v[39:40]
	global_load_dwordx4 v[12:15], v[43:44], off offset:80
	s_waitcnt vmcnt(0)
	v_fma_f64 v[26:27], v[12:13], v[35:36], v[26:27]
	v_fma_f64 v[24:25], v[14:15], v[35:36], v[24:25]
	v_fma_f64 v[26:27], -v[14:15], v[37:38], v[26:27]
	v_fma_f64 v[24:25], v[12:13], v[37:38], v[24:25]
	global_load_dwordx4 v[12:15], v[43:44], off offset:96
	global_load_dwordx4 v[39:42], v[43:44], off offset:112
	s_waitcnt vmcnt(1)
	v_fma_f64 v[22:23], v[12:13], v[35:36], v[22:23]
	v_fma_f64 v[20:21], v[14:15], v[35:36], v[20:21]
	s_waitcnt vmcnt(0)
	v_fma_f64 v[43:44], v[39:40], v[35:36], v[51:52]
	v_fma_f64 v[35:36], v[41:42], v[35:36], v[53:54]
	v_fma_f64 v[22:23], -v[14:15], v[37:38], v[22:23]
	v_fma_f64 v[20:21], v[12:13], v[37:38], v[20:21]
	v_fma_f64 v[14:15], -v[41:42], v[37:38], v[43:44]
	v_fma_f64 v[12:13], v[39:40], v[37:38], v[35:36]
	s_andn2_b64 exec, exec, s[8:9]
	s_cbranch_execnz .LBB116_7
; %bb.8:
	s_or_b64 exec, exec, s[8:9]
.LBB116_9:
	s_or_b64 exec, exec, s[6:7]
	s_cbranch_execz .LBB116_11
	s_branch .LBB116_16
.LBB116_10:
                                        ; implicit-def: $vgpr16_vgpr17
                                        ; implicit-def: $vgpr18_vgpr19
                                        ; implicit-def: $vgpr14_vgpr15
                                        ; implicit-def: $vgpr12_vgpr13
                                        ; implicit-def: $vgpr22_vgpr23
                                        ; implicit-def: $vgpr20_vgpr21
                                        ; implicit-def: $vgpr26_vgpr27
                                        ; implicit-def: $vgpr24_vgpr25
.LBB116_11:
	v_mov_b32_e32 v16, 0
	v_mov_b32_e32 v18, 0
	;; [unrolled: 1-line block ×16, first 2 shown]
	s_and_saveexec_b64 s[6:7], s[0:1]
	s_cbranch_execz .LBB116_15
; %bb.12:
	v_mov_b32_e32 v16, 0
	v_mov_b32_e32 v18, 0
	;; [unrolled: 1-line block ×8, first 2 shown]
	v_lshlrev_b32_e32 v28, 3, v10
	v_mov_b32_e32 v17, 0
	s_mov_b64 s[0:1], 0
	v_mov_b32_e32 v30, s11
	v_mov_b32_e32 v29, 0
	;; [unrolled: 1-line block ×11, first 2 shown]
.LBB116_13:                             ; =>This Inner Loop Header: Depth=1
	v_lshlrev_b64 v[34:35], 4, v[28:29]
	v_ashrrev_i32_e32 v11, 31, v10
	v_lshlrev_b64 v[36:37], 2, v[10:11]
	v_add_co_u32_e32 v58, vcc, s12, v34
	v_addc_co_u32_e32 v59, vcc, v31, v35, vcc
	v_add_co_u32_e32 v44, vcc, s10, v36
	v_addc_co_u32_e32 v45, vcc, v30, v37, vcc
	global_load_dwordx4 v[34:37], v[58:59], off
	global_load_dwordx4 v[38:41], v[58:59], off offset:16
	global_load_dword v11, v[44:45], off
	v_mov_b32_e32 v43, v29
	v_add_u32_e32 v10, 4, v10
	v_add_u32_e32 v28, 32, v28
	s_waitcnt vmcnt(0)
	v_subrev_u32_e32 v11, s2, v11
	v_lshlrev_b32_e32 v42, 1, v11
	v_lshlrev_b64 v[42:43], 4, v[42:43]
	v_add_co_u32_e32 v50, vcc, s14, v42
	v_addc_co_u32_e32 v51, vcc, v33, v43, vcc
	global_load_dwordx4 v[42:45], v[50:51], off
	global_load_dwordx4 v[46:49], v[50:51], off offset:16
	v_cmp_ge_i32_e32 vcc, v10, v32
	s_or_b64 s[0:1], vcc, s[0:1]
	s_waitcnt vmcnt(1)
	v_fma_f64 v[18:19], v[34:35], v[42:43], v[18:19]
	v_fma_f64 v[16:17], v[36:37], v[42:43], v[16:17]
	v_fma_f64 v[60:61], -v[36:37], v[44:45], v[18:19]
	v_fma_f64 v[62:63], v[34:35], v[44:45], v[16:17]
	global_load_dwordx4 v[16:19], v[58:59], off offset:32
	global_load_dwordx4 v[34:37], v[58:59], off offset:48
	s_waitcnt vmcnt(1)
	v_fma_f64 v[26:27], v[16:17], v[42:43], v[26:27]
	v_fma_f64 v[24:25], v[18:19], v[42:43], v[24:25]
	v_fma_f64 v[26:27], -v[18:19], v[44:45], v[26:27]
	v_fma_f64 v[24:25], v[16:17], v[44:45], v[24:25]
	global_load_dwordx4 v[16:19], v[58:59], off offset:64
	global_load_dwordx4 v[50:53], v[58:59], off offset:80
	s_waitcnt vmcnt(2)
	v_fma_f64 v[26:27], v[34:35], v[46:47], v[26:27]
	v_fma_f64 v[24:25], v[36:37], v[46:47], v[24:25]
	v_fma_f64 v[26:27], -v[36:37], v[48:49], v[26:27]
	v_fma_f64 v[24:25], v[34:35], v[48:49], v[24:25]
	s_waitcnt vmcnt(1)
	v_fma_f64 v[22:23], v[16:17], v[42:43], v[22:23]
	v_fma_f64 v[20:21], v[18:19], v[42:43], v[20:21]
	v_fma_f64 v[22:23], -v[18:19], v[44:45], v[22:23]
	v_fma_f64 v[20:21], v[16:17], v[44:45], v[20:21]
	global_load_dwordx4 v[16:19], v[58:59], off offset:96
	global_load_dwordx4 v[54:57], v[58:59], off offset:112
	s_waitcnt vmcnt(2)
	v_fma_f64 v[22:23], v[50:51], v[46:47], v[22:23]
	v_fma_f64 v[20:21], v[52:53], v[46:47], v[20:21]
	v_fma_f64 v[22:23], -v[52:53], v[48:49], v[22:23]
	v_fma_f64 v[20:21], v[50:51], v[48:49], v[20:21]
	s_waitcnt vmcnt(1)
	v_fma_f64 v[14:15], v[16:17], v[42:43], v[14:15]
	v_fma_f64 v[11:12], v[18:19], v[42:43], v[12:13]
	;; [unrolled: 1-line block ×3, first 2 shown]
	v_fma_f64 v[13:14], -v[18:19], v[44:45], v[14:15]
	v_fma_f64 v[11:12], v[16:17], v[44:45], v[11:12]
	v_fma_f64 v[15:16], v[38:39], v[46:47], v[60:61]
	s_waitcnt vmcnt(0)
	v_fma_f64 v[13:14], v[54:55], v[46:47], v[13:14]
	v_fma_f64 v[11:12], v[56:57], v[46:47], v[11:12]
	v_fma_f64 v[18:19], -v[40:41], v[48:49], v[15:16]
	v_fma_f64 v[16:17], v[38:39], v[48:49], v[42:43]
	v_fma_f64 v[14:15], -v[56:57], v[48:49], v[13:14]
	v_fma_f64 v[12:13], v[54:55], v[48:49], v[11:12]
	s_andn2_b64 exec, exec, s[0:1]
	s_cbranch_execnz .LBB116_13
; %bb.14:
	s_or_b64 exec, exec, s[0:1]
.LBB116_15:
	s_or_b64 exec, exec, s[6:7]
.LBB116_16:
	v_mov_b32_dpp v10, v18 row_shr:1 row_mask:0xf bank_mask:0xf
	v_mov_b32_dpp v11, v19 row_shr:1 row_mask:0xf bank_mask:0xf
	;; [unrolled: 1-line block ×4, first 2 shown]
	v_add_f64 v[10:11], v[18:19], v[10:11]
	v_mov_b32_dpp v18, v16 row_shr:1 row_mask:0xf bank_mask:0xf
	v_mov_b32_dpp v19, v17 row_shr:1 row_mask:0xf bank_mask:0xf
	v_add_f64 v[34:35], v[22:23], v[34:35]
	v_mov_b32_dpp v22, v20 row_shr:1 row_mask:0xf bank_mask:0xf
	v_mov_b32_dpp v23, v21 row_shr:1 row_mask:0xf bank_mask:0xf
	;; [unrolled: 3-line block ×6, first 2 shown]
	v_add_f64 v[28:29], v[24:25], v[16:17]
	v_add_f64 v[36:37], v[12:13], v[22:23]
	v_mov_b32_dpp v16, v10 row_shr:2 row_mask:0xf bank_mask:0xf
	v_mov_b32_dpp v17, v11 row_shr:2 row_mask:0xf bank_mask:0xf
	;; [unrolled: 1-line block ×16, first 2 shown]
	v_cmp_eq_u32_e32 vcc, 3, v0
	s_and_b64 exec, exec, vcc
	s_cbranch_execz .LBB116_21
; %bb.17:
	v_cmp_eq_f64_e32 vcc, 0, v[5:6]
	v_cmp_eq_f64_e64 s[0:1], 0, v[7:8]
	v_add_f64 v[16:17], v[10:11], v[16:17]
	v_add_f64 v[24:25], v[18:19], v[24:25]
	v_add_f64 v[10:11], v[26:27], v[32:33]
	v_add_f64 v[22:23], v[28:29], v[30:31]
	v_add_f64 v[12:13], v[34:35], v[12:13]
	v_add_f64 v[18:19], v[20:21], v[42:43]
	v_add_f64 v[14:15], v[14:15], v[40:41]
	v_add_f64 v[20:21], v[36:37], v[38:39]
	s_load_dwordx2 s[2:3], s[4:5], 0x48
	s_and_b64 s[0:1], vcc, s[0:1]
	s_and_saveexec_b64 s[4:5], s[0:1]
	s_xor_b64 s[0:1], exec, s[4:5]
	s_cbranch_execz .LBB116_19
; %bb.18:
	v_mul_f64 v[5:6], v[24:25], -v[3:4]
	v_mul_f64 v[7:8], v[1:2], v[24:25]
	v_mul_f64 v[26:27], v[22:23], -v[3:4]
	v_mul_f64 v[22:23], v[1:2], v[22:23]
	;; [unrolled: 2-line block ×4, first 2 shown]
	v_fma_f64 v[5:6], v[1:2], v[16:17], v[5:6]
	v_fma_f64 v[7:8], v[3:4], v[16:17], v[7:8]
	v_fma_f64 v[16:17], v[1:2], v[10:11], v[26:27]
	v_fma_f64 v[18:19], v[3:4], v[10:11], v[22:23]
	v_lshlrev_b32_e32 v24, 2, v9
	v_fma_f64 v[9:10], v[1:2], v[12:13], v[28:29]
	v_fma_f64 v[11:12], v[3:4], v[12:13], v[30:31]
	v_ashrrev_i32_e32 v25, 31, v24
	v_fma_f64 v[0:1], v[1:2], v[14:15], v[32:33]
	v_fma_f64 v[2:3], v[3:4], v[14:15], v[20:21]
	v_lshlrev_b64 v[24:25], 4, v[24:25]
	s_waitcnt lgkmcnt(0)
	v_mov_b32_e32 v34, s3
	v_add_co_u32_e32 v13, vcc, s2, v24
	v_addc_co_u32_e32 v14, vcc, v34, v25, vcc
	global_store_dwordx4 v[13:14], v[5:8], off
	global_store_dwordx4 v[13:14], v[16:19], off offset:16
	global_store_dwordx4 v[13:14], v[9:12], off offset:32
	;; [unrolled: 1-line block ×3, first 2 shown]
                                        ; implicit-def: $vgpr9
                                        ; implicit-def: $vgpr16_vgpr17
                                        ; implicit-def: $vgpr24_vgpr25
                                        ; implicit-def: $vgpr10_vgpr11
                                        ; implicit-def: $vgpr22_vgpr23
                                        ; implicit-def: $vgpr12_vgpr13
                                        ; implicit-def: $vgpr18_vgpr19
                                        ; implicit-def: $vgpr14_vgpr15
                                        ; implicit-def: $vgpr20_vgpr21
                                        ; implicit-def: $vgpr7_vgpr8
                                        ; implicit-def: $vgpr3_vgpr4
.LBB116_19:
	s_andn2_saveexec_b64 s[0:1], s[0:1]
	s_cbranch_execz .LBB116_21
; %bb.20:
	v_lshlrev_b32_e32 v26, 2, v9
	v_ashrrev_i32_e32 v27, 31, v26
	v_lshlrev_b64 v[26:27], 4, v[26:27]
	s_waitcnt lgkmcnt(0)
	v_mov_b32_e32 v0, s3
	v_add_co_u32_e32 v42, vcc, s2, v26
	v_addc_co_u32_e32 v43, vcc, v0, v27, vcc
	global_load_dwordx4 v[26:29], v[42:43], off
	global_load_dwordx4 v[30:33], v[42:43], off offset:16
	global_load_dwordx4 v[34:37], v[42:43], off offset:32
	;; [unrolled: 1-line block ×3, first 2 shown]
	v_mul_f64 v[44:45], v[24:25], -v[3:4]
	v_mul_f64 v[24:25], v[1:2], v[24:25]
	v_mul_f64 v[46:47], v[22:23], -v[3:4]
	v_mul_f64 v[22:23], v[1:2], v[22:23]
	;; [unrolled: 2-line block ×4, first 2 shown]
	v_fma_f64 v[44:45], v[1:2], v[16:17], v[44:45]
	v_fma_f64 v[16:17], v[3:4], v[16:17], v[24:25]
	;; [unrolled: 1-line block ×8, first 2 shown]
	s_waitcnt vmcnt(3)
	v_fma_f64 v[13:14], v[5:6], v[26:27], v[44:45]
	v_fma_f64 v[15:16], v[7:8], v[26:27], v[16:17]
	s_waitcnt vmcnt(2)
	v_fma_f64 v[17:18], v[5:6], v[30:31], v[24:25]
	v_fma_f64 v[19:20], v[7:8], v[30:31], v[9:10]
	;; [unrolled: 3-line block ×4, first 2 shown]
	v_fma_f64 v[0:1], -v[7:8], v[28:29], v[13:14]
	v_fma_f64 v[2:3], v[5:6], v[28:29], v[15:16]
	v_fma_f64 v[9:10], -v[7:8], v[32:33], v[17:18]
	v_fma_f64 v[11:12], v[5:6], v[32:33], v[19:20]
	;; [unrolled: 2-line block ×4, first 2 shown]
	global_store_dwordx4 v[42:43], v[0:3], off
	global_store_dwordx4 v[42:43], v[9:12], off offset:16
	global_store_dwordx4 v[42:43], v[13:16], off offset:32
	;; [unrolled: 1-line block ×3, first 2 shown]
.LBB116_21:
	s_endpgm
	.section	.rodata,"a",@progbits
	.p2align	6, 0x0
	.amdhsa_kernel _ZN9rocsparseL19gebsrmvn_4xn_kernelILj128ELj2ELj4E21rocsparse_complex_numIdEEEvi20rocsparse_direction_NS_24const_host_device_scalarIT2_EEPKiS8_PKS5_SA_S6_PS5_21rocsparse_index_base_b
		.amdhsa_group_segment_fixed_size 0
		.amdhsa_private_segment_fixed_size 0
		.amdhsa_kernarg_size 88
		.amdhsa_user_sgpr_count 6
		.amdhsa_user_sgpr_private_segment_buffer 1
		.amdhsa_user_sgpr_dispatch_ptr 0
		.amdhsa_user_sgpr_queue_ptr 0
		.amdhsa_user_sgpr_kernarg_segment_ptr 1
		.amdhsa_user_sgpr_dispatch_id 0
		.amdhsa_user_sgpr_flat_scratch_init 0
		.amdhsa_user_sgpr_private_segment_size 0
		.amdhsa_uses_dynamic_stack 0
		.amdhsa_system_sgpr_private_segment_wavefront_offset 0
		.amdhsa_system_sgpr_workgroup_id_x 1
		.amdhsa_system_sgpr_workgroup_id_y 0
		.amdhsa_system_sgpr_workgroup_id_z 0
		.amdhsa_system_sgpr_workgroup_info 0
		.amdhsa_system_vgpr_workitem_id 0
		.amdhsa_next_free_vgpr 64
		.amdhsa_next_free_sgpr 16
		.amdhsa_reserve_vcc 1
		.amdhsa_reserve_flat_scratch 0
		.amdhsa_float_round_mode_32 0
		.amdhsa_float_round_mode_16_64 0
		.amdhsa_float_denorm_mode_32 3
		.amdhsa_float_denorm_mode_16_64 3
		.amdhsa_dx10_clamp 1
		.amdhsa_ieee_mode 1
		.amdhsa_fp16_overflow 0
		.amdhsa_exception_fp_ieee_invalid_op 0
		.amdhsa_exception_fp_denorm_src 0
		.amdhsa_exception_fp_ieee_div_zero 0
		.amdhsa_exception_fp_ieee_overflow 0
		.amdhsa_exception_fp_ieee_underflow 0
		.amdhsa_exception_fp_ieee_inexact 0
		.amdhsa_exception_int_div_zero 0
	.end_amdhsa_kernel
	.section	.text._ZN9rocsparseL19gebsrmvn_4xn_kernelILj128ELj2ELj4E21rocsparse_complex_numIdEEEvi20rocsparse_direction_NS_24const_host_device_scalarIT2_EEPKiS8_PKS5_SA_S6_PS5_21rocsparse_index_base_b,"axG",@progbits,_ZN9rocsparseL19gebsrmvn_4xn_kernelILj128ELj2ELj4E21rocsparse_complex_numIdEEEvi20rocsparse_direction_NS_24const_host_device_scalarIT2_EEPKiS8_PKS5_SA_S6_PS5_21rocsparse_index_base_b,comdat
.Lfunc_end116:
	.size	_ZN9rocsparseL19gebsrmvn_4xn_kernelILj128ELj2ELj4E21rocsparse_complex_numIdEEEvi20rocsparse_direction_NS_24const_host_device_scalarIT2_EEPKiS8_PKS5_SA_S6_PS5_21rocsparse_index_base_b, .Lfunc_end116-_ZN9rocsparseL19gebsrmvn_4xn_kernelILj128ELj2ELj4E21rocsparse_complex_numIdEEEvi20rocsparse_direction_NS_24const_host_device_scalarIT2_EEPKiS8_PKS5_SA_S6_PS5_21rocsparse_index_base_b
                                        ; -- End function
	.set _ZN9rocsparseL19gebsrmvn_4xn_kernelILj128ELj2ELj4E21rocsparse_complex_numIdEEEvi20rocsparse_direction_NS_24const_host_device_scalarIT2_EEPKiS8_PKS5_SA_S6_PS5_21rocsparse_index_base_b.num_vgpr, 64
	.set _ZN9rocsparseL19gebsrmvn_4xn_kernelILj128ELj2ELj4E21rocsparse_complex_numIdEEEvi20rocsparse_direction_NS_24const_host_device_scalarIT2_EEPKiS8_PKS5_SA_S6_PS5_21rocsparse_index_base_b.num_agpr, 0
	.set _ZN9rocsparseL19gebsrmvn_4xn_kernelILj128ELj2ELj4E21rocsparse_complex_numIdEEEvi20rocsparse_direction_NS_24const_host_device_scalarIT2_EEPKiS8_PKS5_SA_S6_PS5_21rocsparse_index_base_b.numbered_sgpr, 16
	.set _ZN9rocsparseL19gebsrmvn_4xn_kernelILj128ELj2ELj4E21rocsparse_complex_numIdEEEvi20rocsparse_direction_NS_24const_host_device_scalarIT2_EEPKiS8_PKS5_SA_S6_PS5_21rocsparse_index_base_b.num_named_barrier, 0
	.set _ZN9rocsparseL19gebsrmvn_4xn_kernelILj128ELj2ELj4E21rocsparse_complex_numIdEEEvi20rocsparse_direction_NS_24const_host_device_scalarIT2_EEPKiS8_PKS5_SA_S6_PS5_21rocsparse_index_base_b.private_seg_size, 0
	.set _ZN9rocsparseL19gebsrmvn_4xn_kernelILj128ELj2ELj4E21rocsparse_complex_numIdEEEvi20rocsparse_direction_NS_24const_host_device_scalarIT2_EEPKiS8_PKS5_SA_S6_PS5_21rocsparse_index_base_b.uses_vcc, 1
	.set _ZN9rocsparseL19gebsrmvn_4xn_kernelILj128ELj2ELj4E21rocsparse_complex_numIdEEEvi20rocsparse_direction_NS_24const_host_device_scalarIT2_EEPKiS8_PKS5_SA_S6_PS5_21rocsparse_index_base_b.uses_flat_scratch, 0
	.set _ZN9rocsparseL19gebsrmvn_4xn_kernelILj128ELj2ELj4E21rocsparse_complex_numIdEEEvi20rocsparse_direction_NS_24const_host_device_scalarIT2_EEPKiS8_PKS5_SA_S6_PS5_21rocsparse_index_base_b.has_dyn_sized_stack, 0
	.set _ZN9rocsparseL19gebsrmvn_4xn_kernelILj128ELj2ELj4E21rocsparse_complex_numIdEEEvi20rocsparse_direction_NS_24const_host_device_scalarIT2_EEPKiS8_PKS5_SA_S6_PS5_21rocsparse_index_base_b.has_recursion, 0
	.set _ZN9rocsparseL19gebsrmvn_4xn_kernelILj128ELj2ELj4E21rocsparse_complex_numIdEEEvi20rocsparse_direction_NS_24const_host_device_scalarIT2_EEPKiS8_PKS5_SA_S6_PS5_21rocsparse_index_base_b.has_indirect_call, 0
	.section	.AMDGPU.csdata,"",@progbits
; Kernel info:
; codeLenInByte = 2560
; TotalNumSgprs: 20
; NumVgprs: 64
; ScratchSize: 0
; MemoryBound: 0
; FloatMode: 240
; IeeeMode: 1
; LDSByteSize: 0 bytes/workgroup (compile time only)
; SGPRBlocks: 2
; VGPRBlocks: 15
; NumSGPRsForWavesPerEU: 20
; NumVGPRsForWavesPerEU: 64
; Occupancy: 4
; WaveLimiterHint : 1
; COMPUTE_PGM_RSRC2:SCRATCH_EN: 0
; COMPUTE_PGM_RSRC2:USER_SGPR: 6
; COMPUTE_PGM_RSRC2:TRAP_HANDLER: 0
; COMPUTE_PGM_RSRC2:TGID_X_EN: 1
; COMPUTE_PGM_RSRC2:TGID_Y_EN: 0
; COMPUTE_PGM_RSRC2:TGID_Z_EN: 0
; COMPUTE_PGM_RSRC2:TIDIG_COMP_CNT: 0
	.section	.text._ZN9rocsparseL19gebsrmvn_4xn_kernelILj128ELj2ELj8E21rocsparse_complex_numIdEEEvi20rocsparse_direction_NS_24const_host_device_scalarIT2_EEPKiS8_PKS5_SA_S6_PS5_21rocsparse_index_base_b,"axG",@progbits,_ZN9rocsparseL19gebsrmvn_4xn_kernelILj128ELj2ELj8E21rocsparse_complex_numIdEEEvi20rocsparse_direction_NS_24const_host_device_scalarIT2_EEPKiS8_PKS5_SA_S6_PS5_21rocsparse_index_base_b,comdat
	.globl	_ZN9rocsparseL19gebsrmvn_4xn_kernelILj128ELj2ELj8E21rocsparse_complex_numIdEEEvi20rocsparse_direction_NS_24const_host_device_scalarIT2_EEPKiS8_PKS5_SA_S6_PS5_21rocsparse_index_base_b ; -- Begin function _ZN9rocsparseL19gebsrmvn_4xn_kernelILj128ELj2ELj8E21rocsparse_complex_numIdEEEvi20rocsparse_direction_NS_24const_host_device_scalarIT2_EEPKiS8_PKS5_SA_S6_PS5_21rocsparse_index_base_b
	.p2align	8
	.type	_ZN9rocsparseL19gebsrmvn_4xn_kernelILj128ELj2ELj8E21rocsparse_complex_numIdEEEvi20rocsparse_direction_NS_24const_host_device_scalarIT2_EEPKiS8_PKS5_SA_S6_PS5_21rocsparse_index_base_b,@function
_ZN9rocsparseL19gebsrmvn_4xn_kernelILj128ELj2ELj8E21rocsparse_complex_numIdEEEvi20rocsparse_direction_NS_24const_host_device_scalarIT2_EEPKiS8_PKS5_SA_S6_PS5_21rocsparse_index_base_b: ; @_ZN9rocsparseL19gebsrmvn_4xn_kernelILj128ELj2ELj8E21rocsparse_complex_numIdEEEvi20rocsparse_direction_NS_24const_host_device_scalarIT2_EEPKiS8_PKS5_SA_S6_PS5_21rocsparse_index_base_b
; %bb.0:
	s_load_dwordx2 s[0:1], s[4:5], 0x8
	s_load_dwordx2 s[8:9], s[4:5], 0x38
	;; [unrolled: 1-line block ×3, first 2 shown]
	s_add_u32 s7, s4, 8
	s_addc_u32 s10, s5, 0
	s_add_u32 s11, s4, 56
	s_addc_u32 s12, s5, 0
	s_waitcnt lgkmcnt(0)
	s_bitcmp1_b32 s3, 0
	s_cselect_b32 s1, s10, s1
	s_cselect_b32 s0, s7, s0
	v_mov_b32_e32 v1, s0
	v_mov_b32_e32 v2, s1
	flat_load_dwordx4 v[1:4], v[1:2]
	s_cselect_b32 s0, s12, s9
	s_cselect_b32 s1, s11, s8
	v_mov_b32_e32 v5, s1
	v_mov_b32_e32 v6, s0
	flat_load_dwordx4 v[5:8], v[5:6]
	s_waitcnt vmcnt(0) lgkmcnt(0)
	v_cmp_eq_f64_e32 vcc, 0, v[1:2]
	v_cmp_eq_f64_e64 s[0:1], 0, v[3:4]
	s_and_b64 s[10:11], vcc, s[0:1]
	s_mov_b64 s[0:1], -1
	s_and_saveexec_b64 s[8:9], s[10:11]
	s_cbranch_execz .LBB117_2
; %bb.1:
	v_cmp_neq_f64_e32 vcc, 1.0, v[5:6]
	v_cmp_neq_f64_e64 s[0:1], 0, v[7:8]
	s_or_b64 s[0:1], vcc, s[0:1]
	s_orn2_b64 s[0:1], s[0:1], exec
.LBB117_2:
	s_or_b64 exec, exec, s[8:9]
	s_and_saveexec_b64 s[8:9], s[0:1]
	s_cbranch_execz .LBB117_21
; %bb.3:
	s_load_dwordx2 s[0:1], s[4:5], 0x0
	v_lshrrev_b32_e32 v9, 3, v0
	v_lshl_or_b32 v9, s6, 4, v9
	s_waitcnt lgkmcnt(0)
	v_cmp_gt_i32_e32 vcc, s0, v9
	s_and_b64 exec, exec, vcc
	s_cbranch_execz .LBB117_21
; %bb.4:
	s_load_dwordx8 s[8:15], s[4:5], 0x18
	v_ashrrev_i32_e32 v10, 31, v9
	v_lshlrev_b64 v[10:11], 2, v[9:10]
	v_and_b32_e32 v0, 7, v0
	s_cmp_lg_u32 s1, 0
	s_waitcnt lgkmcnt(0)
	v_mov_b32_e32 v12, s9
	v_add_co_u32_e32 v10, vcc, s8, v10
	v_addc_co_u32_e32 v11, vcc, v12, v11, vcc
	global_load_dwordx2 v[10:11], v[10:11], off
	s_waitcnt vmcnt(0)
	v_subrev_u32_e32 v10, s2, v10
	v_subrev_u32_e32 v32, s2, v11
	v_add_u32_e32 v10, v10, v0
	v_cmp_lt_i32_e64 s[0:1], v10, v32
	s_cbranch_scc0 .LBB117_10
; %bb.5:
	v_mov_b32_e32 v16, 0
	v_mov_b32_e32 v22, 0
	;; [unrolled: 1-line block ×16, first 2 shown]
	s_and_saveexec_b64 s[6:7], s[0:1]
	s_cbranch_execz .LBB117_9
; %bb.6:
	v_mov_b32_e32 v16, 0
	v_mov_b32_e32 v22, 0
	;; [unrolled: 1-line block ×8, first 2 shown]
	v_lshlrev_b32_e32 v28, 3, v10
	v_mov_b32_e32 v17, 0
	s_mov_b64 s[8:9], 0
	v_mov_b32_e32 v11, s11
	v_mov_b32_e32 v29, 0
	;; [unrolled: 1-line block ×12, first 2 shown]
.LBB117_7:                              ; =>This Inner Loop Header: Depth=1
	v_lshlrev_b64 v[35:36], 4, v[28:29]
	v_ashrrev_i32_e32 v31, 31, v30
	v_lshlrev_b64 v[37:38], 2, v[30:31]
	v_add_co_u32_e32 v43, vcc, s12, v35
	v_addc_co_u32_e32 v44, vcc, v33, v36, vcc
	v_add_co_u32_e32 v41, vcc, s10, v37
	v_addc_co_u32_e32 v42, vcc, v11, v38, vcc
	global_load_dwordx4 v[35:38], v[43:44], off
	global_load_dword v31, v[41:42], off
	v_mov_b32_e32 v40, v29
	v_add_u32_e32 v30, 8, v30
	v_add_u32_e32 v28, 64, v28
	s_waitcnt vmcnt(0)
	v_subrev_u32_e32 v31, s2, v31
	v_lshlrev_b32_e32 v39, 1, v31
	v_lshlrev_b64 v[39:40], 4, v[39:40]
	v_add_co_u32_e32 v45, vcc, s14, v39
	v_addc_co_u32_e32 v46, vcc, v34, v40, vcc
	global_load_dwordx4 v[39:42], v[45:46], off
	v_cmp_ge_i32_e32 vcc, v30, v32
	s_or_b64 s[8:9], vcc, s[8:9]
	s_waitcnt vmcnt(0)
	v_fma_f64 v[22:23], v[35:36], v[39:40], v[22:23]
	v_fma_f64 v[16:17], v[37:38], v[39:40], v[16:17]
	v_fma_f64 v[47:48], -v[37:38], v[41:42], v[22:23]
	v_fma_f64 v[49:50], v[35:36], v[41:42], v[16:17]
	global_load_dwordx4 v[35:38], v[43:44], off offset:16
	s_waitcnt vmcnt(0)
	v_fma_f64 v[22:23], v[37:38], v[39:40], v[24:25]
	v_fma_f64 v[16:17], v[35:36], v[39:40], v[26:27]
	;; [unrolled: 1-line block ×3, first 2 shown]
	global_load_dwordx4 v[22:25], v[43:44], off offset:32
	v_fma_f64 v[26:27], -v[37:38], v[41:42], v[16:17]
	s_waitcnt vmcnt(0)
	v_fma_f64 v[16:17], v[22:23], v[39:40], v[20:21]
	v_fma_f64 v[18:19], v[24:25], v[39:40], v[18:19]
	v_fma_f64 v[20:21], -v[24:25], v[41:42], v[16:17]
	v_fma_f64 v[53:54], v[22:23], v[41:42], v[18:19]
	global_load_dwordx4 v[16:19], v[43:44], off offset:48
	s_waitcnt vmcnt(0)
	v_fma_f64 v[14:15], v[16:17], v[39:40], v[14:15]
	v_fma_f64 v[12:13], v[18:19], v[39:40], v[12:13]
	v_fma_f64 v[18:19], -v[18:19], v[41:42], v[14:15]
	v_fma_f64 v[55:56], v[16:17], v[41:42], v[12:13]
	global_load_dwordx4 v[12:15], v[43:44], off offset:64
	global_load_dwordx4 v[35:38], v[45:46], off offset:16
	s_waitcnt vmcnt(0)
	v_fma_f64 v[16:17], v[12:13], v[35:36], v[47:48]
	v_fma_f64 v[24:25], v[14:15], v[35:36], v[49:50]
	v_fma_f64 v[22:23], -v[14:15], v[37:38], v[16:17]
	v_fma_f64 v[16:17], v[12:13], v[37:38], v[24:25]
	global_load_dwordx4 v[12:15], v[43:44], off offset:80
	s_waitcnt vmcnt(0)
	v_fma_f64 v[24:25], v[12:13], v[35:36], v[26:27]
	v_fma_f64 v[39:40], v[14:15], v[35:36], v[51:52]
	v_fma_f64 v[26:27], -v[14:15], v[37:38], v[24:25]
	v_fma_f64 v[24:25], v[12:13], v[37:38], v[39:40]
	global_load_dwordx4 v[12:15], v[43:44], off offset:96
	global_load_dwordx4 v[39:42], v[43:44], off offset:112
	s_waitcnt vmcnt(1)
	v_fma_f64 v[20:21], v[12:13], v[35:36], v[20:21]
	v_fma_f64 v[43:44], v[14:15], v[35:36], v[53:54]
	s_waitcnt vmcnt(0)
	v_fma_f64 v[45:46], v[39:40], v[35:36], v[18:19]
	v_fma_f64 v[35:36], v[41:42], v[35:36], v[55:56]
	v_fma_f64 v[20:21], -v[14:15], v[37:38], v[20:21]
	v_fma_f64 v[18:19], v[12:13], v[37:38], v[43:44]
	v_fma_f64 v[14:15], -v[41:42], v[37:38], v[45:46]
	v_fma_f64 v[12:13], v[39:40], v[37:38], v[35:36]
	s_andn2_b64 exec, exec, s[8:9]
	s_cbranch_execnz .LBB117_7
; %bb.8:
	s_or_b64 exec, exec, s[8:9]
.LBB117_9:
	s_or_b64 exec, exec, s[6:7]
	s_cbranch_execz .LBB117_11
	s_branch .LBB117_16
.LBB117_10:
                                        ; implicit-def: $vgpr16_vgpr17
                                        ; implicit-def: $vgpr22_vgpr23
                                        ; implicit-def: $vgpr14_vgpr15
                                        ; implicit-def: $vgpr12_vgpr13
                                        ; implicit-def: $vgpr20_vgpr21
                                        ; implicit-def: $vgpr18_vgpr19
                                        ; implicit-def: $vgpr26_vgpr27
                                        ; implicit-def: $vgpr24_vgpr25
.LBB117_11:
	v_mov_b32_e32 v16, 0
	v_mov_b32_e32 v22, 0
	;; [unrolled: 1-line block ×16, first 2 shown]
	s_and_saveexec_b64 s[6:7], s[0:1]
	s_cbranch_execz .LBB117_15
; %bb.12:
	v_mov_b32_e32 v16, 0
	v_mov_b32_e32 v22, 0
	;; [unrolled: 1-line block ×8, first 2 shown]
	v_lshlrev_b32_e32 v28, 3, v10
	v_mov_b32_e32 v17, 0
	s_mov_b64 s[0:1], 0
	v_mov_b32_e32 v30, s11
	v_mov_b32_e32 v29, 0
	;; [unrolled: 1-line block ×11, first 2 shown]
.LBB117_13:                             ; =>This Inner Loop Header: Depth=1
	v_lshlrev_b64 v[34:35], 4, v[28:29]
	v_ashrrev_i32_e32 v11, 31, v10
	v_lshlrev_b64 v[36:37], 2, v[10:11]
	v_add_co_u32_e32 v58, vcc, s12, v34
	v_addc_co_u32_e32 v59, vcc, v31, v35, vcc
	v_add_co_u32_e32 v44, vcc, s10, v36
	v_addc_co_u32_e32 v45, vcc, v30, v37, vcc
	global_load_dwordx4 v[34:37], v[58:59], off
	global_load_dwordx4 v[38:41], v[58:59], off offset:16
	global_load_dword v11, v[44:45], off
	v_mov_b32_e32 v43, v29
	v_add_u32_e32 v10, 8, v10
	v_add_u32_e32 v28, 64, v28
	s_waitcnt vmcnt(0)
	v_subrev_u32_e32 v11, s2, v11
	v_lshlrev_b32_e32 v42, 1, v11
	v_lshlrev_b64 v[42:43], 4, v[42:43]
	v_add_co_u32_e32 v50, vcc, s14, v42
	v_addc_co_u32_e32 v51, vcc, v33, v43, vcc
	global_load_dwordx4 v[42:45], v[50:51], off
	global_load_dwordx4 v[46:49], v[50:51], off offset:16
	v_cmp_ge_i32_e32 vcc, v10, v32
	s_or_b64 s[0:1], vcc, s[0:1]
	s_waitcnt vmcnt(1)
	v_fma_f64 v[22:23], v[34:35], v[42:43], v[22:23]
	v_fma_f64 v[16:17], v[36:37], v[42:43], v[16:17]
	v_fma_f64 v[60:61], -v[36:37], v[44:45], v[22:23]
	v_fma_f64 v[62:63], v[34:35], v[44:45], v[16:17]
	global_load_dwordx4 v[34:37], v[58:59], off offset:32
	global_load_dwordx4 v[50:53], v[58:59], off offset:48
	s_waitcnt vmcnt(1)
	v_fma_f64 v[16:17], v[34:35], v[42:43], v[26:27]
	v_fma_f64 v[22:23], v[36:37], v[42:43], v[24:25]
	v_fma_f64 v[26:27], -v[36:37], v[44:45], v[16:17]
	v_fma_f64 v[64:65], v[34:35], v[44:45], v[22:23]
	global_load_dwordx4 v[22:25], v[58:59], off offset:64
	global_load_dwordx4 v[34:37], v[58:59], off offset:80
	;; [unrolled: 7-line block ×3, first 2 shown]
	v_fma_f64 v[24:25], v[50:51], v[46:47], v[26:27]
	v_fma_f64 v[26:27], -v[52:53], v[48:49], v[24:25]
	s_waitcnt vmcnt(1)
	v_fma_f64 v[14:15], v[16:17], v[42:43], v[14:15]
	v_fma_f64 v[11:12], v[18:19], v[42:43], v[12:13]
	;; [unrolled: 1-line block ×3, first 2 shown]
	v_fma_f64 v[13:14], -v[18:19], v[44:45], v[14:15]
	v_fma_f64 v[11:12], v[16:17], v[44:45], v[11:12]
	v_fma_f64 v[15:16], v[38:39], v[46:47], v[60:61]
	;; [unrolled: 1-line block ×6, first 2 shown]
	s_waitcnt vmcnt(0)
	v_fma_f64 v[13:14], v[54:55], v[46:47], v[13:14]
	v_fma_f64 v[11:12], v[56:57], v[46:47], v[11:12]
	v_fma_f64 v[22:23], -v[40:41], v[48:49], v[15:16]
	v_fma_f64 v[16:17], v[38:39], v[48:49], v[17:18]
	v_fma_f64 v[20:21], -v[36:37], v[48:49], v[19:20]
	;; [unrolled: 2-line block ×3, first 2 shown]
	v_fma_f64 v[12:13], v[54:55], v[48:49], v[11:12]
	s_andn2_b64 exec, exec, s[0:1]
	s_cbranch_execnz .LBB117_13
; %bb.14:
	s_or_b64 exec, exec, s[0:1]
.LBB117_15:
	s_or_b64 exec, exec, s[6:7]
.LBB117_16:
	v_mov_b32_dpp v10, v22 row_shr:1 row_mask:0xf bank_mask:0xf
	v_mov_b32_dpp v11, v23 row_shr:1 row_mask:0xf bank_mask:0xf
	v_add_f64 v[10:11], v[22:23], v[10:11]
	v_mov_b32_dpp v22, v16 row_shr:1 row_mask:0xf bank_mask:0xf
	v_mov_b32_dpp v23, v17 row_shr:1 row_mask:0xf bank_mask:0xf
	;; [unrolled: 1-line block ×4, first 2 shown]
	v_add_f64 v[16:17], v[16:17], v[22:23]
	v_add_f64 v[26:27], v[26:27], v[28:29]
	v_mov_b32_dpp v28, v24 row_shr:1 row_mask:0xf bank_mask:0xf
	v_mov_b32_dpp v29, v25 row_shr:1 row_mask:0xf bank_mask:0xf
	v_add_f64 v[24:25], v[24:25], v[28:29]
	v_mov_b32_dpp v22, v10 row_shr:2 row_mask:0xf bank_mask:0xf
	v_mov_b32_dpp v23, v11 row_shr:2 row_mask:0xf bank_mask:0xf
	;; [unrolled: 3-line block ×5, first 2 shown]
	v_mov_b32_dpp v36, v18 row_shr:1 row_mask:0xf bank_mask:0xf
	v_mov_b32_dpp v37, v19 row_shr:1 row_mask:0xf bank_mask:0xf
	v_add_f64 v[28:29], v[24:25], v[16:17]
	v_mov_b32_dpp v16, v20 row_shr:1 row_mask:0xf bank_mask:0xf
	v_mov_b32_dpp v17, v21 row_shr:1 row_mask:0xf bank_mask:0xf
	v_add_f64 v[18:19], v[18:19], v[36:37]
	v_mov_b32_dpp v36, v14 row_shr:1 row_mask:0xf bank_mask:0xf
	v_mov_b32_dpp v37, v15 row_shr:1 row_mask:0xf bank_mask:0xf
	v_add_f64 v[32:33], v[20:21], v[16:17]
	v_add_f64 v[36:37], v[14:15], v[36:37]
	v_mov_b32_dpp v14, v12 row_shr:1 row_mask:0xf bank_mask:0xf
	v_mov_b32_dpp v15, v13 row_shr:1 row_mask:0xf bank_mask:0xf
	v_add_f64 v[38:39], v[12:13], v[14:15]
	v_mov_b32_dpp v14, v18 row_shr:2 row_mask:0xf bank_mask:0xf
	v_mov_b32_dpp v15, v19 row_shr:2 row_mask:0xf bank_mask:0xf
	;; [unrolled: 3-line block ×3, first 2 shown]
	v_mov_b32_dpp v18, v36 row_shr:2 row_mask:0xf bank_mask:0xf
	v_mov_b32_dpp v19, v37 row_shr:2 row_mask:0xf bank_mask:0xf
	v_add_f64 v[12:13], v[32:33], v[34:35]
	v_add_f64 v[34:35], v[36:37], v[18:19]
	v_mov_b32_dpp v18, v38 row_shr:2 row_mask:0xf bank_mask:0xf
	v_mov_b32_dpp v19, v39 row_shr:2 row_mask:0xf bank_mask:0xf
	v_add_f64 v[32:33], v[38:39], v[18:19]
	v_mov_b32_dpp v16, v10 row_shr:4 row_mask:0xf bank_mask:0xe
	v_mov_b32_dpp v17, v11 row_shr:4 row_mask:0xf bank_mask:0xe
	;; [unrolled: 1-line block ×16, first 2 shown]
	v_cmp_eq_u32_e32 vcc, 7, v0
	s_and_b64 exec, exec, vcc
	s_cbranch_execz .LBB117_21
; %bb.17:
	v_cmp_eq_f64_e32 vcc, 0, v[5:6]
	v_cmp_eq_f64_e64 s[0:1], 0, v[7:8]
	v_add_f64 v[16:17], v[10:11], v[16:17]
	v_add_f64 v[24:25], v[22:23], v[24:25]
	;; [unrolled: 1-line block ×8, first 2 shown]
	s_load_dwordx2 s[2:3], s[4:5], 0x48
	s_and_b64 s[0:1], vcc, s[0:1]
	s_and_saveexec_b64 s[4:5], s[0:1]
	s_xor_b64 s[0:1], exec, s[4:5]
	s_cbranch_execz .LBB117_19
; %bb.18:
	v_mul_f64 v[5:6], v[24:25], -v[3:4]
	v_mul_f64 v[7:8], v[1:2], v[24:25]
	v_mul_f64 v[26:27], v[22:23], -v[3:4]
	v_mul_f64 v[22:23], v[1:2], v[22:23]
	v_mul_f64 v[28:29], v[18:19], -v[3:4]
	v_mul_f64 v[30:31], v[1:2], v[18:19]
	v_mul_f64 v[32:33], v[20:21], -v[3:4]
	v_mul_f64 v[20:21], v[1:2], v[20:21]
	v_fma_f64 v[5:6], v[1:2], v[16:17], v[5:6]
	v_fma_f64 v[7:8], v[3:4], v[16:17], v[7:8]
	;; [unrolled: 1-line block ×4, first 2 shown]
	v_lshlrev_b32_e32 v24, 2, v9
	v_fma_f64 v[9:10], v[1:2], v[12:13], v[28:29]
	v_fma_f64 v[11:12], v[3:4], v[12:13], v[30:31]
	v_ashrrev_i32_e32 v25, 31, v24
	v_fma_f64 v[0:1], v[1:2], v[14:15], v[32:33]
	v_fma_f64 v[2:3], v[3:4], v[14:15], v[20:21]
	v_lshlrev_b64 v[24:25], 4, v[24:25]
	s_waitcnt lgkmcnt(0)
	v_mov_b32_e32 v34, s3
	v_add_co_u32_e32 v13, vcc, s2, v24
	v_addc_co_u32_e32 v14, vcc, v34, v25, vcc
	global_store_dwordx4 v[13:14], v[5:8], off
	global_store_dwordx4 v[13:14], v[16:19], off offset:16
	global_store_dwordx4 v[13:14], v[9:12], off offset:32
	global_store_dwordx4 v[13:14], v[0:3], off offset:48
                                        ; implicit-def: $vgpr9
                                        ; implicit-def: $vgpr16_vgpr17
                                        ; implicit-def: $vgpr24_vgpr25
                                        ; implicit-def: $vgpr10_vgpr11
                                        ; implicit-def: $vgpr22_vgpr23
                                        ; implicit-def: $vgpr12_vgpr13
                                        ; implicit-def: $vgpr18_vgpr19
                                        ; implicit-def: $vgpr14_vgpr15
                                        ; implicit-def: $vgpr20_vgpr21
                                        ; implicit-def: $vgpr7_vgpr8
                                        ; implicit-def: $vgpr3_vgpr4
.LBB117_19:
	s_andn2_saveexec_b64 s[0:1], s[0:1]
	s_cbranch_execz .LBB117_21
; %bb.20:
	v_lshlrev_b32_e32 v26, 2, v9
	v_ashrrev_i32_e32 v27, 31, v26
	v_lshlrev_b64 v[26:27], 4, v[26:27]
	s_waitcnt lgkmcnt(0)
	v_mov_b32_e32 v0, s3
	v_add_co_u32_e32 v42, vcc, s2, v26
	v_addc_co_u32_e32 v43, vcc, v0, v27, vcc
	global_load_dwordx4 v[26:29], v[42:43], off
	global_load_dwordx4 v[30:33], v[42:43], off offset:16
	global_load_dwordx4 v[34:37], v[42:43], off offset:32
	;; [unrolled: 1-line block ×3, first 2 shown]
	v_mul_f64 v[44:45], v[24:25], -v[3:4]
	v_mul_f64 v[24:25], v[1:2], v[24:25]
	v_mul_f64 v[46:47], v[22:23], -v[3:4]
	v_mul_f64 v[22:23], v[1:2], v[22:23]
	;; [unrolled: 2-line block ×4, first 2 shown]
	v_fma_f64 v[44:45], v[1:2], v[16:17], v[44:45]
	v_fma_f64 v[16:17], v[3:4], v[16:17], v[24:25]
	v_fma_f64 v[24:25], v[1:2], v[10:11], v[46:47]
	v_fma_f64 v[9:10], v[3:4], v[10:11], v[22:23]
	v_fma_f64 v[22:23], v[1:2], v[12:13], v[48:49]
	v_fma_f64 v[11:12], v[3:4], v[12:13], v[18:19]
	v_fma_f64 v[0:1], v[1:2], v[14:15], v[50:51]
	v_fma_f64 v[2:3], v[3:4], v[14:15], v[20:21]
	s_waitcnt vmcnt(3)
	v_fma_f64 v[13:14], v[5:6], v[26:27], v[44:45]
	v_fma_f64 v[15:16], v[7:8], v[26:27], v[16:17]
	s_waitcnt vmcnt(2)
	v_fma_f64 v[17:18], v[5:6], v[30:31], v[24:25]
	v_fma_f64 v[19:20], v[7:8], v[30:31], v[9:10]
	;; [unrolled: 3-line block ×4, first 2 shown]
	v_fma_f64 v[0:1], -v[7:8], v[28:29], v[13:14]
	v_fma_f64 v[2:3], v[5:6], v[28:29], v[15:16]
	v_fma_f64 v[9:10], -v[7:8], v[32:33], v[17:18]
	v_fma_f64 v[11:12], v[5:6], v[32:33], v[19:20]
	;; [unrolled: 2-line block ×4, first 2 shown]
	global_store_dwordx4 v[42:43], v[0:3], off
	global_store_dwordx4 v[42:43], v[9:12], off offset:16
	global_store_dwordx4 v[42:43], v[13:16], off offset:32
	;; [unrolled: 1-line block ×3, first 2 shown]
.LBB117_21:
	s_endpgm
	.section	.rodata,"a",@progbits
	.p2align	6, 0x0
	.amdhsa_kernel _ZN9rocsparseL19gebsrmvn_4xn_kernelILj128ELj2ELj8E21rocsparse_complex_numIdEEEvi20rocsparse_direction_NS_24const_host_device_scalarIT2_EEPKiS8_PKS5_SA_S6_PS5_21rocsparse_index_base_b
		.amdhsa_group_segment_fixed_size 0
		.amdhsa_private_segment_fixed_size 0
		.amdhsa_kernarg_size 88
		.amdhsa_user_sgpr_count 6
		.amdhsa_user_sgpr_private_segment_buffer 1
		.amdhsa_user_sgpr_dispatch_ptr 0
		.amdhsa_user_sgpr_queue_ptr 0
		.amdhsa_user_sgpr_kernarg_segment_ptr 1
		.amdhsa_user_sgpr_dispatch_id 0
		.amdhsa_user_sgpr_flat_scratch_init 0
		.amdhsa_user_sgpr_private_segment_size 0
		.amdhsa_uses_dynamic_stack 0
		.amdhsa_system_sgpr_private_segment_wavefront_offset 0
		.amdhsa_system_sgpr_workgroup_id_x 1
		.amdhsa_system_sgpr_workgroup_id_y 0
		.amdhsa_system_sgpr_workgroup_id_z 0
		.amdhsa_system_sgpr_workgroup_info 0
		.amdhsa_system_vgpr_workitem_id 0
		.amdhsa_next_free_vgpr 66
		.amdhsa_next_free_sgpr 16
		.amdhsa_reserve_vcc 1
		.amdhsa_reserve_flat_scratch 0
		.amdhsa_float_round_mode_32 0
		.amdhsa_float_round_mode_16_64 0
		.amdhsa_float_denorm_mode_32 3
		.amdhsa_float_denorm_mode_16_64 3
		.amdhsa_dx10_clamp 1
		.amdhsa_ieee_mode 1
		.amdhsa_fp16_overflow 0
		.amdhsa_exception_fp_ieee_invalid_op 0
		.amdhsa_exception_fp_denorm_src 0
		.amdhsa_exception_fp_ieee_div_zero 0
		.amdhsa_exception_fp_ieee_overflow 0
		.amdhsa_exception_fp_ieee_underflow 0
		.amdhsa_exception_fp_ieee_inexact 0
		.amdhsa_exception_int_div_zero 0
	.end_amdhsa_kernel
	.section	.text._ZN9rocsparseL19gebsrmvn_4xn_kernelILj128ELj2ELj8E21rocsparse_complex_numIdEEEvi20rocsparse_direction_NS_24const_host_device_scalarIT2_EEPKiS8_PKS5_SA_S6_PS5_21rocsparse_index_base_b,"axG",@progbits,_ZN9rocsparseL19gebsrmvn_4xn_kernelILj128ELj2ELj8E21rocsparse_complex_numIdEEEvi20rocsparse_direction_NS_24const_host_device_scalarIT2_EEPKiS8_PKS5_SA_S6_PS5_21rocsparse_index_base_b,comdat
.Lfunc_end117:
	.size	_ZN9rocsparseL19gebsrmvn_4xn_kernelILj128ELj2ELj8E21rocsparse_complex_numIdEEEvi20rocsparse_direction_NS_24const_host_device_scalarIT2_EEPKiS8_PKS5_SA_S6_PS5_21rocsparse_index_base_b, .Lfunc_end117-_ZN9rocsparseL19gebsrmvn_4xn_kernelILj128ELj2ELj8E21rocsparse_complex_numIdEEEvi20rocsparse_direction_NS_24const_host_device_scalarIT2_EEPKiS8_PKS5_SA_S6_PS5_21rocsparse_index_base_b
                                        ; -- End function
	.set _ZN9rocsparseL19gebsrmvn_4xn_kernelILj128ELj2ELj8E21rocsparse_complex_numIdEEEvi20rocsparse_direction_NS_24const_host_device_scalarIT2_EEPKiS8_PKS5_SA_S6_PS5_21rocsparse_index_base_b.num_vgpr, 66
	.set _ZN9rocsparseL19gebsrmvn_4xn_kernelILj128ELj2ELj8E21rocsparse_complex_numIdEEEvi20rocsparse_direction_NS_24const_host_device_scalarIT2_EEPKiS8_PKS5_SA_S6_PS5_21rocsparse_index_base_b.num_agpr, 0
	.set _ZN9rocsparseL19gebsrmvn_4xn_kernelILj128ELj2ELj8E21rocsparse_complex_numIdEEEvi20rocsparse_direction_NS_24const_host_device_scalarIT2_EEPKiS8_PKS5_SA_S6_PS5_21rocsparse_index_base_b.numbered_sgpr, 16
	.set _ZN9rocsparseL19gebsrmvn_4xn_kernelILj128ELj2ELj8E21rocsparse_complex_numIdEEEvi20rocsparse_direction_NS_24const_host_device_scalarIT2_EEPKiS8_PKS5_SA_S6_PS5_21rocsparse_index_base_b.num_named_barrier, 0
	.set _ZN9rocsparseL19gebsrmvn_4xn_kernelILj128ELj2ELj8E21rocsparse_complex_numIdEEEvi20rocsparse_direction_NS_24const_host_device_scalarIT2_EEPKiS8_PKS5_SA_S6_PS5_21rocsparse_index_base_b.private_seg_size, 0
	.set _ZN9rocsparseL19gebsrmvn_4xn_kernelILj128ELj2ELj8E21rocsparse_complex_numIdEEEvi20rocsparse_direction_NS_24const_host_device_scalarIT2_EEPKiS8_PKS5_SA_S6_PS5_21rocsparse_index_base_b.uses_vcc, 1
	.set _ZN9rocsparseL19gebsrmvn_4xn_kernelILj128ELj2ELj8E21rocsparse_complex_numIdEEEvi20rocsparse_direction_NS_24const_host_device_scalarIT2_EEPKiS8_PKS5_SA_S6_PS5_21rocsparse_index_base_b.uses_flat_scratch, 0
	.set _ZN9rocsparseL19gebsrmvn_4xn_kernelILj128ELj2ELj8E21rocsparse_complex_numIdEEEvi20rocsparse_direction_NS_24const_host_device_scalarIT2_EEPKiS8_PKS5_SA_S6_PS5_21rocsparse_index_base_b.has_dyn_sized_stack, 0
	.set _ZN9rocsparseL19gebsrmvn_4xn_kernelILj128ELj2ELj8E21rocsparse_complex_numIdEEEvi20rocsparse_direction_NS_24const_host_device_scalarIT2_EEPKiS8_PKS5_SA_S6_PS5_21rocsparse_index_base_b.has_recursion, 0
	.set _ZN9rocsparseL19gebsrmvn_4xn_kernelILj128ELj2ELj8E21rocsparse_complex_numIdEEEvi20rocsparse_direction_NS_24const_host_device_scalarIT2_EEPKiS8_PKS5_SA_S6_PS5_21rocsparse_index_base_b.has_indirect_call, 0
	.section	.AMDGPU.csdata,"",@progbits
; Kernel info:
; codeLenInByte = 2744
; TotalNumSgprs: 20
; NumVgprs: 66
; ScratchSize: 0
; MemoryBound: 0
; FloatMode: 240
; IeeeMode: 1
; LDSByteSize: 0 bytes/workgroup (compile time only)
; SGPRBlocks: 2
; VGPRBlocks: 16
; NumSGPRsForWavesPerEU: 20
; NumVGPRsForWavesPerEU: 66
; Occupancy: 3
; WaveLimiterHint : 1
; COMPUTE_PGM_RSRC2:SCRATCH_EN: 0
; COMPUTE_PGM_RSRC2:USER_SGPR: 6
; COMPUTE_PGM_RSRC2:TRAP_HANDLER: 0
; COMPUTE_PGM_RSRC2:TGID_X_EN: 1
; COMPUTE_PGM_RSRC2:TGID_Y_EN: 0
; COMPUTE_PGM_RSRC2:TGID_Z_EN: 0
; COMPUTE_PGM_RSRC2:TIDIG_COMP_CNT: 0
	.section	.text._ZN9rocsparseL19gebsrmvn_4xn_kernelILj128ELj2ELj16E21rocsparse_complex_numIdEEEvi20rocsparse_direction_NS_24const_host_device_scalarIT2_EEPKiS8_PKS5_SA_S6_PS5_21rocsparse_index_base_b,"axG",@progbits,_ZN9rocsparseL19gebsrmvn_4xn_kernelILj128ELj2ELj16E21rocsparse_complex_numIdEEEvi20rocsparse_direction_NS_24const_host_device_scalarIT2_EEPKiS8_PKS5_SA_S6_PS5_21rocsparse_index_base_b,comdat
	.globl	_ZN9rocsparseL19gebsrmvn_4xn_kernelILj128ELj2ELj16E21rocsparse_complex_numIdEEEvi20rocsparse_direction_NS_24const_host_device_scalarIT2_EEPKiS8_PKS5_SA_S6_PS5_21rocsparse_index_base_b ; -- Begin function _ZN9rocsparseL19gebsrmvn_4xn_kernelILj128ELj2ELj16E21rocsparse_complex_numIdEEEvi20rocsparse_direction_NS_24const_host_device_scalarIT2_EEPKiS8_PKS5_SA_S6_PS5_21rocsparse_index_base_b
	.p2align	8
	.type	_ZN9rocsparseL19gebsrmvn_4xn_kernelILj128ELj2ELj16E21rocsparse_complex_numIdEEEvi20rocsparse_direction_NS_24const_host_device_scalarIT2_EEPKiS8_PKS5_SA_S6_PS5_21rocsparse_index_base_b,@function
_ZN9rocsparseL19gebsrmvn_4xn_kernelILj128ELj2ELj16E21rocsparse_complex_numIdEEEvi20rocsparse_direction_NS_24const_host_device_scalarIT2_EEPKiS8_PKS5_SA_S6_PS5_21rocsparse_index_base_b: ; @_ZN9rocsparseL19gebsrmvn_4xn_kernelILj128ELj2ELj16E21rocsparse_complex_numIdEEEvi20rocsparse_direction_NS_24const_host_device_scalarIT2_EEPKiS8_PKS5_SA_S6_PS5_21rocsparse_index_base_b
; %bb.0:
	s_load_dwordx2 s[0:1], s[4:5], 0x8
	s_load_dwordx2 s[8:9], s[4:5], 0x38
	;; [unrolled: 1-line block ×3, first 2 shown]
	s_add_u32 s7, s4, 8
	s_addc_u32 s10, s5, 0
	s_add_u32 s11, s4, 56
	s_addc_u32 s12, s5, 0
	s_waitcnt lgkmcnt(0)
	s_bitcmp1_b32 s3, 0
	s_cselect_b32 s1, s10, s1
	s_cselect_b32 s0, s7, s0
	v_mov_b32_e32 v1, s0
	v_mov_b32_e32 v2, s1
	flat_load_dwordx4 v[1:4], v[1:2]
	s_cselect_b32 s0, s12, s9
	s_cselect_b32 s1, s11, s8
	v_mov_b32_e32 v5, s1
	v_mov_b32_e32 v6, s0
	flat_load_dwordx4 v[5:8], v[5:6]
	s_waitcnt vmcnt(0) lgkmcnt(0)
	v_cmp_eq_f64_e32 vcc, 0, v[1:2]
	v_cmp_eq_f64_e64 s[0:1], 0, v[3:4]
	s_and_b64 s[10:11], vcc, s[0:1]
	s_mov_b64 s[0:1], -1
	s_and_saveexec_b64 s[8:9], s[10:11]
	s_cbranch_execz .LBB118_2
; %bb.1:
	v_cmp_neq_f64_e32 vcc, 1.0, v[5:6]
	v_cmp_neq_f64_e64 s[0:1], 0, v[7:8]
	s_or_b64 s[0:1], vcc, s[0:1]
	s_orn2_b64 s[0:1], s[0:1], exec
.LBB118_2:
	s_or_b64 exec, exec, s[8:9]
	s_and_saveexec_b64 s[8:9], s[0:1]
	s_cbranch_execz .LBB118_21
; %bb.3:
	s_load_dwordx2 s[0:1], s[4:5], 0x0
	v_lshrrev_b32_e32 v9, 4, v0
	v_lshl_or_b32 v9, s6, 3, v9
	s_waitcnt lgkmcnt(0)
	v_cmp_gt_i32_e32 vcc, s0, v9
	s_and_b64 exec, exec, vcc
	s_cbranch_execz .LBB118_21
; %bb.4:
	s_load_dwordx8 s[8:15], s[4:5], 0x18
	v_ashrrev_i32_e32 v10, 31, v9
	v_lshlrev_b64 v[10:11], 2, v[9:10]
	v_and_b32_e32 v0, 15, v0
	s_cmp_lg_u32 s1, 0
	s_waitcnt lgkmcnt(0)
	v_mov_b32_e32 v12, s9
	v_add_co_u32_e32 v10, vcc, s8, v10
	v_addc_co_u32_e32 v11, vcc, v12, v11, vcc
	global_load_dwordx2 v[10:11], v[10:11], off
	s_waitcnt vmcnt(0)
	v_subrev_u32_e32 v10, s2, v10
	v_subrev_u32_e32 v32, s2, v11
	v_add_u32_e32 v14, v10, v0
	v_cmp_lt_i32_e64 s[0:1], v14, v32
	s_cbranch_scc0 .LBB118_10
; %bb.5:
	v_mov_b32_e32 v18, 0
	v_mov_b32_e32 v26, 0
	;; [unrolled: 1-line block ×16, first 2 shown]
	s_and_saveexec_b64 s[6:7], s[0:1]
	s_cbranch_execz .LBB118_9
; %bb.6:
	v_mov_b32_e32 v18, 0
	v_mov_b32_e32 v26, 0
	;; [unrolled: 1-line block ×8, first 2 shown]
	v_lshlrev_b32_e32 v28, 3, v14
	v_mov_b32_e32 v19, 0
	s_mov_b64 s[8:9], 0
	v_mov_b32_e32 v15, s11
	v_mov_b32_e32 v29, 0
	;; [unrolled: 1-line block ×12, first 2 shown]
.LBB118_7:                              ; =>This Inner Loop Header: Depth=1
	v_lshlrev_b64 v[35:36], 4, v[28:29]
	v_ashrrev_i32_e32 v31, 31, v30
	v_lshlrev_b64 v[37:38], 2, v[30:31]
	v_add_co_u32_e32 v43, vcc, s12, v35
	v_addc_co_u32_e32 v44, vcc, v33, v36, vcc
	v_add_co_u32_e32 v41, vcc, s10, v37
	v_addc_co_u32_e32 v42, vcc, v15, v38, vcc
	global_load_dwordx4 v[35:38], v[43:44], off
	global_load_dword v31, v[41:42], off
	v_mov_b32_e32 v40, v29
	v_add_u32_e32 v30, 16, v30
	v_add_u32_e32 v28, 0x80, v28
	s_waitcnt vmcnt(0)
	v_subrev_u32_e32 v31, s2, v31
	v_lshlrev_b32_e32 v39, 1, v31
	v_lshlrev_b64 v[39:40], 4, v[39:40]
	v_add_co_u32_e32 v45, vcc, s14, v39
	v_addc_co_u32_e32 v46, vcc, v34, v40, vcc
	global_load_dwordx4 v[39:42], v[45:46], off
	v_cmp_ge_i32_e32 vcc, v30, v32
	s_or_b64 s[8:9], vcc, s[8:9]
	s_waitcnt vmcnt(0)
	v_fma_f64 v[26:27], v[35:36], v[39:40], v[26:27]
	v_fma_f64 v[18:19], v[37:38], v[39:40], v[18:19]
	v_fma_f64 v[26:27], -v[37:38], v[41:42], v[26:27]
	v_fma_f64 v[47:48], v[35:36], v[41:42], v[18:19]
	global_load_dwordx4 v[35:38], v[43:44], off offset:16
	s_waitcnt vmcnt(0)
	v_fma_f64 v[18:19], v[35:36], v[39:40], v[22:23]
	v_fma_f64 v[22:23], v[37:38], v[39:40], v[24:25]
	v_fma_f64 v[49:50], -v[37:38], v[41:42], v[18:19]
	v_fma_f64 v[51:52], v[35:36], v[41:42], v[22:23]
	global_load_dwordx4 v[22:25], v[43:44], off offset:32
	;; [unrolled: 6-line block ×4, first 2 shown]
	global_load_dwordx4 v[35:38], v[45:46], off offset:16
	s_waitcnt vmcnt(0)
	v_fma_f64 v[18:19], v[10:11], v[35:36], v[26:27]
	v_fma_f64 v[22:23], v[12:13], v[35:36], v[47:48]
	v_fma_f64 v[26:27], -v[12:13], v[37:38], v[18:19]
	v_fma_f64 v[18:19], v[10:11], v[37:38], v[22:23]
	global_load_dwordx4 v[10:13], v[43:44], off offset:80
	s_waitcnt vmcnt(0)
	v_fma_f64 v[22:23], v[10:11], v[35:36], v[49:50]
	v_fma_f64 v[24:25], v[12:13], v[35:36], v[51:52]
	v_fma_f64 v[22:23], -v[12:13], v[37:38], v[22:23]
	v_fma_f64 v[24:25], v[10:11], v[37:38], v[24:25]
	global_load_dwordx4 v[10:13], v[43:44], off offset:96
	global_load_dwordx4 v[39:42], v[43:44], off offset:112
	s_waitcnt vmcnt(1)
	v_fma_f64 v[20:21], v[10:11], v[35:36], v[20:21]
	v_fma_f64 v[43:44], v[12:13], v[35:36], v[53:54]
	s_waitcnt vmcnt(0)
	v_fma_f64 v[45:46], v[39:40], v[35:36], v[55:56]
	v_fma_f64 v[35:36], v[41:42], v[35:36], v[16:17]
	v_fma_f64 v[20:21], -v[12:13], v[37:38], v[20:21]
	v_fma_f64 v[16:17], v[10:11], v[37:38], v[43:44]
	v_fma_f64 v[12:13], -v[41:42], v[37:38], v[45:46]
	v_fma_f64 v[10:11], v[39:40], v[37:38], v[35:36]
	s_andn2_b64 exec, exec, s[8:9]
	s_cbranch_execnz .LBB118_7
; %bb.8:
	s_or_b64 exec, exec, s[8:9]
.LBB118_9:
	s_or_b64 exec, exec, s[6:7]
	s_cbranch_execz .LBB118_11
	s_branch .LBB118_16
.LBB118_10:
                                        ; implicit-def: $vgpr18_vgpr19
                                        ; implicit-def: $vgpr26_vgpr27
                                        ; implicit-def: $vgpr12_vgpr13
                                        ; implicit-def: $vgpr10_vgpr11
                                        ; implicit-def: $vgpr20_vgpr21
                                        ; implicit-def: $vgpr16_vgpr17
                                        ; implicit-def: $vgpr22_vgpr23
                                        ; implicit-def: $vgpr24_vgpr25
.LBB118_11:
	v_mov_b32_e32 v18, 0
	v_mov_b32_e32 v26, 0
	;; [unrolled: 1-line block ×16, first 2 shown]
	s_and_saveexec_b64 s[6:7], s[0:1]
	s_cbranch_execz .LBB118_15
; %bb.12:
	v_mov_b32_e32 v18, 0
	v_mov_b32_e32 v26, 0
	;; [unrolled: 1-line block ×8, first 2 shown]
	v_lshlrev_b32_e32 v28, 3, v14
	v_mov_b32_e32 v19, 0
	s_mov_b64 s[0:1], 0
	v_mov_b32_e32 v30, s11
	v_mov_b32_e32 v29, 0
	;; [unrolled: 1-line block ×11, first 2 shown]
.LBB118_13:                             ; =>This Inner Loop Header: Depth=1
	v_lshlrev_b64 v[34:35], 4, v[28:29]
	v_ashrrev_i32_e32 v15, 31, v14
	v_lshlrev_b64 v[36:37], 2, v[14:15]
	v_add_co_u32_e32 v58, vcc, s12, v34
	v_addc_co_u32_e32 v59, vcc, v31, v35, vcc
	v_add_co_u32_e32 v44, vcc, s10, v36
	v_addc_co_u32_e32 v45, vcc, v30, v37, vcc
	global_load_dwordx4 v[34:37], v[58:59], off
	global_load_dwordx4 v[38:41], v[58:59], off offset:16
	global_load_dword v15, v[44:45], off
	v_mov_b32_e32 v43, v29
	v_add_u32_e32 v14, 16, v14
	v_add_u32_e32 v28, 0x80, v28
	s_waitcnt vmcnt(0)
	v_subrev_u32_e32 v15, s2, v15
	v_lshlrev_b32_e32 v42, 1, v15
	v_lshlrev_b64 v[42:43], 4, v[42:43]
	v_add_co_u32_e32 v50, vcc, s14, v42
	v_addc_co_u32_e32 v51, vcc, v33, v43, vcc
	global_load_dwordx4 v[42:45], v[50:51], off
	global_load_dwordx4 v[46:49], v[50:51], off offset:16
	v_cmp_ge_i32_e32 vcc, v14, v32
	s_or_b64 s[0:1], vcc, s[0:1]
	s_waitcnt vmcnt(1)
	v_fma_f64 v[26:27], v[34:35], v[42:43], v[26:27]
	v_fma_f64 v[18:19], v[36:37], v[42:43], v[18:19]
	v_fma_f64 v[26:27], -v[36:37], v[44:45], v[26:27]
	v_fma_f64 v[60:61], v[34:35], v[44:45], v[18:19]
	global_load_dwordx4 v[34:37], v[58:59], off offset:32
	global_load_dwordx4 v[50:53], v[58:59], off offset:48
	s_waitcnt vmcnt(1)
	v_fma_f64 v[18:19], v[34:35], v[42:43], v[22:23]
	v_fma_f64 v[22:23], v[36:37], v[42:43], v[24:25]
	v_fma_f64 v[62:63], -v[36:37], v[44:45], v[18:19]
	v_fma_f64 v[64:65], v[34:35], v[44:45], v[22:23]
	global_load_dwordx4 v[22:25], v[58:59], off offset:64
	global_load_dwordx4 v[34:37], v[58:59], off offset:80
	;; [unrolled: 7-line block ×3, first 2 shown]
	v_fma_f64 v[23:24], v[50:51], v[46:47], v[62:63]
	s_waitcnt vmcnt(2)
	v_fma_f64 v[58:59], v[36:37], v[46:47], v[21:22]
	v_fma_f64 v[22:23], -v[52:53], v[48:49], v[23:24]
	s_waitcnt vmcnt(1)
	v_fma_f64 v[12:13], v[15:16], v[42:43], v[12:13]
	v_fma_f64 v[10:11], v[17:18], v[42:43], v[10:11]
	;; [unrolled: 1-line block ×3, first 2 shown]
	v_fma_f64 v[12:13], -v[17:18], v[44:45], v[12:13]
	v_fma_f64 v[10:11], v[15:16], v[44:45], v[10:11]
	v_fma_f64 v[15:16], v[38:39], v[46:47], v[26:27]
	;; [unrolled: 1-line block ×5, first 2 shown]
	s_waitcnt vmcnt(0)
	v_fma_f64 v[12:13], v[54:55], v[46:47], v[12:13]
	v_fma_f64 v[10:11], v[56:57], v[46:47], v[10:11]
	v_fma_f64 v[26:27], -v[40:41], v[48:49], v[15:16]
	v_fma_f64 v[18:19], v[38:39], v[48:49], v[17:18]
	v_fma_f64 v[20:21], -v[36:37], v[48:49], v[44:45]
	;; [unrolled: 2-line block ×3, first 2 shown]
	v_fma_f64 v[10:11], v[54:55], v[48:49], v[10:11]
	s_andn2_b64 exec, exec, s[0:1]
	s_cbranch_execnz .LBB118_13
; %bb.14:
	s_or_b64 exec, exec, s[0:1]
.LBB118_15:
	s_or_b64 exec, exec, s[6:7]
.LBB118_16:
	v_mov_b32_dpp v14, v26 row_shr:1 row_mask:0xf bank_mask:0xf
	v_mov_b32_dpp v15, v27 row_shr:1 row_mask:0xf bank_mask:0xf
	v_add_f64 v[14:15], v[26:27], v[14:15]
	v_mov_b32_dpp v26, v18 row_shr:1 row_mask:0xf bank_mask:0xf
	v_mov_b32_dpp v27, v19 row_shr:1 row_mask:0xf bank_mask:0xf
	v_add_f64 v[18:19], v[18:19], v[26:27]
	;; [unrolled: 3-line block ×3, first 2 shown]
	v_mov_b32_dpp v35, v16 row_shr:1 row_mask:0xf bank_mask:0xf
	v_mov_b32_dpp v28, v14 row_shr:2 row_mask:0xf bank_mask:0xf
	;; [unrolled: 1-line block ×3, first 2 shown]
	v_add_f64 v[14:15], v[14:15], v[28:29]
	v_mov_b32_dpp v28, v18 row_shr:2 row_mask:0xf bank_mask:0xf
	v_mov_b32_dpp v29, v19 row_shr:2 row_mask:0xf bank_mask:0xf
	v_add_f64 v[18:19], v[18:19], v[28:29]
	v_mov_b32_dpp v28, v24 row_shr:1 row_mask:0xf bank_mask:0xf
	v_mov_b32_dpp v29, v25 row_shr:1 row_mask:0xf bank_mask:0xf
	;; [unrolled: 3-line block ×3, first 2 shown]
	v_add_f64 v[22:23], v[22:23], v[28:29]
	v_mov_b32_dpp v36, v17 row_shr:1 row_mask:0xf bank_mask:0xf
	v_add_f64 v[16:17], v[16:17], v[35:36]
	v_mov_b32_dpp v35, v12 row_shr:1 row_mask:0xf bank_mask:0xf
	v_mov_b32_dpp v36, v13 row_shr:1 row_mask:0xf bank_mask:0xf
	;; [unrolled: 1-line block ×4, first 2 shown]
	v_add_f64 v[24:25], v[24:25], v[28:29]
	v_mov_b32_dpp v28, v20 row_shr:1 row_mask:0xf bank_mask:0xf
	v_mov_b32_dpp v29, v21 row_shr:1 row_mask:0xf bank_mask:0xf
	v_add_f64 v[28:29], v[20:21], v[28:29]
	v_add_f64 v[12:13], v[12:13], v[35:36]
	v_mov_b32_dpp v35, v10 row_shr:1 row_mask:0xf bank_mask:0xf
	v_mov_b32_dpp v36, v11 row_shr:1 row_mask:0xf bank_mask:0xf
	v_add_f64 v[10:11], v[10:11], v[35:36]
	v_mov_b32_dpp v20, v22 row_shr:4 row_mask:0xf bank_mask:0xe
	v_mov_b32_dpp v21, v23 row_shr:4 row_mask:0xf bank_mask:0xe
	;; [unrolled: 3-line block ×9, first 2 shown]
	v_mov_b32_dpp v26, v14 row_shr:4 row_mask:0xf bank_mask:0xe
	v_mov_b32_dpp v27, v15 row_shr:4 row_mask:0xf bank_mask:0xe
	v_add_f64 v[34:35], v[16:17], v[32:33]
	v_mov_b32_dpp v16, v36 row_shr:4 row_mask:0xf bank_mask:0xe
	v_mov_b32_dpp v17, v37 row_shr:4 row_mask:0xf bank_mask:0xe
	v_add_f64 v[14:15], v[14:15], v[26:27]
	;; [unrolled: 3-line block ×4, first 2 shown]
	v_add_f64 v[32:33], v[10:11], v[16:17]
	v_mov_b32_dpp v30, v14 row_shr:8 row_mask:0xf bank_mask:0xc
	v_mov_b32_dpp v31, v15 row_shr:8 row_mask:0xf bank_mask:0xc
	;; [unrolled: 1-line block ×16, first 2 shown]
	v_cmp_eq_u32_e32 vcc, 15, v0
	s_and_b64 exec, exec, vcc
	s_cbranch_execz .LBB118_21
; %bb.17:
	v_cmp_eq_f64_e32 vcc, 0, v[5:6]
	v_cmp_eq_f64_e64 s[0:1], 0, v[7:8]
	v_add_f64 v[16:17], v[14:15], v[30:31]
	v_add_f64 v[24:25], v[18:19], v[24:25]
	;; [unrolled: 1-line block ×8, first 2 shown]
	s_load_dwordx2 s[2:3], s[4:5], 0x48
	s_and_b64 s[0:1], vcc, s[0:1]
	s_and_saveexec_b64 s[4:5], s[0:1]
	s_xor_b64 s[0:1], exec, s[4:5]
	s_cbranch_execz .LBB118_19
; %bb.18:
	v_mul_f64 v[5:6], v[24:25], -v[3:4]
	v_mul_f64 v[7:8], v[1:2], v[24:25]
	v_mul_f64 v[26:27], v[22:23], -v[3:4]
	v_mul_f64 v[22:23], v[1:2], v[22:23]
	;; [unrolled: 2-line block ×4, first 2 shown]
	v_fma_f64 v[5:6], v[1:2], v[16:17], v[5:6]
	v_fma_f64 v[7:8], v[3:4], v[16:17], v[7:8]
	;; [unrolled: 1-line block ×4, first 2 shown]
	v_lshlrev_b32_e32 v24, 2, v9
	v_fma_f64 v[9:10], v[1:2], v[12:13], v[28:29]
	v_fma_f64 v[11:12], v[3:4], v[12:13], v[30:31]
	v_ashrrev_i32_e32 v25, 31, v24
	v_fma_f64 v[0:1], v[1:2], v[14:15], v[32:33]
	v_fma_f64 v[2:3], v[3:4], v[14:15], v[20:21]
	v_lshlrev_b64 v[24:25], 4, v[24:25]
	s_waitcnt lgkmcnt(0)
	v_mov_b32_e32 v34, s3
	v_add_co_u32_e32 v13, vcc, s2, v24
	v_addc_co_u32_e32 v14, vcc, v34, v25, vcc
	global_store_dwordx4 v[13:14], v[5:8], off
	global_store_dwordx4 v[13:14], v[16:19], off offset:16
	global_store_dwordx4 v[13:14], v[9:12], off offset:32
	;; [unrolled: 1-line block ×3, first 2 shown]
                                        ; implicit-def: $vgpr9
                                        ; implicit-def: $vgpr16_vgpr17
                                        ; implicit-def: $vgpr24_vgpr25
                                        ; implicit-def: $vgpr10_vgpr11
                                        ; implicit-def: $vgpr22_vgpr23
                                        ; implicit-def: $vgpr12_vgpr13
                                        ; implicit-def: $vgpr18_vgpr19
                                        ; implicit-def: $vgpr14_vgpr15
                                        ; implicit-def: $vgpr20_vgpr21
                                        ; implicit-def: $vgpr7_vgpr8
                                        ; implicit-def: $vgpr3_vgpr4
.LBB118_19:
	s_andn2_saveexec_b64 s[0:1], s[0:1]
	s_cbranch_execz .LBB118_21
; %bb.20:
	v_lshlrev_b32_e32 v26, 2, v9
	v_ashrrev_i32_e32 v27, 31, v26
	v_lshlrev_b64 v[26:27], 4, v[26:27]
	s_waitcnt lgkmcnt(0)
	v_mov_b32_e32 v0, s3
	v_add_co_u32_e32 v42, vcc, s2, v26
	v_addc_co_u32_e32 v43, vcc, v0, v27, vcc
	global_load_dwordx4 v[26:29], v[42:43], off
	global_load_dwordx4 v[30:33], v[42:43], off offset:16
	global_load_dwordx4 v[34:37], v[42:43], off offset:32
	;; [unrolled: 1-line block ×3, first 2 shown]
	v_mul_f64 v[44:45], v[24:25], -v[3:4]
	v_mul_f64 v[24:25], v[1:2], v[24:25]
	v_mul_f64 v[46:47], v[22:23], -v[3:4]
	v_mul_f64 v[22:23], v[1:2], v[22:23]
	;; [unrolled: 2-line block ×4, first 2 shown]
	v_fma_f64 v[44:45], v[1:2], v[16:17], v[44:45]
	v_fma_f64 v[16:17], v[3:4], v[16:17], v[24:25]
	;; [unrolled: 1-line block ×8, first 2 shown]
	s_waitcnt vmcnt(3)
	v_fma_f64 v[13:14], v[5:6], v[26:27], v[44:45]
	v_fma_f64 v[15:16], v[7:8], v[26:27], v[16:17]
	s_waitcnt vmcnt(2)
	v_fma_f64 v[17:18], v[5:6], v[30:31], v[24:25]
	v_fma_f64 v[19:20], v[7:8], v[30:31], v[9:10]
	s_waitcnt vmcnt(1)
	v_fma_f64 v[21:22], v[5:6], v[34:35], v[22:23]
	v_fma_f64 v[23:24], v[7:8], v[34:35], v[11:12]
	s_waitcnt vmcnt(0)
	v_fma_f64 v[25:26], v[5:6], v[38:39], v[0:1]
	v_fma_f64 v[30:31], v[7:8], v[38:39], v[2:3]
	v_fma_f64 v[0:1], -v[7:8], v[28:29], v[13:14]
	v_fma_f64 v[2:3], v[5:6], v[28:29], v[15:16]
	v_fma_f64 v[9:10], -v[7:8], v[32:33], v[17:18]
	v_fma_f64 v[11:12], v[5:6], v[32:33], v[19:20]
	;; [unrolled: 2-line block ×4, first 2 shown]
	global_store_dwordx4 v[42:43], v[0:3], off
	global_store_dwordx4 v[42:43], v[9:12], off offset:16
	global_store_dwordx4 v[42:43], v[13:16], off offset:32
	;; [unrolled: 1-line block ×3, first 2 shown]
.LBB118_21:
	s_endpgm
	.section	.rodata,"a",@progbits
	.p2align	6, 0x0
	.amdhsa_kernel _ZN9rocsparseL19gebsrmvn_4xn_kernelILj128ELj2ELj16E21rocsparse_complex_numIdEEEvi20rocsparse_direction_NS_24const_host_device_scalarIT2_EEPKiS8_PKS5_SA_S6_PS5_21rocsparse_index_base_b
		.amdhsa_group_segment_fixed_size 0
		.amdhsa_private_segment_fixed_size 0
		.amdhsa_kernarg_size 88
		.amdhsa_user_sgpr_count 6
		.amdhsa_user_sgpr_private_segment_buffer 1
		.amdhsa_user_sgpr_dispatch_ptr 0
		.amdhsa_user_sgpr_queue_ptr 0
		.amdhsa_user_sgpr_kernarg_segment_ptr 1
		.amdhsa_user_sgpr_dispatch_id 0
		.amdhsa_user_sgpr_flat_scratch_init 0
		.amdhsa_user_sgpr_private_segment_size 0
		.amdhsa_uses_dynamic_stack 0
		.amdhsa_system_sgpr_private_segment_wavefront_offset 0
		.amdhsa_system_sgpr_workgroup_id_x 1
		.amdhsa_system_sgpr_workgroup_id_y 0
		.amdhsa_system_sgpr_workgroup_id_z 0
		.amdhsa_system_sgpr_workgroup_info 0
		.amdhsa_system_vgpr_workitem_id 0
		.amdhsa_next_free_vgpr 66
		.amdhsa_next_free_sgpr 16
		.amdhsa_reserve_vcc 1
		.amdhsa_reserve_flat_scratch 0
		.amdhsa_float_round_mode_32 0
		.amdhsa_float_round_mode_16_64 0
		.amdhsa_float_denorm_mode_32 3
		.amdhsa_float_denorm_mode_16_64 3
		.amdhsa_dx10_clamp 1
		.amdhsa_ieee_mode 1
		.amdhsa_fp16_overflow 0
		.amdhsa_exception_fp_ieee_invalid_op 0
		.amdhsa_exception_fp_denorm_src 0
		.amdhsa_exception_fp_ieee_div_zero 0
		.amdhsa_exception_fp_ieee_overflow 0
		.amdhsa_exception_fp_ieee_underflow 0
		.amdhsa_exception_fp_ieee_inexact 0
		.amdhsa_exception_int_div_zero 0
	.end_amdhsa_kernel
	.section	.text._ZN9rocsparseL19gebsrmvn_4xn_kernelILj128ELj2ELj16E21rocsparse_complex_numIdEEEvi20rocsparse_direction_NS_24const_host_device_scalarIT2_EEPKiS8_PKS5_SA_S6_PS5_21rocsparse_index_base_b,"axG",@progbits,_ZN9rocsparseL19gebsrmvn_4xn_kernelILj128ELj2ELj16E21rocsparse_complex_numIdEEEvi20rocsparse_direction_NS_24const_host_device_scalarIT2_EEPKiS8_PKS5_SA_S6_PS5_21rocsparse_index_base_b,comdat
.Lfunc_end118:
	.size	_ZN9rocsparseL19gebsrmvn_4xn_kernelILj128ELj2ELj16E21rocsparse_complex_numIdEEEvi20rocsparse_direction_NS_24const_host_device_scalarIT2_EEPKiS8_PKS5_SA_S6_PS5_21rocsparse_index_base_b, .Lfunc_end118-_ZN9rocsparseL19gebsrmvn_4xn_kernelILj128ELj2ELj16E21rocsparse_complex_numIdEEEvi20rocsparse_direction_NS_24const_host_device_scalarIT2_EEPKiS8_PKS5_SA_S6_PS5_21rocsparse_index_base_b
                                        ; -- End function
	.set _ZN9rocsparseL19gebsrmvn_4xn_kernelILj128ELj2ELj16E21rocsparse_complex_numIdEEEvi20rocsparse_direction_NS_24const_host_device_scalarIT2_EEPKiS8_PKS5_SA_S6_PS5_21rocsparse_index_base_b.num_vgpr, 66
	.set _ZN9rocsparseL19gebsrmvn_4xn_kernelILj128ELj2ELj16E21rocsparse_complex_numIdEEEvi20rocsparse_direction_NS_24const_host_device_scalarIT2_EEPKiS8_PKS5_SA_S6_PS5_21rocsparse_index_base_b.num_agpr, 0
	.set _ZN9rocsparseL19gebsrmvn_4xn_kernelILj128ELj2ELj16E21rocsparse_complex_numIdEEEvi20rocsparse_direction_NS_24const_host_device_scalarIT2_EEPKiS8_PKS5_SA_S6_PS5_21rocsparse_index_base_b.numbered_sgpr, 16
	.set _ZN9rocsparseL19gebsrmvn_4xn_kernelILj128ELj2ELj16E21rocsparse_complex_numIdEEEvi20rocsparse_direction_NS_24const_host_device_scalarIT2_EEPKiS8_PKS5_SA_S6_PS5_21rocsparse_index_base_b.num_named_barrier, 0
	.set _ZN9rocsparseL19gebsrmvn_4xn_kernelILj128ELj2ELj16E21rocsparse_complex_numIdEEEvi20rocsparse_direction_NS_24const_host_device_scalarIT2_EEPKiS8_PKS5_SA_S6_PS5_21rocsparse_index_base_b.private_seg_size, 0
	.set _ZN9rocsparseL19gebsrmvn_4xn_kernelILj128ELj2ELj16E21rocsparse_complex_numIdEEEvi20rocsparse_direction_NS_24const_host_device_scalarIT2_EEPKiS8_PKS5_SA_S6_PS5_21rocsparse_index_base_b.uses_vcc, 1
	.set _ZN9rocsparseL19gebsrmvn_4xn_kernelILj128ELj2ELj16E21rocsparse_complex_numIdEEEvi20rocsparse_direction_NS_24const_host_device_scalarIT2_EEPKiS8_PKS5_SA_S6_PS5_21rocsparse_index_base_b.uses_flat_scratch, 0
	.set _ZN9rocsparseL19gebsrmvn_4xn_kernelILj128ELj2ELj16E21rocsparse_complex_numIdEEEvi20rocsparse_direction_NS_24const_host_device_scalarIT2_EEPKiS8_PKS5_SA_S6_PS5_21rocsparse_index_base_b.has_dyn_sized_stack, 0
	.set _ZN9rocsparseL19gebsrmvn_4xn_kernelILj128ELj2ELj16E21rocsparse_complex_numIdEEEvi20rocsparse_direction_NS_24const_host_device_scalarIT2_EEPKiS8_PKS5_SA_S6_PS5_21rocsparse_index_base_b.has_recursion, 0
	.set _ZN9rocsparseL19gebsrmvn_4xn_kernelILj128ELj2ELj16E21rocsparse_complex_numIdEEEvi20rocsparse_direction_NS_24const_host_device_scalarIT2_EEPKiS8_PKS5_SA_S6_PS5_21rocsparse_index_base_b.has_indirect_call, 0
	.section	.AMDGPU.csdata,"",@progbits
; Kernel info:
; codeLenInByte = 2948
; TotalNumSgprs: 20
; NumVgprs: 66
; ScratchSize: 0
; MemoryBound: 0
; FloatMode: 240
; IeeeMode: 1
; LDSByteSize: 0 bytes/workgroup (compile time only)
; SGPRBlocks: 2
; VGPRBlocks: 16
; NumSGPRsForWavesPerEU: 20
; NumVGPRsForWavesPerEU: 66
; Occupancy: 3
; WaveLimiterHint : 1
; COMPUTE_PGM_RSRC2:SCRATCH_EN: 0
; COMPUTE_PGM_RSRC2:USER_SGPR: 6
; COMPUTE_PGM_RSRC2:TRAP_HANDLER: 0
; COMPUTE_PGM_RSRC2:TGID_X_EN: 1
; COMPUTE_PGM_RSRC2:TGID_Y_EN: 0
; COMPUTE_PGM_RSRC2:TGID_Z_EN: 0
; COMPUTE_PGM_RSRC2:TIDIG_COMP_CNT: 0
	.section	.text._ZN9rocsparseL19gebsrmvn_4xn_kernelILj128ELj2ELj32E21rocsparse_complex_numIdEEEvi20rocsparse_direction_NS_24const_host_device_scalarIT2_EEPKiS8_PKS5_SA_S6_PS5_21rocsparse_index_base_b,"axG",@progbits,_ZN9rocsparseL19gebsrmvn_4xn_kernelILj128ELj2ELj32E21rocsparse_complex_numIdEEEvi20rocsparse_direction_NS_24const_host_device_scalarIT2_EEPKiS8_PKS5_SA_S6_PS5_21rocsparse_index_base_b,comdat
	.globl	_ZN9rocsparseL19gebsrmvn_4xn_kernelILj128ELj2ELj32E21rocsparse_complex_numIdEEEvi20rocsparse_direction_NS_24const_host_device_scalarIT2_EEPKiS8_PKS5_SA_S6_PS5_21rocsparse_index_base_b ; -- Begin function _ZN9rocsparseL19gebsrmvn_4xn_kernelILj128ELj2ELj32E21rocsparse_complex_numIdEEEvi20rocsparse_direction_NS_24const_host_device_scalarIT2_EEPKiS8_PKS5_SA_S6_PS5_21rocsparse_index_base_b
	.p2align	8
	.type	_ZN9rocsparseL19gebsrmvn_4xn_kernelILj128ELj2ELj32E21rocsparse_complex_numIdEEEvi20rocsparse_direction_NS_24const_host_device_scalarIT2_EEPKiS8_PKS5_SA_S6_PS5_21rocsparse_index_base_b,@function
_ZN9rocsparseL19gebsrmvn_4xn_kernelILj128ELj2ELj32E21rocsparse_complex_numIdEEEvi20rocsparse_direction_NS_24const_host_device_scalarIT2_EEPKiS8_PKS5_SA_S6_PS5_21rocsparse_index_base_b: ; @_ZN9rocsparseL19gebsrmvn_4xn_kernelILj128ELj2ELj32E21rocsparse_complex_numIdEEEvi20rocsparse_direction_NS_24const_host_device_scalarIT2_EEPKiS8_PKS5_SA_S6_PS5_21rocsparse_index_base_b
; %bb.0:
	s_load_dwordx2 s[0:1], s[4:5], 0x8
	s_load_dwordx2 s[8:9], s[4:5], 0x38
	;; [unrolled: 1-line block ×3, first 2 shown]
	s_add_u32 s7, s4, 8
	s_addc_u32 s10, s5, 0
	s_add_u32 s11, s4, 56
	s_addc_u32 s12, s5, 0
	s_waitcnt lgkmcnt(0)
	s_bitcmp1_b32 s3, 0
	s_cselect_b32 s1, s10, s1
	s_cselect_b32 s0, s7, s0
	v_mov_b32_e32 v1, s0
	v_mov_b32_e32 v2, s1
	flat_load_dwordx4 v[1:4], v[1:2]
	s_cselect_b32 s0, s12, s9
	s_cselect_b32 s1, s11, s8
	v_mov_b32_e32 v5, s1
	v_mov_b32_e32 v6, s0
	flat_load_dwordx4 v[5:8], v[5:6]
	s_waitcnt vmcnt(0) lgkmcnt(0)
	v_cmp_eq_f64_e32 vcc, 0, v[1:2]
	v_cmp_eq_f64_e64 s[0:1], 0, v[3:4]
	s_and_b64 s[10:11], vcc, s[0:1]
	s_mov_b64 s[0:1], -1
	s_and_saveexec_b64 s[8:9], s[10:11]
	s_cbranch_execz .LBB119_2
; %bb.1:
	v_cmp_neq_f64_e32 vcc, 1.0, v[5:6]
	v_cmp_neq_f64_e64 s[0:1], 0, v[7:8]
	s_or_b64 s[0:1], vcc, s[0:1]
	s_orn2_b64 s[0:1], s[0:1], exec
.LBB119_2:
	s_or_b64 exec, exec, s[8:9]
	s_and_saveexec_b64 s[8:9], s[0:1]
	s_cbranch_execz .LBB119_21
; %bb.3:
	s_load_dwordx2 s[0:1], s[4:5], 0x0
	v_lshrrev_b32_e32 v9, 5, v0
	v_lshl_or_b32 v9, s6, 2, v9
	s_waitcnt lgkmcnt(0)
	v_cmp_gt_i32_e32 vcc, s0, v9
	s_and_b64 exec, exec, vcc
	s_cbranch_execz .LBB119_21
; %bb.4:
	s_load_dwordx8 s[8:15], s[4:5], 0x18
	v_ashrrev_i32_e32 v10, 31, v9
	v_lshlrev_b64 v[10:11], 2, v[9:10]
	v_and_b32_e32 v0, 31, v0
	s_cmp_lg_u32 s1, 0
	s_waitcnt lgkmcnt(0)
	v_mov_b32_e32 v12, s9
	v_add_co_u32_e32 v10, vcc, s8, v10
	v_addc_co_u32_e32 v11, vcc, v12, v11, vcc
	global_load_dwordx2 v[10:11], v[10:11], off
	s_waitcnt vmcnt(0)
	v_subrev_u32_e32 v10, s2, v10
	v_subrev_u32_e32 v32, s2, v11
	v_add_u32_e32 v14, v10, v0
	v_cmp_lt_i32_e64 s[0:1], v14, v32
	s_cbranch_scc0 .LBB119_10
; %bb.5:
	v_mov_b32_e32 v20, 0
	v_mov_b32_e32 v26, 0
	;; [unrolled: 1-line block ×16, first 2 shown]
	s_and_saveexec_b64 s[6:7], s[0:1]
	s_cbranch_execz .LBB119_9
; %bb.6:
	v_mov_b32_e32 v20, 0
	v_mov_b32_e32 v26, 0
	;; [unrolled: 1-line block ×8, first 2 shown]
	v_lshlrev_b32_e32 v28, 3, v14
	v_mov_b32_e32 v21, 0
	s_mov_b64 s[8:9], 0
	v_mov_b32_e32 v15, s11
	v_mov_b32_e32 v29, 0
	;; [unrolled: 1-line block ×12, first 2 shown]
.LBB119_7:                              ; =>This Inner Loop Header: Depth=1
	v_lshlrev_b64 v[35:36], 4, v[28:29]
	v_ashrrev_i32_e32 v31, 31, v30
	v_lshlrev_b64 v[37:38], 2, v[30:31]
	v_add_co_u32_e32 v43, vcc, s12, v35
	v_addc_co_u32_e32 v44, vcc, v33, v36, vcc
	v_add_co_u32_e32 v41, vcc, s10, v37
	v_addc_co_u32_e32 v42, vcc, v15, v38, vcc
	global_load_dwordx4 v[35:38], v[43:44], off
	global_load_dword v31, v[41:42], off
	v_mov_b32_e32 v40, v29
	v_add_u32_e32 v30, 32, v30
	v_add_u32_e32 v28, 0x100, v28
	s_waitcnt vmcnt(0)
	v_subrev_u32_e32 v31, s2, v31
	v_lshlrev_b32_e32 v39, 1, v31
	v_lshlrev_b64 v[39:40], 4, v[39:40]
	v_add_co_u32_e32 v45, vcc, s14, v39
	v_addc_co_u32_e32 v46, vcc, v34, v40, vcc
	global_load_dwordx4 v[39:42], v[45:46], off
	v_cmp_ge_i32_e32 vcc, v30, v32
	s_or_b64 s[8:9], vcc, s[8:9]
	s_waitcnt vmcnt(0)
	v_fma_f64 v[26:27], v[35:36], v[39:40], v[26:27]
	v_fma_f64 v[20:21], v[37:38], v[39:40], v[20:21]
	v_fma_f64 v[26:27], -v[37:38], v[41:42], v[26:27]
	v_fma_f64 v[47:48], v[35:36], v[41:42], v[20:21]
	global_load_dwordx4 v[35:38], v[43:44], off offset:16
	s_waitcnt vmcnt(0)
	v_fma_f64 v[20:21], v[35:36], v[39:40], v[24:25]
	v_fma_f64 v[22:23], v[37:38], v[39:40], v[22:23]
	v_fma_f64 v[24:25], -v[37:38], v[41:42], v[20:21]
	v_fma_f64 v[49:50], v[35:36], v[41:42], v[22:23]
	global_load_dwordx4 v[20:23], v[43:44], off offset:32
	s_waitcnt vmcnt(0)
	v_fma_f64 v[18:19], v[20:21], v[39:40], v[18:19]
	v_fma_f64 v[16:17], v[22:23], v[39:40], v[16:17]
	v_fma_f64 v[51:52], -v[22:23], v[41:42], v[18:19]
	v_fma_f64 v[53:54], v[20:21], v[41:42], v[16:17]
	global_load_dwordx4 v[16:19], v[43:44], off offset:48
	s_waitcnt vmcnt(0)
	v_fma_f64 v[12:13], v[16:17], v[39:40], v[12:13]
	v_fma_f64 v[10:11], v[18:19], v[39:40], v[10:11]
	v_fma_f64 v[18:19], -v[18:19], v[41:42], v[12:13]
	v_fma_f64 v[16:17], v[16:17], v[41:42], v[10:11]
	global_load_dwordx4 v[10:13], v[43:44], off offset:64
	global_load_dwordx4 v[35:38], v[45:46], off offset:16
	s_waitcnt vmcnt(0)
	v_fma_f64 v[20:21], v[10:11], v[35:36], v[26:27]
	v_fma_f64 v[22:23], v[12:13], v[35:36], v[47:48]
	v_fma_f64 v[26:27], -v[12:13], v[37:38], v[20:21]
	v_fma_f64 v[20:21], v[10:11], v[37:38], v[22:23]
	global_load_dwordx4 v[10:13], v[43:44], off offset:80
	s_waitcnt vmcnt(0)
	v_fma_f64 v[22:23], v[10:11], v[35:36], v[24:25]
	v_fma_f64 v[39:40], v[12:13], v[35:36], v[49:50]
	v_fma_f64 v[24:25], -v[12:13], v[37:38], v[22:23]
	v_fma_f64 v[22:23], v[10:11], v[37:38], v[39:40]
	global_load_dwordx4 v[10:13], v[43:44], off offset:96
	global_load_dwordx4 v[39:42], v[43:44], off offset:112
	s_waitcnt vmcnt(1)
	v_fma_f64 v[43:44], v[10:11], v[35:36], v[51:52]
	v_fma_f64 v[45:46], v[12:13], v[35:36], v[53:54]
	s_waitcnt vmcnt(0)
	v_fma_f64 v[47:48], v[39:40], v[35:36], v[18:19]
	v_fma_f64 v[35:36], v[41:42], v[35:36], v[16:17]
	v_fma_f64 v[18:19], -v[12:13], v[37:38], v[43:44]
	v_fma_f64 v[16:17], v[10:11], v[37:38], v[45:46]
	v_fma_f64 v[12:13], -v[41:42], v[37:38], v[47:48]
	v_fma_f64 v[10:11], v[39:40], v[37:38], v[35:36]
	s_andn2_b64 exec, exec, s[8:9]
	s_cbranch_execnz .LBB119_7
; %bb.8:
	s_or_b64 exec, exec, s[8:9]
.LBB119_9:
	s_or_b64 exec, exec, s[6:7]
	s_cbranch_execz .LBB119_11
	s_branch .LBB119_16
.LBB119_10:
                                        ; implicit-def: $vgpr20_vgpr21
                                        ; implicit-def: $vgpr26_vgpr27
                                        ; implicit-def: $vgpr12_vgpr13
                                        ; implicit-def: $vgpr10_vgpr11
                                        ; implicit-def: $vgpr18_vgpr19
                                        ; implicit-def: $vgpr16_vgpr17
                                        ; implicit-def: $vgpr24_vgpr25
                                        ; implicit-def: $vgpr22_vgpr23
.LBB119_11:
	v_mov_b32_e32 v20, 0
	v_mov_b32_e32 v26, 0
	;; [unrolled: 1-line block ×16, first 2 shown]
	s_and_saveexec_b64 s[6:7], s[0:1]
	s_cbranch_execz .LBB119_15
; %bb.12:
	v_mov_b32_e32 v20, 0
	v_mov_b32_e32 v26, 0
	;; [unrolled: 1-line block ×8, first 2 shown]
	v_lshlrev_b32_e32 v28, 3, v14
	v_mov_b32_e32 v21, 0
	s_mov_b64 s[0:1], 0
	v_mov_b32_e32 v30, s11
	v_mov_b32_e32 v29, 0
	;; [unrolled: 1-line block ×11, first 2 shown]
.LBB119_13:                             ; =>This Inner Loop Header: Depth=1
	v_lshlrev_b64 v[34:35], 4, v[28:29]
	v_ashrrev_i32_e32 v15, 31, v14
	v_lshlrev_b64 v[36:37], 2, v[14:15]
	v_add_co_u32_e32 v58, vcc, s12, v34
	v_addc_co_u32_e32 v59, vcc, v31, v35, vcc
	v_add_co_u32_e32 v44, vcc, s10, v36
	v_addc_co_u32_e32 v45, vcc, v30, v37, vcc
	global_load_dwordx4 v[34:37], v[58:59], off
	global_load_dwordx4 v[38:41], v[58:59], off offset:16
	global_load_dword v15, v[44:45], off
	v_mov_b32_e32 v43, v29
	v_add_u32_e32 v14, 32, v14
	v_add_u32_e32 v28, 0x100, v28
	s_waitcnt vmcnt(0)
	v_subrev_u32_e32 v15, s2, v15
	v_lshlrev_b32_e32 v42, 1, v15
	v_lshlrev_b64 v[42:43], 4, v[42:43]
	v_add_co_u32_e32 v50, vcc, s14, v42
	v_addc_co_u32_e32 v51, vcc, v33, v43, vcc
	global_load_dwordx4 v[42:45], v[50:51], off
	global_load_dwordx4 v[46:49], v[50:51], off offset:16
	v_cmp_ge_i32_e32 vcc, v14, v32
	s_or_b64 s[0:1], vcc, s[0:1]
	s_waitcnt vmcnt(1)
	v_fma_f64 v[26:27], v[34:35], v[42:43], v[26:27]
	v_fma_f64 v[20:21], v[36:37], v[42:43], v[20:21]
	v_fma_f64 v[26:27], -v[36:37], v[44:45], v[26:27]
	v_fma_f64 v[60:61], v[34:35], v[44:45], v[20:21]
	global_load_dwordx4 v[34:37], v[58:59], off offset:32
	global_load_dwordx4 v[50:53], v[58:59], off offset:48
	s_waitcnt vmcnt(1)
	v_fma_f64 v[20:21], v[34:35], v[42:43], v[24:25]
	v_fma_f64 v[22:23], v[36:37], v[42:43], v[22:23]
	v_fma_f64 v[24:25], -v[36:37], v[44:45], v[20:21]
	v_fma_f64 v[62:63], v[34:35], v[44:45], v[22:23]
	global_load_dwordx4 v[20:23], v[58:59], off offset:64
	global_load_dwordx4 v[34:37], v[58:59], off offset:80
	s_waitcnt vmcnt(2)
	v_fma_f64 v[24:25], v[50:51], v[46:47], v[24:25]
	v_fma_f64 v[24:25], -v[52:53], v[48:49], v[24:25]
	s_waitcnt vmcnt(1)
	v_fma_f64 v[18:19], v[20:21], v[42:43], v[18:19]
	v_fma_f64 v[15:16], v[22:23], v[42:43], v[16:17]
	v_fma_f64 v[22:23], -v[22:23], v[44:45], v[18:19]
	v_fma_f64 v[19:20], v[20:21], v[44:45], v[15:16]
	global_load_dwordx4 v[15:18], v[58:59], off offset:96
	global_load_dwordx4 v[54:57], v[58:59], off offset:112
	s_waitcnt vmcnt(2)
	v_fma_f64 v[58:59], v[36:37], v[46:47], v[19:20]
	s_waitcnt vmcnt(1)
	v_fma_f64 v[12:13], v[15:16], v[42:43], v[12:13]
	v_fma_f64 v[10:11], v[17:18], v[42:43], v[10:11]
	v_fma_f64 v[42:43], v[52:53], v[46:47], v[62:63]
	v_fma_f64 v[12:13], -v[17:18], v[44:45], v[12:13]
	v_fma_f64 v[10:11], v[15:16], v[44:45], v[10:11]
	v_fma_f64 v[15:16], v[38:39], v[46:47], v[26:27]
	v_fma_f64 v[17:18], v[40:41], v[46:47], v[60:61]
	v_fma_f64 v[44:45], v[34:35], v[46:47], v[22:23]
	v_fma_f64 v[22:23], v[50:51], v[48:49], v[42:43]
	s_waitcnt vmcnt(0)
	v_fma_f64 v[12:13], v[54:55], v[46:47], v[12:13]
	v_fma_f64 v[10:11], v[56:57], v[46:47], v[10:11]
	v_fma_f64 v[26:27], -v[40:41], v[48:49], v[15:16]
	v_fma_f64 v[20:21], v[38:39], v[48:49], v[17:18]
	v_fma_f64 v[18:19], -v[36:37], v[48:49], v[44:45]
	;; [unrolled: 2-line block ×3, first 2 shown]
	v_fma_f64 v[10:11], v[54:55], v[48:49], v[10:11]
	s_andn2_b64 exec, exec, s[0:1]
	s_cbranch_execnz .LBB119_13
; %bb.14:
	s_or_b64 exec, exec, s[0:1]
.LBB119_15:
	s_or_b64 exec, exec, s[6:7]
.LBB119_16:
	v_mov_b32_dpp v14, v26 row_shr:1 row_mask:0xf bank_mask:0xf
	v_mov_b32_dpp v15, v27 row_shr:1 row_mask:0xf bank_mask:0xf
	v_add_f64 v[14:15], v[26:27], v[14:15]
	v_mov_b32_dpp v26, v20 row_shr:1 row_mask:0xf bank_mask:0xf
	v_mov_b32_dpp v27, v21 row_shr:1 row_mask:0xf bank_mask:0xf
	v_add_f64 v[20:21], v[20:21], v[26:27]
	v_mov_b32_dpp v26, v24 row_shr:1 row_mask:0xf bank_mask:0xf
	v_mov_b32_dpp v29, v23 row_shr:1 row_mask:0xf bank_mask:0xf
	v_cmp_eq_u32_e32 vcc, 31, v0
	v_mov_b32_dpp v27, v14 row_shr:2 row_mask:0xf bank_mask:0xf
	v_mov_b32_dpp v28, v15 row_shr:2 row_mask:0xf bank_mask:0xf
	v_add_f64 v[14:15], v[14:15], v[27:28]
	v_mov_b32_dpp v27, v25 row_shr:1 row_mask:0xf bank_mask:0xf
	v_add_f64 v[24:25], v[24:25], v[26:27]
	v_mov_b32_dpp v26, v20 row_shr:2 row_mask:0xf bank_mask:0xf
	v_mov_b32_dpp v27, v21 row_shr:2 row_mask:0xf bank_mask:0xf
	v_mov_b32_dpp v28, v22 row_shr:1 row_mask:0xf bank_mask:0xf
	v_add_f64 v[20:21], v[20:21], v[26:27]
	v_add_f64 v[22:23], v[22:23], v[28:29]
	v_mov_b32_dpp v26, v14 row_shr:4 row_mask:0xf bank_mask:0xe
	v_mov_b32_dpp v27, v15 row_shr:4 row_mask:0xf bank_mask:0xe
	v_add_f64 v[14:15], v[14:15], v[26:27]
	v_mov_b32_dpp v26, v24 row_shr:2 row_mask:0xf bank_mask:0xf
	v_mov_b32_dpp v27, v25 row_shr:2 row_mask:0xf bank_mask:0xf
	;; [unrolled: 3-line block ×5, first 2 shown]
	v_mov_b32_dpp v29, v25 row_shr:4 row_mask:0xf bank_mask:0xe
	v_add_f64 v[24:25], v[24:25], v[28:29]
	v_mov_b32_dpp v27, v15 row_shr:8 row_mask:0xf bank_mask:0xc
	v_add_f64 v[14:15], v[14:15], v[26:27]
	v_mov_b32_dpp v26, v20 row_shr:8 row_mask:0xf bank_mask:0xc
	v_mov_b32_dpp v28, v22 row_shr:4 row_mask:0xf bank_mask:0xe
	;; [unrolled: 1-line block ×3, first 2 shown]
	v_add_f64 v[22:23], v[22:23], v[28:29]
	v_mov_b32_dpp v28, v18 row_shr:1 row_mask:0xf bank_mask:0xf
	v_mov_b32_dpp v29, v19 row_shr:1 row_mask:0xf bank_mask:0xf
	v_add_f64 v[28:29], v[18:19], v[28:29]
	v_mov_b32_dpp v27, v21 row_shr:8 row_mask:0xf bank_mask:0xc
	v_add_f64 v[18:19], v[20:21], v[26:27]
	v_mov_b32_dpp v20, v24 row_shr:8 row_mask:0xf bank_mask:0xc
	v_mov_b32_dpp v21, v25 row_shr:8 row_mask:0xf bank_mask:0xc
	v_add_f64 v[20:21], v[24:25], v[20:21]
	v_mov_b32_dpp v24, v22 row_shr:8 row_mask:0xf bank_mask:0xc
	;; [unrolled: 3-line block ×3, first 2 shown]
	v_mov_b32_dpp v25, v29 row_shr:2 row_mask:0xf bank_mask:0xf
	v_add_f64 v[32:33], v[28:29], v[24:25]
	v_mov_b32_dpp v30, v14 row_bcast:15 row_mask:0xa bank_mask:0xf
	v_mov_b32_dpp v31, v15 row_bcast:15 row_mask:0xa bank_mask:0xf
	;; [unrolled: 1-line block ×7, first 2 shown]
	v_mov_b32_dpp v34, v32 row_shr:4 row_mask:0xf bank_mask:0xe
	v_mov_b32_dpp v35, v33 row_shr:4 row_mask:0xf bank_mask:0xe
	v_add_f64 v[32:33], v[32:33], v[34:35]
	v_mov_b32_dpp v34, v16 row_shr:1 row_mask:0xf bank_mask:0xf
	v_mov_b32_dpp v35, v17 row_shr:1 row_mask:0xf bank_mask:0xf
	v_add_f64 v[16:17], v[16:17], v[34:35]
	;; [unrolled: 3-line block ×4, first 2 shown]
	v_mov_b32_dpp v34, v32 row_shr:8 row_mask:0xf bank_mask:0xc
	v_mov_b32_dpp v35, v16 row_shr:2 row_mask:0xf bank_mask:0xf
	;; [unrolled: 1-line block ×3, first 2 shown]
	v_add_f64 v[16:17], v[16:17], v[35:36]
	v_mov_b32_dpp v35, v12 row_shr:2 row_mask:0xf bank_mask:0xf
	v_mov_b32_dpp v36, v13 row_shr:2 row_mask:0xf bank_mask:0xf
	v_add_f64 v[12:13], v[12:13], v[35:36]
	v_mov_b32_dpp v35, v10 row_shr:2 row_mask:0xf bank_mask:0xf
	v_mov_b32_dpp v36, v11 row_shr:2 row_mask:0xf bank_mask:0xf
	;; [unrolled: 3-line block ×3, first 2 shown]
	v_mov_b32_dpp v37, v17 row_shr:4 row_mask:0xf bank_mask:0xe
	v_add_f64 v[16:17], v[16:17], v[36:37]
	v_mov_b32_dpp v36, v12 row_shr:4 row_mask:0xf bank_mask:0xe
	v_mov_b32_dpp v37, v13 row_shr:4 row_mask:0xf bank_mask:0xe
	v_add_f64 v[36:37], v[12:13], v[36:37]
	v_mov_b32_dpp v12, v10 row_shr:4 row_mask:0xf bank_mask:0xe
	v_mov_b32_dpp v13, v11 row_shr:4 row_mask:0xf bank_mask:0xe
	v_add_f64 v[10:11], v[10:11], v[12:13]
	v_add_f64 v[12:13], v[32:33], v[34:35]
	v_mov_b32_dpp v32, v16 row_shr:8 row_mask:0xf bank_mask:0xc
	v_mov_b32_dpp v33, v17 row_shr:8 row_mask:0xf bank_mask:0xc
	v_add_f64 v[34:35], v[16:17], v[32:33]
	v_mov_b32_dpp v16, v36 row_shr:8 row_mask:0xf bank_mask:0xc
	v_mov_b32_dpp v17, v37 row_shr:8 row_mask:0xf bank_mask:0xc
	;; [unrolled: 3-line block ×3, first 2 shown]
	v_add_f64 v[32:33], v[10:11], v[16:17]
	v_mov_b32_dpp v27, v23 row_bcast:15 row_mask:0xa bank_mask:0xf
	v_mov_b32_dpp v44, v12 row_bcast:15 row_mask:0xa bank_mask:0xf
	;; [unrolled: 1-line block ×9, first 2 shown]
	s_and_b64 exec, exec, vcc
	s_cbranch_execz .LBB119_21
; %bb.17:
	v_cmp_eq_f64_e32 vcc, 0, v[5:6]
	v_cmp_eq_f64_e64 s[0:1], 0, v[7:8]
	v_add_f64 v[16:17], v[14:15], v[30:31]
	v_add_f64 v[24:25], v[18:19], v[24:25]
	;; [unrolled: 1-line block ×8, first 2 shown]
	s_load_dwordx2 s[2:3], s[4:5], 0x48
	s_and_b64 s[0:1], vcc, s[0:1]
	s_and_saveexec_b64 s[4:5], s[0:1]
	s_xor_b64 s[0:1], exec, s[4:5]
	s_cbranch_execz .LBB119_19
; %bb.18:
	v_mul_f64 v[5:6], v[24:25], -v[3:4]
	v_mul_f64 v[7:8], v[1:2], v[24:25]
	v_mul_f64 v[26:27], v[22:23], -v[3:4]
	v_mul_f64 v[22:23], v[1:2], v[22:23]
	;; [unrolled: 2-line block ×4, first 2 shown]
	v_fma_f64 v[5:6], v[1:2], v[16:17], v[5:6]
	v_fma_f64 v[7:8], v[3:4], v[16:17], v[7:8]
	;; [unrolled: 1-line block ×4, first 2 shown]
	v_lshlrev_b32_e32 v24, 2, v9
	v_fma_f64 v[9:10], v[1:2], v[12:13], v[28:29]
	v_fma_f64 v[11:12], v[3:4], v[12:13], v[30:31]
	v_ashrrev_i32_e32 v25, 31, v24
	v_fma_f64 v[0:1], v[1:2], v[14:15], v[32:33]
	v_fma_f64 v[2:3], v[3:4], v[14:15], v[20:21]
	v_lshlrev_b64 v[24:25], 4, v[24:25]
	s_waitcnt lgkmcnt(0)
	v_mov_b32_e32 v34, s3
	v_add_co_u32_e32 v13, vcc, s2, v24
	v_addc_co_u32_e32 v14, vcc, v34, v25, vcc
	global_store_dwordx4 v[13:14], v[5:8], off
	global_store_dwordx4 v[13:14], v[16:19], off offset:16
	global_store_dwordx4 v[13:14], v[9:12], off offset:32
	;; [unrolled: 1-line block ×3, first 2 shown]
                                        ; implicit-def: $vgpr9
                                        ; implicit-def: $vgpr16_vgpr17
                                        ; implicit-def: $vgpr24_vgpr25
                                        ; implicit-def: $vgpr10_vgpr11
                                        ; implicit-def: $vgpr22_vgpr23
                                        ; implicit-def: $vgpr12_vgpr13
                                        ; implicit-def: $vgpr18_vgpr19
                                        ; implicit-def: $vgpr14_vgpr15
                                        ; implicit-def: $vgpr20_vgpr21
                                        ; implicit-def: $vgpr7_vgpr8
                                        ; implicit-def: $vgpr3_vgpr4
.LBB119_19:
	s_andn2_saveexec_b64 s[0:1], s[0:1]
	s_cbranch_execz .LBB119_21
; %bb.20:
	v_lshlrev_b32_e32 v26, 2, v9
	v_ashrrev_i32_e32 v27, 31, v26
	v_lshlrev_b64 v[26:27], 4, v[26:27]
	s_waitcnt lgkmcnt(0)
	v_mov_b32_e32 v0, s3
	v_add_co_u32_e32 v42, vcc, s2, v26
	v_addc_co_u32_e32 v43, vcc, v0, v27, vcc
	global_load_dwordx4 v[26:29], v[42:43], off
	global_load_dwordx4 v[30:33], v[42:43], off offset:16
	global_load_dwordx4 v[34:37], v[42:43], off offset:32
	;; [unrolled: 1-line block ×3, first 2 shown]
	v_mul_f64 v[44:45], v[24:25], -v[3:4]
	v_mul_f64 v[24:25], v[1:2], v[24:25]
	v_mul_f64 v[46:47], v[22:23], -v[3:4]
	v_mul_f64 v[22:23], v[1:2], v[22:23]
	;; [unrolled: 2-line block ×4, first 2 shown]
	v_fma_f64 v[44:45], v[1:2], v[16:17], v[44:45]
	v_fma_f64 v[16:17], v[3:4], v[16:17], v[24:25]
	;; [unrolled: 1-line block ×8, first 2 shown]
	s_waitcnt vmcnt(3)
	v_fma_f64 v[13:14], v[5:6], v[26:27], v[44:45]
	v_fma_f64 v[15:16], v[7:8], v[26:27], v[16:17]
	s_waitcnt vmcnt(2)
	v_fma_f64 v[17:18], v[5:6], v[30:31], v[24:25]
	v_fma_f64 v[19:20], v[7:8], v[30:31], v[9:10]
	;; [unrolled: 3-line block ×4, first 2 shown]
	v_fma_f64 v[0:1], -v[7:8], v[28:29], v[13:14]
	v_fma_f64 v[2:3], v[5:6], v[28:29], v[15:16]
	v_fma_f64 v[9:10], -v[7:8], v[32:33], v[17:18]
	v_fma_f64 v[11:12], v[5:6], v[32:33], v[19:20]
	;; [unrolled: 2-line block ×4, first 2 shown]
	global_store_dwordx4 v[42:43], v[0:3], off
	global_store_dwordx4 v[42:43], v[9:12], off offset:16
	global_store_dwordx4 v[42:43], v[13:16], off offset:32
	;; [unrolled: 1-line block ×3, first 2 shown]
.LBB119_21:
	s_endpgm
	.section	.rodata,"a",@progbits
	.p2align	6, 0x0
	.amdhsa_kernel _ZN9rocsparseL19gebsrmvn_4xn_kernelILj128ELj2ELj32E21rocsparse_complex_numIdEEEvi20rocsparse_direction_NS_24const_host_device_scalarIT2_EEPKiS8_PKS5_SA_S6_PS5_21rocsparse_index_base_b
		.amdhsa_group_segment_fixed_size 0
		.amdhsa_private_segment_fixed_size 0
		.amdhsa_kernarg_size 88
		.amdhsa_user_sgpr_count 6
		.amdhsa_user_sgpr_private_segment_buffer 1
		.amdhsa_user_sgpr_dispatch_ptr 0
		.amdhsa_user_sgpr_queue_ptr 0
		.amdhsa_user_sgpr_kernarg_segment_ptr 1
		.amdhsa_user_sgpr_dispatch_id 0
		.amdhsa_user_sgpr_flat_scratch_init 0
		.amdhsa_user_sgpr_private_segment_size 0
		.amdhsa_uses_dynamic_stack 0
		.amdhsa_system_sgpr_private_segment_wavefront_offset 0
		.amdhsa_system_sgpr_workgroup_id_x 1
		.amdhsa_system_sgpr_workgroup_id_y 0
		.amdhsa_system_sgpr_workgroup_id_z 0
		.amdhsa_system_sgpr_workgroup_info 0
		.amdhsa_system_vgpr_workitem_id 0
		.amdhsa_next_free_vgpr 64
		.amdhsa_next_free_sgpr 16
		.amdhsa_reserve_vcc 1
		.amdhsa_reserve_flat_scratch 0
		.amdhsa_float_round_mode_32 0
		.amdhsa_float_round_mode_16_64 0
		.amdhsa_float_denorm_mode_32 3
		.amdhsa_float_denorm_mode_16_64 3
		.amdhsa_dx10_clamp 1
		.amdhsa_ieee_mode 1
		.amdhsa_fp16_overflow 0
		.amdhsa_exception_fp_ieee_invalid_op 0
		.amdhsa_exception_fp_denorm_src 0
		.amdhsa_exception_fp_ieee_div_zero 0
		.amdhsa_exception_fp_ieee_overflow 0
		.amdhsa_exception_fp_ieee_underflow 0
		.amdhsa_exception_fp_ieee_inexact 0
		.amdhsa_exception_int_div_zero 0
	.end_amdhsa_kernel
	.section	.text._ZN9rocsparseL19gebsrmvn_4xn_kernelILj128ELj2ELj32E21rocsparse_complex_numIdEEEvi20rocsparse_direction_NS_24const_host_device_scalarIT2_EEPKiS8_PKS5_SA_S6_PS5_21rocsparse_index_base_b,"axG",@progbits,_ZN9rocsparseL19gebsrmvn_4xn_kernelILj128ELj2ELj32E21rocsparse_complex_numIdEEEvi20rocsparse_direction_NS_24const_host_device_scalarIT2_EEPKiS8_PKS5_SA_S6_PS5_21rocsparse_index_base_b,comdat
.Lfunc_end119:
	.size	_ZN9rocsparseL19gebsrmvn_4xn_kernelILj128ELj2ELj32E21rocsparse_complex_numIdEEEvi20rocsparse_direction_NS_24const_host_device_scalarIT2_EEPKiS8_PKS5_SA_S6_PS5_21rocsparse_index_base_b, .Lfunc_end119-_ZN9rocsparseL19gebsrmvn_4xn_kernelILj128ELj2ELj32E21rocsparse_complex_numIdEEEvi20rocsparse_direction_NS_24const_host_device_scalarIT2_EEPKiS8_PKS5_SA_S6_PS5_21rocsparse_index_base_b
                                        ; -- End function
	.set _ZN9rocsparseL19gebsrmvn_4xn_kernelILj128ELj2ELj32E21rocsparse_complex_numIdEEEvi20rocsparse_direction_NS_24const_host_device_scalarIT2_EEPKiS8_PKS5_SA_S6_PS5_21rocsparse_index_base_b.num_vgpr, 64
	.set _ZN9rocsparseL19gebsrmvn_4xn_kernelILj128ELj2ELj32E21rocsparse_complex_numIdEEEvi20rocsparse_direction_NS_24const_host_device_scalarIT2_EEPKiS8_PKS5_SA_S6_PS5_21rocsparse_index_base_b.num_agpr, 0
	.set _ZN9rocsparseL19gebsrmvn_4xn_kernelILj128ELj2ELj32E21rocsparse_complex_numIdEEEvi20rocsparse_direction_NS_24const_host_device_scalarIT2_EEPKiS8_PKS5_SA_S6_PS5_21rocsparse_index_base_b.numbered_sgpr, 16
	.set _ZN9rocsparseL19gebsrmvn_4xn_kernelILj128ELj2ELj32E21rocsparse_complex_numIdEEEvi20rocsparse_direction_NS_24const_host_device_scalarIT2_EEPKiS8_PKS5_SA_S6_PS5_21rocsparse_index_base_b.num_named_barrier, 0
	.set _ZN9rocsparseL19gebsrmvn_4xn_kernelILj128ELj2ELj32E21rocsparse_complex_numIdEEEvi20rocsparse_direction_NS_24const_host_device_scalarIT2_EEPKiS8_PKS5_SA_S6_PS5_21rocsparse_index_base_b.private_seg_size, 0
	.set _ZN9rocsparseL19gebsrmvn_4xn_kernelILj128ELj2ELj32E21rocsparse_complex_numIdEEEvi20rocsparse_direction_NS_24const_host_device_scalarIT2_EEPKiS8_PKS5_SA_S6_PS5_21rocsparse_index_base_b.uses_vcc, 1
	.set _ZN9rocsparseL19gebsrmvn_4xn_kernelILj128ELj2ELj32E21rocsparse_complex_numIdEEEvi20rocsparse_direction_NS_24const_host_device_scalarIT2_EEPKiS8_PKS5_SA_S6_PS5_21rocsparse_index_base_b.uses_flat_scratch, 0
	.set _ZN9rocsparseL19gebsrmvn_4xn_kernelILj128ELj2ELj32E21rocsparse_complex_numIdEEEvi20rocsparse_direction_NS_24const_host_device_scalarIT2_EEPKiS8_PKS5_SA_S6_PS5_21rocsparse_index_base_b.has_dyn_sized_stack, 0
	.set _ZN9rocsparseL19gebsrmvn_4xn_kernelILj128ELj2ELj32E21rocsparse_complex_numIdEEEvi20rocsparse_direction_NS_24const_host_device_scalarIT2_EEPKiS8_PKS5_SA_S6_PS5_21rocsparse_index_base_b.has_recursion, 0
	.set _ZN9rocsparseL19gebsrmvn_4xn_kernelILj128ELj2ELj32E21rocsparse_complex_numIdEEEvi20rocsparse_direction_NS_24const_host_device_scalarIT2_EEPKiS8_PKS5_SA_S6_PS5_21rocsparse_index_base_b.has_indirect_call, 0
	.section	.AMDGPU.csdata,"",@progbits
; Kernel info:
; codeLenInByte = 3144
; TotalNumSgprs: 20
; NumVgprs: 64
; ScratchSize: 0
; MemoryBound: 0
; FloatMode: 240
; IeeeMode: 1
; LDSByteSize: 0 bytes/workgroup (compile time only)
; SGPRBlocks: 2
; VGPRBlocks: 15
; NumSGPRsForWavesPerEU: 20
; NumVGPRsForWavesPerEU: 64
; Occupancy: 4
; WaveLimiterHint : 1
; COMPUTE_PGM_RSRC2:SCRATCH_EN: 0
; COMPUTE_PGM_RSRC2:USER_SGPR: 6
; COMPUTE_PGM_RSRC2:TRAP_HANDLER: 0
; COMPUTE_PGM_RSRC2:TGID_X_EN: 1
; COMPUTE_PGM_RSRC2:TGID_Y_EN: 0
; COMPUTE_PGM_RSRC2:TGID_Z_EN: 0
; COMPUTE_PGM_RSRC2:TIDIG_COMP_CNT: 0
	.section	.text._ZN9rocsparseL19gebsrmvn_4xn_kernelILj128ELj2ELj64E21rocsparse_complex_numIdEEEvi20rocsparse_direction_NS_24const_host_device_scalarIT2_EEPKiS8_PKS5_SA_S6_PS5_21rocsparse_index_base_b,"axG",@progbits,_ZN9rocsparseL19gebsrmvn_4xn_kernelILj128ELj2ELj64E21rocsparse_complex_numIdEEEvi20rocsparse_direction_NS_24const_host_device_scalarIT2_EEPKiS8_PKS5_SA_S6_PS5_21rocsparse_index_base_b,comdat
	.globl	_ZN9rocsparseL19gebsrmvn_4xn_kernelILj128ELj2ELj64E21rocsparse_complex_numIdEEEvi20rocsparse_direction_NS_24const_host_device_scalarIT2_EEPKiS8_PKS5_SA_S6_PS5_21rocsparse_index_base_b ; -- Begin function _ZN9rocsparseL19gebsrmvn_4xn_kernelILj128ELj2ELj64E21rocsparse_complex_numIdEEEvi20rocsparse_direction_NS_24const_host_device_scalarIT2_EEPKiS8_PKS5_SA_S6_PS5_21rocsparse_index_base_b
	.p2align	8
	.type	_ZN9rocsparseL19gebsrmvn_4xn_kernelILj128ELj2ELj64E21rocsparse_complex_numIdEEEvi20rocsparse_direction_NS_24const_host_device_scalarIT2_EEPKiS8_PKS5_SA_S6_PS5_21rocsparse_index_base_b,@function
_ZN9rocsparseL19gebsrmvn_4xn_kernelILj128ELj2ELj64E21rocsparse_complex_numIdEEEvi20rocsparse_direction_NS_24const_host_device_scalarIT2_EEPKiS8_PKS5_SA_S6_PS5_21rocsparse_index_base_b: ; @_ZN9rocsparseL19gebsrmvn_4xn_kernelILj128ELj2ELj64E21rocsparse_complex_numIdEEEvi20rocsparse_direction_NS_24const_host_device_scalarIT2_EEPKiS8_PKS5_SA_S6_PS5_21rocsparse_index_base_b
; %bb.0:
	s_load_dwordx2 s[0:1], s[4:5], 0x8
	s_load_dwordx2 s[8:9], s[4:5], 0x38
	;; [unrolled: 1-line block ×3, first 2 shown]
	s_add_u32 s7, s4, 8
	s_addc_u32 s10, s5, 0
	s_add_u32 s11, s4, 56
	s_addc_u32 s12, s5, 0
	s_waitcnt lgkmcnt(0)
	s_bitcmp1_b32 s3, 0
	s_cselect_b32 s1, s10, s1
	s_cselect_b32 s0, s7, s0
	v_mov_b32_e32 v1, s0
	v_mov_b32_e32 v2, s1
	flat_load_dwordx4 v[1:4], v[1:2]
	s_cselect_b32 s0, s12, s9
	s_cselect_b32 s1, s11, s8
	v_mov_b32_e32 v5, s1
	v_mov_b32_e32 v6, s0
	flat_load_dwordx4 v[5:8], v[5:6]
	s_waitcnt vmcnt(0) lgkmcnt(0)
	v_cmp_eq_f64_e32 vcc, 0, v[1:2]
	v_cmp_eq_f64_e64 s[0:1], 0, v[3:4]
	s_and_b64 s[10:11], vcc, s[0:1]
	s_mov_b64 s[0:1], -1
	s_and_saveexec_b64 s[8:9], s[10:11]
	s_cbranch_execz .LBB120_2
; %bb.1:
	v_cmp_neq_f64_e32 vcc, 1.0, v[5:6]
	v_cmp_neq_f64_e64 s[0:1], 0, v[7:8]
	s_or_b64 s[0:1], vcc, s[0:1]
	s_orn2_b64 s[0:1], s[0:1], exec
.LBB120_2:
	s_or_b64 exec, exec, s[8:9]
	s_and_saveexec_b64 s[8:9], s[0:1]
	s_cbranch_execz .LBB120_21
; %bb.3:
	s_load_dwordx2 s[0:1], s[4:5], 0x0
	v_lshrrev_b32_e32 v9, 6, v0
	v_lshl_or_b32 v9, s6, 1, v9
	s_waitcnt lgkmcnt(0)
	v_cmp_gt_i32_e32 vcc, s0, v9
	s_and_b64 exec, exec, vcc
	s_cbranch_execz .LBB120_21
; %bb.4:
	s_load_dwordx8 s[8:15], s[4:5], 0x18
	v_ashrrev_i32_e32 v10, 31, v9
	v_lshlrev_b64 v[10:11], 2, v[9:10]
	v_and_b32_e32 v0, 63, v0
	s_cmp_lg_u32 s1, 0
	s_waitcnt lgkmcnt(0)
	v_mov_b32_e32 v12, s9
	v_add_co_u32_e32 v10, vcc, s8, v10
	v_addc_co_u32_e32 v11, vcc, v12, v11, vcc
	global_load_dwordx2 v[10:11], v[10:11], off
	s_waitcnt vmcnt(0)
	v_subrev_u32_e32 v10, s2, v10
	v_subrev_u32_e32 v32, s2, v11
	v_add_u32_e32 v16, v10, v0
	v_cmp_lt_i32_e64 s[0:1], v16, v32
	s_cbranch_scc0 .LBB120_10
; %bb.5:
	v_mov_b32_e32 v20, 0
	v_mov_b32_e32 v26, 0
	;; [unrolled: 1-line block ×16, first 2 shown]
	s_and_saveexec_b64 s[6:7], s[0:1]
	s_cbranch_execz .LBB120_9
; %bb.6:
	v_mov_b32_e32 v20, 0
	v_mov_b32_e32 v26, 0
	;; [unrolled: 1-line block ×8, first 2 shown]
	v_lshlrev_b32_e32 v28, 3, v16
	v_mov_b32_e32 v21, 0
	s_mov_b64 s[8:9], 0
	v_mov_b32_e32 v17, s11
	v_mov_b32_e32 v29, 0
	;; [unrolled: 1-line block ×12, first 2 shown]
.LBB120_7:                              ; =>This Inner Loop Header: Depth=1
	v_lshlrev_b64 v[35:36], 4, v[28:29]
	v_ashrrev_i32_e32 v31, 31, v30
	v_lshlrev_b64 v[37:38], 2, v[30:31]
	v_add_co_u32_e32 v43, vcc, s12, v35
	v_addc_co_u32_e32 v44, vcc, v33, v36, vcc
	v_add_co_u32_e32 v41, vcc, s10, v37
	v_addc_co_u32_e32 v42, vcc, v17, v38, vcc
	global_load_dwordx4 v[35:38], v[43:44], off
	global_load_dword v31, v[41:42], off
	v_mov_b32_e32 v40, v29
	v_add_u32_e32 v30, 64, v30
	v_add_u32_e32 v28, 0x200, v28
	s_waitcnt vmcnt(0)
	v_subrev_u32_e32 v31, s2, v31
	v_lshlrev_b32_e32 v39, 1, v31
	v_lshlrev_b64 v[39:40], 4, v[39:40]
	v_add_co_u32_e32 v45, vcc, s14, v39
	v_addc_co_u32_e32 v46, vcc, v34, v40, vcc
	global_load_dwordx4 v[39:42], v[45:46], off
	v_cmp_ge_i32_e32 vcc, v30, v32
	s_or_b64 s[8:9], vcc, s[8:9]
	s_waitcnt vmcnt(0)
	v_fma_f64 v[26:27], v[35:36], v[39:40], v[26:27]
	v_fma_f64 v[20:21], v[37:38], v[39:40], v[20:21]
	v_fma_f64 v[26:27], -v[37:38], v[41:42], v[26:27]
	v_fma_f64 v[47:48], v[35:36], v[41:42], v[20:21]
	global_load_dwordx4 v[35:38], v[43:44], off offset:16
	s_waitcnt vmcnt(0)
	v_fma_f64 v[20:21], v[35:36], v[39:40], v[24:25]
	v_fma_f64 v[22:23], v[37:38], v[39:40], v[22:23]
	v_fma_f64 v[24:25], -v[37:38], v[41:42], v[20:21]
	v_fma_f64 v[49:50], v[35:36], v[41:42], v[22:23]
	global_load_dwordx4 v[20:23], v[43:44], off offset:32
	s_waitcnt vmcnt(0)
	v_fma_f64 v[18:19], v[20:21], v[39:40], v[18:19]
	v_fma_f64 v[14:15], v[22:23], v[39:40], v[14:15]
	v_fma_f64 v[51:52], -v[22:23], v[41:42], v[18:19]
	v_fma_f64 v[14:15], v[20:21], v[41:42], v[14:15]
	global_load_dwordx4 v[18:21], v[43:44], off offset:48
	s_waitcnt vmcnt(0)
	v_fma_f64 v[12:13], v[18:19], v[39:40], v[12:13]
	v_fma_f64 v[10:11], v[20:21], v[39:40], v[10:11]
	v_fma_f64 v[53:54], -v[20:21], v[41:42], v[12:13]
	v_fma_f64 v[18:19], v[18:19], v[41:42], v[10:11]
	global_load_dwordx4 v[10:13], v[43:44], off offset:64
	global_load_dwordx4 v[35:38], v[45:46], off offset:16
	s_waitcnt vmcnt(0)
	v_fma_f64 v[20:21], v[10:11], v[35:36], v[26:27]
	v_fma_f64 v[22:23], v[12:13], v[35:36], v[47:48]
	v_fma_f64 v[26:27], -v[12:13], v[37:38], v[20:21]
	v_fma_f64 v[20:21], v[10:11], v[37:38], v[22:23]
	global_load_dwordx4 v[10:13], v[43:44], off offset:80
	s_waitcnt vmcnt(0)
	v_fma_f64 v[22:23], v[10:11], v[35:36], v[24:25]
	v_fma_f64 v[39:40], v[12:13], v[35:36], v[49:50]
	v_fma_f64 v[24:25], -v[12:13], v[37:38], v[22:23]
	v_fma_f64 v[22:23], v[10:11], v[37:38], v[39:40]
	global_load_dwordx4 v[10:13], v[43:44], off offset:96
	global_load_dwordx4 v[39:42], v[43:44], off offset:112
	s_waitcnt vmcnt(1)
	v_fma_f64 v[43:44], v[10:11], v[35:36], v[51:52]
	v_fma_f64 v[14:15], v[12:13], v[35:36], v[14:15]
	s_waitcnt vmcnt(0)
	v_fma_f64 v[45:46], v[39:40], v[35:36], v[53:54]
	v_fma_f64 v[35:36], v[41:42], v[35:36], v[18:19]
	v_fma_f64 v[18:19], -v[12:13], v[37:38], v[43:44]
	v_fma_f64 v[14:15], v[10:11], v[37:38], v[14:15]
	v_fma_f64 v[12:13], -v[41:42], v[37:38], v[45:46]
	v_fma_f64 v[10:11], v[39:40], v[37:38], v[35:36]
	s_andn2_b64 exec, exec, s[8:9]
	s_cbranch_execnz .LBB120_7
; %bb.8:
	s_or_b64 exec, exec, s[8:9]
.LBB120_9:
	s_or_b64 exec, exec, s[6:7]
	s_cbranch_execz .LBB120_11
	s_branch .LBB120_16
.LBB120_10:
                                        ; implicit-def: $vgpr20_vgpr21
                                        ; implicit-def: $vgpr26_vgpr27
                                        ; implicit-def: $vgpr12_vgpr13
                                        ; implicit-def: $vgpr10_vgpr11
                                        ; implicit-def: $vgpr18_vgpr19
                                        ; implicit-def: $vgpr14_vgpr15
                                        ; implicit-def: $vgpr24_vgpr25
                                        ; implicit-def: $vgpr22_vgpr23
.LBB120_11:
	v_mov_b32_e32 v20, 0
	v_mov_b32_e32 v26, 0
	;; [unrolled: 1-line block ×16, first 2 shown]
	s_and_saveexec_b64 s[6:7], s[0:1]
	s_cbranch_execz .LBB120_15
; %bb.12:
	v_mov_b32_e32 v20, 0
	v_mov_b32_e32 v26, 0
	;; [unrolled: 1-line block ×8, first 2 shown]
	v_lshlrev_b32_e32 v28, 3, v16
	v_mov_b32_e32 v21, 0
	s_mov_b64 s[0:1], 0
	v_mov_b32_e32 v30, s11
	v_mov_b32_e32 v29, 0
	;; [unrolled: 1-line block ×11, first 2 shown]
.LBB120_13:                             ; =>This Inner Loop Header: Depth=1
	v_lshlrev_b64 v[34:35], 4, v[28:29]
	v_ashrrev_i32_e32 v17, 31, v16
	v_lshlrev_b64 v[36:37], 2, v[16:17]
	v_add_co_u32_e32 v58, vcc, s12, v34
	v_addc_co_u32_e32 v59, vcc, v31, v35, vcc
	v_add_co_u32_e32 v44, vcc, s10, v36
	v_addc_co_u32_e32 v45, vcc, v30, v37, vcc
	global_load_dwordx4 v[34:37], v[58:59], off
	global_load_dwordx4 v[38:41], v[58:59], off offset:16
	global_load_dword v17, v[44:45], off
	v_mov_b32_e32 v43, v29
	v_add_u32_e32 v16, 64, v16
	v_add_u32_e32 v28, 0x200, v28
	s_waitcnt vmcnt(0)
	v_subrev_u32_e32 v17, s2, v17
	v_lshlrev_b32_e32 v42, 1, v17
	v_lshlrev_b64 v[42:43], 4, v[42:43]
	v_add_co_u32_e32 v50, vcc, s14, v42
	v_addc_co_u32_e32 v51, vcc, v33, v43, vcc
	global_load_dwordx4 v[42:45], v[50:51], off
	global_load_dwordx4 v[46:49], v[50:51], off offset:16
	v_cmp_ge_i32_e32 vcc, v16, v32
	s_or_b64 s[0:1], vcc, s[0:1]
	s_waitcnt vmcnt(1)
	v_fma_f64 v[26:27], v[34:35], v[42:43], v[26:27]
	v_fma_f64 v[20:21], v[36:37], v[42:43], v[20:21]
	v_fma_f64 v[26:27], -v[36:37], v[44:45], v[26:27]
	v_fma_f64 v[60:61], v[34:35], v[44:45], v[20:21]
	global_load_dwordx4 v[34:37], v[58:59], off offset:32
	global_load_dwordx4 v[50:53], v[58:59], off offset:48
	s_waitcnt vmcnt(1)
	v_fma_f64 v[20:21], v[34:35], v[42:43], v[24:25]
	v_fma_f64 v[22:23], v[36:37], v[42:43], v[22:23]
	v_fma_f64 v[24:25], -v[36:37], v[44:45], v[20:21]
	v_fma_f64 v[62:63], v[34:35], v[44:45], v[22:23]
	global_load_dwordx4 v[20:23], v[58:59], off offset:64
	global_load_dwordx4 v[34:37], v[58:59], off offset:80
	s_waitcnt vmcnt(2)
	v_fma_f64 v[24:25], v[50:51], v[46:47], v[24:25]
	v_fma_f64 v[24:25], -v[52:53], v[48:49], v[24:25]
	s_waitcnt vmcnt(1)
	v_fma_f64 v[17:18], v[20:21], v[42:43], v[18:19]
	v_fma_f64 v[14:15], v[22:23], v[42:43], v[14:15]
	v_fma_f64 v[22:23], -v[22:23], v[44:45], v[17:18]
	v_fma_f64 v[14:15], v[20:21], v[44:45], v[14:15]
	global_load_dwordx4 v[17:20], v[58:59], off offset:96
	global_load_dwordx4 v[54:57], v[58:59], off offset:112
	s_waitcnt vmcnt(2)
	v_fma_f64 v[14:15], v[36:37], v[46:47], v[14:15]
	v_fma_f64 v[14:15], v[34:35], v[48:49], v[14:15]
	s_waitcnt vmcnt(1)
	v_fma_f64 v[12:13], v[17:18], v[42:43], v[12:13]
	v_fma_f64 v[10:11], v[19:20], v[42:43], v[10:11]
	;; [unrolled: 1-line block ×3, first 2 shown]
	v_fma_f64 v[12:13], -v[19:20], v[44:45], v[12:13]
	v_fma_f64 v[10:11], v[17:18], v[44:45], v[10:11]
	v_fma_f64 v[17:18], v[38:39], v[46:47], v[26:27]
	;; [unrolled: 1-line block ×5, first 2 shown]
	s_waitcnt vmcnt(0)
	v_fma_f64 v[12:13], v[54:55], v[46:47], v[12:13]
	v_fma_f64 v[10:11], v[56:57], v[46:47], v[10:11]
	v_fma_f64 v[26:27], -v[40:41], v[48:49], v[17:18]
	v_fma_f64 v[20:21], v[38:39], v[48:49], v[19:20]
	v_fma_f64 v[18:19], -v[36:37], v[48:49], v[44:45]
	v_fma_f64 v[12:13], -v[56:57], v[48:49], v[12:13]
	v_fma_f64 v[10:11], v[54:55], v[48:49], v[10:11]
	s_andn2_b64 exec, exec, s[0:1]
	s_cbranch_execnz .LBB120_13
; %bb.14:
	s_or_b64 exec, exec, s[0:1]
.LBB120_15:
	s_or_b64 exec, exec, s[6:7]
.LBB120_16:
	v_mov_b32_dpp v16, v26 row_shr:1 row_mask:0xf bank_mask:0xf
	v_mov_b32_dpp v17, v27 row_shr:1 row_mask:0xf bank_mask:0xf
	v_add_f64 v[16:17], v[26:27], v[16:17]
	v_mov_b32_dpp v26, v20 row_shr:1 row_mask:0xf bank_mask:0xf
	v_mov_b32_dpp v27, v21 row_shr:1 row_mask:0xf bank_mask:0xf
	v_add_f64 v[20:21], v[20:21], v[26:27]
	v_mov_b32_dpp v28, v22 row_shr:1 row_mask:0xf bank_mask:0xf
	v_mov_b32_dpp v29, v23 row_shr:1 row_mask:0xf bank_mask:0xf
	v_add_f64 v[22:23], v[22:23], v[28:29]
	v_mov_b32_dpp v36, v14 row_shr:1 row_mask:0xf bank_mask:0xf
	v_mov_b32_dpp v26, v16 row_shr:2 row_mask:0xf bank_mask:0xf
	v_mov_b32_dpp v27, v17 row_shr:2 row_mask:0xf bank_mask:0xf
	v_add_f64 v[16:17], v[16:17], v[26:27]
	v_mov_b32_dpp v26, v20 row_shr:2 row_mask:0xf bank_mask:0xf
	v_mov_b32_dpp v27, v21 row_shr:2 row_mask:0xf bank_mask:0xf
	v_add_f64 v[20:21], v[20:21], v[26:27]
	v_mov_b32_dpp v26, v24 row_shr:1 row_mask:0xf bank_mask:0xf
	v_mov_b32_dpp v27, v25 row_shr:1 row_mask:0xf bank_mask:0xf
	v_add_f64 v[24:25], v[24:25], v[26:27]
	v_mov_b32_dpp v37, v15 row_shr:1 row_mask:0xf bank_mask:0xf
	;; [unrolled: 10-line block ×3, first 2 shown]
	v_mov_b32_dpp v28, v16 row_shr:8 row_mask:0xf bank_mask:0xc
	v_mov_b32_dpp v29, v17 row_shr:8 row_mask:0xf bank_mask:0xc
	v_add_f64 v[16:17], v[16:17], v[28:29]
	v_mov_b32_dpp v27, v23 row_shr:2 row_mask:0xf bank_mask:0xf
	v_add_f64 v[22:23], v[22:23], v[26:27]
	v_mov_b32_dpp v28, v20 row_shr:8 row_mask:0xf bank_mask:0xc
	v_mov_b32_dpp v29, v21 row_shr:8 row_mask:0xf bank_mask:0xc
	v_add_f64 v[20:21], v[20:21], v[28:29]
	v_mov_b32_dpp v28, v25 row_shr:4 row_mask:0xf bank_mask:0xe
	v_add_f64 v[14:15], v[14:15], v[36:37]
	v_mov_b32_dpp v26, v16 row_bcast:15 row_mask:0xa bank_mask:0xf
	v_mov_b32_dpp v27, v17 row_bcast:15 row_mask:0xa bank_mask:0xf
	v_add_f64 v[16:17], v[16:17], v[26:27]
	v_mov_b32_dpp v36, v12 row_shr:1 row_mask:0xf bank_mask:0xf
	v_mov_b32_dpp v27, v24 row_shr:4 row_mask:0xf bank_mask:0xe
	v_add_f64 v[24:25], v[24:25], v[27:28]
	v_mov_b32_dpp v28, v23 row_shr:4 row_mask:0xf bank_mask:0xe
	v_mov_b32_dpp v27, v22 row_shr:4 row_mask:0xf bank_mask:0xe
	;; [unrolled: 3-line block ×3, first 2 shown]
	v_add_f64 v[18:19], v[18:19], v[27:28]
	v_mov_b32_dpp v26, v20 row_bcast:15 row_mask:0xa bank_mask:0xf
	v_mov_b32_dpp v28, v24 row_shr:8 row_mask:0xf bank_mask:0xc
	v_mov_b32_dpp v29, v25 row_shr:8 row_mask:0xf bank_mask:0xc
	v_add_f64 v[24:25], v[24:25], v[28:29]
	v_mov_b32_dpp v28, v22 row_shr:8 row_mask:0xf bank_mask:0xc
	v_mov_b32_dpp v29, v23 row_shr:8 row_mask:0xf bank_mask:0xc
	v_add_f64 v[22:23], v[22:23], v[28:29]
	;; [unrolled: 3-line block ×3, first 2 shown]
	v_mov_b32_dpp v27, v21 row_bcast:15 row_mask:0xa bank_mask:0xf
	v_add_f64 v[18:19], v[20:21], v[26:27]
	v_mov_b32_dpp v20, v24 row_bcast:15 row_mask:0xa bank_mask:0xf
	v_mov_b32_dpp v21, v25 row_bcast:15 row_mask:0xa bank_mask:0xf
	v_add_f64 v[20:21], v[24:25], v[20:21]
	v_mov_b32_dpp v24, v22 row_bcast:15 row_mask:0xa bank_mask:0xf
	v_mov_b32_dpp v25, v23 row_bcast:15 row_mask:0xa bank_mask:0xf
	v_add_f64 v[22:23], v[22:23], v[24:25]
	v_mov_b32_dpp v24, v28 row_shr:4 row_mask:0xf bank_mask:0xe
	v_mov_b32_dpp v25, v29 row_shr:4 row_mask:0xf bank_mask:0xe
	v_add_f64 v[32:33], v[28:29], v[24:25]
	v_mov_b32_dpp v37, v13 row_shr:1 row_mask:0xf bank_mask:0xf
	v_add_f64 v[12:13], v[12:13], v[36:37]
	v_mov_b32_dpp v36, v10 row_shr:1 row_mask:0xf bank_mask:0xf
	v_mov_b32_dpp v37, v11 row_shr:1 row_mask:0xf bank_mask:0xf
	v_add_f64 v[10:11], v[10:11], v[36:37]
	v_mov_b32_dpp v30, v16 row_bcast:31 row_mask:0xc bank_mask:0xf
	v_mov_b32_dpp v31, v17 row_bcast:31 row_mask:0xc bank_mask:0xf
	v_mov_b32_dpp v34, v32 row_shr:8 row_mask:0xf bank_mask:0xc
	v_mov_b32_dpp v35, v33 row_shr:8 row_mask:0xf bank_mask:0xc
	v_add_f64 v[32:33], v[32:33], v[34:35]
	v_mov_b32_dpp v34, v14 row_shr:2 row_mask:0xf bank_mask:0xf
	v_mov_b32_dpp v35, v15 row_shr:2 row_mask:0xf bank_mask:0xf
	v_add_f64 v[14:15], v[14:15], v[34:35]
	;; [unrolled: 3-line block ×4, first 2 shown]
	v_mov_b32_dpp v34, v32 row_bcast:15 row_mask:0xa bank_mask:0xf
	v_mov_b32_dpp v35, v14 row_shr:4 row_mask:0xf bank_mask:0xe
	v_mov_b32_dpp v36, v15 row_shr:4 row_mask:0xf bank_mask:0xe
	v_add_f64 v[14:15], v[14:15], v[35:36]
	v_mov_b32_dpp v35, v12 row_shr:4 row_mask:0xf bank_mask:0xe
	v_mov_b32_dpp v36, v13 row_shr:4 row_mask:0xf bank_mask:0xe
	v_add_f64 v[12:13], v[12:13], v[35:36]
	;; [unrolled: 3-line block ×3, first 2 shown]
	v_mov_b32_dpp v35, v33 row_bcast:15 row_mask:0xa bank_mask:0xf
	v_mov_b32_dpp v36, v14 row_shr:8 row_mask:0xf bank_mask:0xc
	v_mov_b32_dpp v37, v15 row_shr:8 row_mask:0xf bank_mask:0xc
	v_add_f64 v[14:15], v[14:15], v[36:37]
	v_mov_b32_dpp v36, v12 row_shr:8 row_mask:0xf bank_mask:0xc
	v_mov_b32_dpp v37, v13 row_shr:8 row_mask:0xf bank_mask:0xc
	v_add_f64 v[36:37], v[12:13], v[36:37]
	;; [unrolled: 3-line block ×3, first 2 shown]
	v_add_f64 v[12:13], v[32:33], v[34:35]
	v_mov_b32_dpp v32, v14 row_bcast:15 row_mask:0xa bank_mask:0xf
	v_mov_b32_dpp v33, v15 row_bcast:15 row_mask:0xa bank_mask:0xf
	v_add_f64 v[14:15], v[14:15], v[32:33]
	v_mov_b32_dpp v32, v36 row_bcast:15 row_mask:0xa bank_mask:0xf
	v_mov_b32_dpp v33, v37 row_bcast:15 row_mask:0xa bank_mask:0xf
	;; [unrolled: 3-line block ×4, first 2 shown]
	v_mov_b32_dpp v28, v20 row_bcast:31 row_mask:0xc bank_mask:0xf
	v_mov_b32_dpp v29, v21 row_bcast:31 row_mask:0xc bank_mask:0xf
	;; [unrolled: 1-line block ×12, first 2 shown]
	v_cmp_eq_u32_e32 vcc, 63, v0
	s_and_b64 exec, exec, vcc
	s_cbranch_execz .LBB120_21
; %bb.17:
	v_cmp_eq_f64_e32 vcc, 0, v[5:6]
	v_cmp_eq_f64_e64 s[0:1], 0, v[7:8]
	v_add_f64 v[16:17], v[16:17], v[30:31]
	v_add_f64 v[24:25], v[18:19], v[24:25]
	;; [unrolled: 1-line block ×8, first 2 shown]
	s_load_dwordx2 s[2:3], s[4:5], 0x48
	s_and_b64 s[0:1], vcc, s[0:1]
	s_and_saveexec_b64 s[4:5], s[0:1]
	s_xor_b64 s[0:1], exec, s[4:5]
	s_cbranch_execz .LBB120_19
; %bb.18:
	v_mul_f64 v[5:6], v[24:25], -v[3:4]
	v_mul_f64 v[7:8], v[1:2], v[24:25]
	v_mul_f64 v[26:27], v[22:23], -v[3:4]
	v_mul_f64 v[22:23], v[1:2], v[22:23]
	;; [unrolled: 2-line block ×4, first 2 shown]
	v_fma_f64 v[5:6], v[1:2], v[16:17], v[5:6]
	v_fma_f64 v[7:8], v[3:4], v[16:17], v[7:8]
	;; [unrolled: 1-line block ×4, first 2 shown]
	v_lshlrev_b32_e32 v24, 2, v9
	v_fma_f64 v[9:10], v[1:2], v[12:13], v[28:29]
	v_fma_f64 v[11:12], v[3:4], v[12:13], v[30:31]
	v_ashrrev_i32_e32 v25, 31, v24
	v_fma_f64 v[0:1], v[1:2], v[14:15], v[32:33]
	v_fma_f64 v[2:3], v[3:4], v[14:15], v[20:21]
	v_lshlrev_b64 v[24:25], 4, v[24:25]
	s_waitcnt lgkmcnt(0)
	v_mov_b32_e32 v34, s3
	v_add_co_u32_e32 v13, vcc, s2, v24
	v_addc_co_u32_e32 v14, vcc, v34, v25, vcc
	global_store_dwordx4 v[13:14], v[5:8], off
	global_store_dwordx4 v[13:14], v[16:19], off offset:16
	global_store_dwordx4 v[13:14], v[9:12], off offset:32
	;; [unrolled: 1-line block ×3, first 2 shown]
                                        ; implicit-def: $vgpr9
                                        ; implicit-def: $vgpr16_vgpr17
                                        ; implicit-def: $vgpr24_vgpr25
                                        ; implicit-def: $vgpr10_vgpr11
                                        ; implicit-def: $vgpr22_vgpr23
                                        ; implicit-def: $vgpr12_vgpr13
                                        ; implicit-def: $vgpr18_vgpr19
                                        ; implicit-def: $vgpr14_vgpr15
                                        ; implicit-def: $vgpr20_vgpr21
                                        ; implicit-def: $vgpr7_vgpr8
                                        ; implicit-def: $vgpr3_vgpr4
.LBB120_19:
	s_andn2_saveexec_b64 s[0:1], s[0:1]
	s_cbranch_execz .LBB120_21
; %bb.20:
	v_lshlrev_b32_e32 v26, 2, v9
	v_ashrrev_i32_e32 v27, 31, v26
	v_lshlrev_b64 v[26:27], 4, v[26:27]
	s_waitcnt lgkmcnt(0)
	v_mov_b32_e32 v0, s3
	v_add_co_u32_e32 v42, vcc, s2, v26
	v_addc_co_u32_e32 v43, vcc, v0, v27, vcc
	global_load_dwordx4 v[26:29], v[42:43], off
	global_load_dwordx4 v[30:33], v[42:43], off offset:16
	global_load_dwordx4 v[34:37], v[42:43], off offset:32
	;; [unrolled: 1-line block ×3, first 2 shown]
	v_mul_f64 v[44:45], v[24:25], -v[3:4]
	v_mul_f64 v[24:25], v[1:2], v[24:25]
	v_mul_f64 v[46:47], v[22:23], -v[3:4]
	v_mul_f64 v[22:23], v[1:2], v[22:23]
	;; [unrolled: 2-line block ×4, first 2 shown]
	v_fma_f64 v[44:45], v[1:2], v[16:17], v[44:45]
	v_fma_f64 v[16:17], v[3:4], v[16:17], v[24:25]
	;; [unrolled: 1-line block ×8, first 2 shown]
	s_waitcnt vmcnt(3)
	v_fma_f64 v[13:14], v[5:6], v[26:27], v[44:45]
	v_fma_f64 v[15:16], v[7:8], v[26:27], v[16:17]
	s_waitcnt vmcnt(2)
	v_fma_f64 v[17:18], v[5:6], v[30:31], v[24:25]
	v_fma_f64 v[19:20], v[7:8], v[30:31], v[9:10]
	;; [unrolled: 3-line block ×4, first 2 shown]
	v_fma_f64 v[0:1], -v[7:8], v[28:29], v[13:14]
	v_fma_f64 v[2:3], v[5:6], v[28:29], v[15:16]
	v_fma_f64 v[9:10], -v[7:8], v[32:33], v[17:18]
	v_fma_f64 v[11:12], v[5:6], v[32:33], v[19:20]
	;; [unrolled: 2-line block ×4, first 2 shown]
	global_store_dwordx4 v[42:43], v[0:3], off
	global_store_dwordx4 v[42:43], v[9:12], off offset:16
	global_store_dwordx4 v[42:43], v[13:16], off offset:32
	;; [unrolled: 1-line block ×3, first 2 shown]
.LBB120_21:
	s_endpgm
	.section	.rodata,"a",@progbits
	.p2align	6, 0x0
	.amdhsa_kernel _ZN9rocsparseL19gebsrmvn_4xn_kernelILj128ELj2ELj64E21rocsparse_complex_numIdEEEvi20rocsparse_direction_NS_24const_host_device_scalarIT2_EEPKiS8_PKS5_SA_S6_PS5_21rocsparse_index_base_b
		.amdhsa_group_segment_fixed_size 0
		.amdhsa_private_segment_fixed_size 0
		.amdhsa_kernarg_size 88
		.amdhsa_user_sgpr_count 6
		.amdhsa_user_sgpr_private_segment_buffer 1
		.amdhsa_user_sgpr_dispatch_ptr 0
		.amdhsa_user_sgpr_queue_ptr 0
		.amdhsa_user_sgpr_kernarg_segment_ptr 1
		.amdhsa_user_sgpr_dispatch_id 0
		.amdhsa_user_sgpr_flat_scratch_init 0
		.amdhsa_user_sgpr_private_segment_size 0
		.amdhsa_uses_dynamic_stack 0
		.amdhsa_system_sgpr_private_segment_wavefront_offset 0
		.amdhsa_system_sgpr_workgroup_id_x 1
		.amdhsa_system_sgpr_workgroup_id_y 0
		.amdhsa_system_sgpr_workgroup_id_z 0
		.amdhsa_system_sgpr_workgroup_info 0
		.amdhsa_system_vgpr_workitem_id 0
		.amdhsa_next_free_vgpr 64
		.amdhsa_next_free_sgpr 16
		.amdhsa_reserve_vcc 1
		.amdhsa_reserve_flat_scratch 0
		.amdhsa_float_round_mode_32 0
		.amdhsa_float_round_mode_16_64 0
		.amdhsa_float_denorm_mode_32 3
		.amdhsa_float_denorm_mode_16_64 3
		.amdhsa_dx10_clamp 1
		.amdhsa_ieee_mode 1
		.amdhsa_fp16_overflow 0
		.amdhsa_exception_fp_ieee_invalid_op 0
		.amdhsa_exception_fp_denorm_src 0
		.amdhsa_exception_fp_ieee_div_zero 0
		.amdhsa_exception_fp_ieee_overflow 0
		.amdhsa_exception_fp_ieee_underflow 0
		.amdhsa_exception_fp_ieee_inexact 0
		.amdhsa_exception_int_div_zero 0
	.end_amdhsa_kernel
	.section	.text._ZN9rocsparseL19gebsrmvn_4xn_kernelILj128ELj2ELj64E21rocsparse_complex_numIdEEEvi20rocsparse_direction_NS_24const_host_device_scalarIT2_EEPKiS8_PKS5_SA_S6_PS5_21rocsparse_index_base_b,"axG",@progbits,_ZN9rocsparseL19gebsrmvn_4xn_kernelILj128ELj2ELj64E21rocsparse_complex_numIdEEEvi20rocsparse_direction_NS_24const_host_device_scalarIT2_EEPKiS8_PKS5_SA_S6_PS5_21rocsparse_index_base_b,comdat
.Lfunc_end120:
	.size	_ZN9rocsparseL19gebsrmvn_4xn_kernelILj128ELj2ELj64E21rocsparse_complex_numIdEEEvi20rocsparse_direction_NS_24const_host_device_scalarIT2_EEPKiS8_PKS5_SA_S6_PS5_21rocsparse_index_base_b, .Lfunc_end120-_ZN9rocsparseL19gebsrmvn_4xn_kernelILj128ELj2ELj64E21rocsparse_complex_numIdEEEvi20rocsparse_direction_NS_24const_host_device_scalarIT2_EEPKiS8_PKS5_SA_S6_PS5_21rocsparse_index_base_b
                                        ; -- End function
	.set _ZN9rocsparseL19gebsrmvn_4xn_kernelILj128ELj2ELj64E21rocsparse_complex_numIdEEEvi20rocsparse_direction_NS_24const_host_device_scalarIT2_EEPKiS8_PKS5_SA_S6_PS5_21rocsparse_index_base_b.num_vgpr, 64
	.set _ZN9rocsparseL19gebsrmvn_4xn_kernelILj128ELj2ELj64E21rocsparse_complex_numIdEEEvi20rocsparse_direction_NS_24const_host_device_scalarIT2_EEPKiS8_PKS5_SA_S6_PS5_21rocsparse_index_base_b.num_agpr, 0
	.set _ZN9rocsparseL19gebsrmvn_4xn_kernelILj128ELj2ELj64E21rocsparse_complex_numIdEEEvi20rocsparse_direction_NS_24const_host_device_scalarIT2_EEPKiS8_PKS5_SA_S6_PS5_21rocsparse_index_base_b.numbered_sgpr, 16
	.set _ZN9rocsparseL19gebsrmvn_4xn_kernelILj128ELj2ELj64E21rocsparse_complex_numIdEEEvi20rocsparse_direction_NS_24const_host_device_scalarIT2_EEPKiS8_PKS5_SA_S6_PS5_21rocsparse_index_base_b.num_named_barrier, 0
	.set _ZN9rocsparseL19gebsrmvn_4xn_kernelILj128ELj2ELj64E21rocsparse_complex_numIdEEEvi20rocsparse_direction_NS_24const_host_device_scalarIT2_EEPKiS8_PKS5_SA_S6_PS5_21rocsparse_index_base_b.private_seg_size, 0
	.set _ZN9rocsparseL19gebsrmvn_4xn_kernelILj128ELj2ELj64E21rocsparse_complex_numIdEEEvi20rocsparse_direction_NS_24const_host_device_scalarIT2_EEPKiS8_PKS5_SA_S6_PS5_21rocsparse_index_base_b.uses_vcc, 1
	.set _ZN9rocsparseL19gebsrmvn_4xn_kernelILj128ELj2ELj64E21rocsparse_complex_numIdEEEvi20rocsparse_direction_NS_24const_host_device_scalarIT2_EEPKiS8_PKS5_SA_S6_PS5_21rocsparse_index_base_b.uses_flat_scratch, 0
	.set _ZN9rocsparseL19gebsrmvn_4xn_kernelILj128ELj2ELj64E21rocsparse_complex_numIdEEEvi20rocsparse_direction_NS_24const_host_device_scalarIT2_EEPKiS8_PKS5_SA_S6_PS5_21rocsparse_index_base_b.has_dyn_sized_stack, 0
	.set _ZN9rocsparseL19gebsrmvn_4xn_kernelILj128ELj2ELj64E21rocsparse_complex_numIdEEEvi20rocsparse_direction_NS_24const_host_device_scalarIT2_EEPKiS8_PKS5_SA_S6_PS5_21rocsparse_index_base_b.has_recursion, 0
	.set _ZN9rocsparseL19gebsrmvn_4xn_kernelILj128ELj2ELj64E21rocsparse_complex_numIdEEEvi20rocsparse_direction_NS_24const_host_device_scalarIT2_EEPKiS8_PKS5_SA_S6_PS5_21rocsparse_index_base_b.has_indirect_call, 0
	.section	.AMDGPU.csdata,"",@progbits
; Kernel info:
; codeLenInByte = 3336
; TotalNumSgprs: 20
; NumVgprs: 64
; ScratchSize: 0
; MemoryBound: 0
; FloatMode: 240
; IeeeMode: 1
; LDSByteSize: 0 bytes/workgroup (compile time only)
; SGPRBlocks: 2
; VGPRBlocks: 15
; NumSGPRsForWavesPerEU: 20
; NumVGPRsForWavesPerEU: 64
; Occupancy: 4
; WaveLimiterHint : 1
; COMPUTE_PGM_RSRC2:SCRATCH_EN: 0
; COMPUTE_PGM_RSRC2:USER_SGPR: 6
; COMPUTE_PGM_RSRC2:TRAP_HANDLER: 0
; COMPUTE_PGM_RSRC2:TGID_X_EN: 1
; COMPUTE_PGM_RSRC2:TGID_Y_EN: 0
; COMPUTE_PGM_RSRC2:TGID_Z_EN: 0
; COMPUTE_PGM_RSRC2:TIDIG_COMP_CNT: 0
	.section	.text._ZN9rocsparseL19gebsrmvn_4xn_kernelILj128ELj3ELj4E21rocsparse_complex_numIdEEEvi20rocsparse_direction_NS_24const_host_device_scalarIT2_EEPKiS8_PKS5_SA_S6_PS5_21rocsparse_index_base_b,"axG",@progbits,_ZN9rocsparseL19gebsrmvn_4xn_kernelILj128ELj3ELj4E21rocsparse_complex_numIdEEEvi20rocsparse_direction_NS_24const_host_device_scalarIT2_EEPKiS8_PKS5_SA_S6_PS5_21rocsparse_index_base_b,comdat
	.globl	_ZN9rocsparseL19gebsrmvn_4xn_kernelILj128ELj3ELj4E21rocsparse_complex_numIdEEEvi20rocsparse_direction_NS_24const_host_device_scalarIT2_EEPKiS8_PKS5_SA_S6_PS5_21rocsparse_index_base_b ; -- Begin function _ZN9rocsparseL19gebsrmvn_4xn_kernelILj128ELj3ELj4E21rocsparse_complex_numIdEEEvi20rocsparse_direction_NS_24const_host_device_scalarIT2_EEPKiS8_PKS5_SA_S6_PS5_21rocsparse_index_base_b
	.p2align	8
	.type	_ZN9rocsparseL19gebsrmvn_4xn_kernelILj128ELj3ELj4E21rocsparse_complex_numIdEEEvi20rocsparse_direction_NS_24const_host_device_scalarIT2_EEPKiS8_PKS5_SA_S6_PS5_21rocsparse_index_base_b,@function
_ZN9rocsparseL19gebsrmvn_4xn_kernelILj128ELj3ELj4E21rocsparse_complex_numIdEEEvi20rocsparse_direction_NS_24const_host_device_scalarIT2_EEPKiS8_PKS5_SA_S6_PS5_21rocsparse_index_base_b: ; @_ZN9rocsparseL19gebsrmvn_4xn_kernelILj128ELj3ELj4E21rocsparse_complex_numIdEEEvi20rocsparse_direction_NS_24const_host_device_scalarIT2_EEPKiS8_PKS5_SA_S6_PS5_21rocsparse_index_base_b
; %bb.0:
	s_load_dwordx2 s[0:1], s[4:5], 0x8
	s_load_dwordx2 s[2:3], s[4:5], 0x38
	;; [unrolled: 1-line block ×3, first 2 shown]
	s_add_u32 s7, s4, 8
	s_addc_u32 s8, s5, 0
	s_add_u32 s9, s4, 56
	s_addc_u32 s10, s5, 0
	s_waitcnt lgkmcnt(0)
	s_bitcmp1_b32 s17, 0
	s_cselect_b32 s1, s8, s1
	s_cselect_b32 s0, s7, s0
	v_mov_b32_e32 v1, s0
	v_mov_b32_e32 v2, s1
	flat_load_dwordx4 v[1:4], v[1:2]
	s_cselect_b32 s0, s10, s3
	s_cselect_b32 s1, s9, s2
	v_mov_b32_e32 v5, s1
	v_mov_b32_e32 v6, s0
	flat_load_dwordx4 v[5:8], v[5:6]
	s_waitcnt vmcnt(0) lgkmcnt(0)
	v_cmp_eq_f64_e32 vcc, 0, v[1:2]
	v_cmp_eq_f64_e64 s[0:1], 0, v[3:4]
	s_and_b64 s[8:9], vcc, s[0:1]
	s_mov_b64 s[0:1], -1
	s_and_saveexec_b64 s[2:3], s[8:9]
	s_cbranch_execz .LBB121_2
; %bb.1:
	v_cmp_neq_f64_e32 vcc, 1.0, v[5:6]
	v_cmp_neq_f64_e64 s[0:1], 0, v[7:8]
	s_or_b64 s[0:1], vcc, s[0:1]
	s_orn2_b64 s[0:1], s[0:1], exec
.LBB121_2:
	s_or_b64 exec, exec, s[2:3]
	s_and_saveexec_b64 s[2:3], s[0:1]
	s_cbranch_execz .LBB121_21
; %bb.3:
	s_load_dwordx2 s[0:1], s[4:5], 0x0
	v_lshrrev_b32_e32 v9, 2, v0
	v_lshl_or_b32 v9, s6, 5, v9
	s_waitcnt lgkmcnt(0)
	v_cmp_gt_i32_e32 vcc, s0, v9
	s_and_b64 exec, exec, vcc
	s_cbranch_execz .LBB121_21
; %bb.4:
	s_load_dwordx8 s[8:15], s[4:5], 0x18
	v_ashrrev_i32_e32 v10, 31, v9
	v_lshlrev_b64 v[10:11], 2, v[9:10]
	v_and_b32_e32 v0, 3, v0
	s_cmp_lg_u32 s1, 0
	s_waitcnt lgkmcnt(0)
	v_mov_b32_e32 v12, s9
	v_add_co_u32_e32 v10, vcc, s8, v10
	v_addc_co_u32_e32 v11, vcc, v12, v11, vcc
	global_load_dwordx2 v[10:11], v[10:11], off
	s_waitcnt vmcnt(0)
	v_subrev_u32_e32 v10, s16, v10
	v_subrev_u32_e32 v32, s16, v11
	v_add_u32_e32 v10, v10, v0
	v_cmp_lt_i32_e64 s[0:1], v10, v32
	s_cbranch_scc0 .LBB121_10
; %bb.5:
	v_mov_b32_e32 v18, 0
	v_mov_b32_e32 v26, 0
	;; [unrolled: 1-line block ×16, first 2 shown]
	s_and_saveexec_b64 s[6:7], s[0:1]
	s_cbranch_execz .LBB121_9
; %bb.6:
	v_mul_lo_u32 v28, v10, 12
	v_mov_b32_e32 v18, 0
	v_mov_b32_e32 v26, 0
	;; [unrolled: 1-line block ×9, first 2 shown]
	s_mov_b64 s[8:9], 0
	v_mov_b32_e32 v11, s11
	v_mov_b32_e32 v29, 0
	;; [unrolled: 1-line block ×12, first 2 shown]
.LBB121_7:                              ; =>This Inner Loop Header: Depth=1
	v_ashrrev_i32_e32 v31, 31, v30
	v_lshlrev_b64 v[35:36], 4, v[28:29]
	v_lshlrev_b64 v[37:38], 2, v[30:31]
	v_add_co_u32_e32 v45, vcc, s12, v35
	v_add_co_u32_e64 v39, s[2:3], s10, v37
	v_addc_co_u32_e32 v46, vcc, v33, v36, vcc
	v_addc_co_u32_e64 v40, vcc, v11, v38, s[2:3]
	global_load_dwordx4 v[35:38], v[45:46], off
	global_load_dword v31, v[39:40], off
	v_mov_b32_e32 v44, v29
	v_add_u32_e32 v30, 4, v30
	s_waitcnt vmcnt(0)
	v_subrev_u32_e32 v31, s16, v31
	v_lshl_add_u32 v43, v31, 1, v31
	v_lshlrev_b64 v[39:40], 4, v[43:44]
	v_add_co_u32_e32 v39, vcc, s14, v39
	v_addc_co_u32_e32 v40, vcc, v34, v40, vcc
	global_load_dwordx4 v[39:42], v[39:40], off
	s_waitcnt vmcnt(0)
	v_fma_f64 v[26:27], v[35:36], v[39:40], v[26:27]
	v_fma_f64 v[18:19], v[37:38], v[39:40], v[18:19]
	v_fma_f64 v[26:27], -v[37:38], v[41:42], v[26:27]
	v_fma_f64 v[47:48], v[35:36], v[41:42], v[18:19]
	global_load_dwordx4 v[35:38], v[45:46], off offset:16
	s_waitcnt vmcnt(0)
	v_fma_f64 v[18:19], v[35:36], v[39:40], v[20:21]
	v_fma_f64 v[16:17], v[37:38], v[39:40], v[16:17]
	v_fma_f64 v[20:21], -v[37:38], v[41:42], v[18:19]
	v_fma_f64 v[35:36], v[35:36], v[41:42], v[16:17]
	global_load_dwordx4 v[16:19], v[45:46], off offset:32
	v_add_u32_e32 v37, 4, v28
	v_mov_b32_e32 v38, v29
	s_waitcnt vmcnt(0)
	v_fma_f64 v[24:25], v[16:17], v[39:40], v[24:25]
	v_fma_f64 v[22:23], v[18:19], v[39:40], v[22:23]
	v_fma_f64 v[24:25], -v[18:19], v[41:42], v[24:25]
	v_fma_f64 v[22:23], v[16:17], v[41:42], v[22:23]
	global_load_dwordx4 v[16:19], v[45:46], off offset:48
	s_waitcnt vmcnt(0)
	v_fma_f64 v[12:13], v[16:17], v[39:40], v[12:13]
	v_fma_f64 v[14:15], v[18:19], v[39:40], v[14:15]
	v_fma_f64 v[39:40], -v[18:19], v[41:42], v[12:13]
	v_lshlrev_b64 v[12:13], 4, v[37:38]
	v_fma_f64 v[41:42], v[16:17], v[41:42], v[14:15]
	v_mov_b32_e32 v17, v29
	v_add_u32_e32 v16, 1, v43
	v_add_co_u32_e32 v37, vcc, s12, v12
	v_lshlrev_b64 v[16:17], 4, v[16:17]
	v_addc_co_u32_e32 v38, vcc, v33, v13, vcc
	v_add_co_u32_e32 v16, vcc, s14, v16
	v_addc_co_u32_e32 v17, vcc, v34, v17, vcc
	global_load_dwordx4 v[12:15], v[37:38], off
	s_nop 0
	global_load_dwordx4 v[16:19], v[16:17], off
	s_waitcnt vmcnt(0)
	v_fma_f64 v[26:27], v[12:13], v[16:17], v[26:27]
	v_fma_f64 v[44:45], v[14:15], v[16:17], v[47:48]
	v_fma_f64 v[26:27], -v[14:15], v[18:19], v[26:27]
	v_fma_f64 v[44:45], v[12:13], v[18:19], v[44:45]
	global_load_dwordx4 v[12:15], v[37:38], off offset:16
	s_waitcnt vmcnt(0)
	v_fma_f64 v[20:21], v[12:13], v[16:17], v[20:21]
	v_fma_f64 v[35:36], v[14:15], v[16:17], v[35:36]
	v_fma_f64 v[20:21], -v[14:15], v[18:19], v[20:21]
	v_fma_f64 v[46:47], v[12:13], v[18:19], v[35:36]
	global_load_dwordx4 v[12:15], v[37:38], off offset:32
	v_add_u32_e32 v35, 8, v28
	v_mov_b32_e32 v36, v29
	v_add_u32_e32 v28, 48, v28
	s_waitcnt vmcnt(0)
	v_fma_f64 v[24:25], v[12:13], v[16:17], v[24:25]
	v_fma_f64 v[22:23], v[14:15], v[16:17], v[22:23]
	v_fma_f64 v[24:25], -v[14:15], v[18:19], v[24:25]
	v_fma_f64 v[22:23], v[12:13], v[18:19], v[22:23]
	global_load_dwordx4 v[12:15], v[37:38], off offset:48
	s_waitcnt vmcnt(0)
	v_fma_f64 v[37:38], v[12:13], v[16:17], v[39:40]
	v_fma_f64 v[16:17], v[14:15], v[16:17], v[41:42]
	v_fma_f64 v[48:49], -v[14:15], v[18:19], v[37:38]
	v_fma_f64 v[50:51], v[12:13], v[18:19], v[16:17]
	v_lshlrev_b64 v[12:13], 4, v[35:36]
	v_mov_b32_e32 v17, v29
	v_add_u32_e32 v16, 2, v43
	v_add_co_u32_e32 v52, vcc, s12, v12
	v_lshlrev_b64 v[16:17], 4, v[16:17]
	v_addc_co_u32_e32 v53, vcc, v33, v13, vcc
	v_add_co_u32_e32 v16, vcc, s14, v16
	v_addc_co_u32_e32 v17, vcc, v34, v17, vcc
	global_load_dwordx4 v[12:15], v[52:53], off
	global_load_dwordx4 v[35:38], v[16:17], off
	v_cmp_ge_i32_e32 vcc, v30, v32
	s_or_b64 s[8:9], vcc, s[8:9]
	s_waitcnt vmcnt(0)
	v_fma_f64 v[16:17], v[12:13], v[35:36], v[26:27]
	v_fma_f64 v[18:19], v[14:15], v[35:36], v[44:45]
	v_fma_f64 v[26:27], -v[14:15], v[37:38], v[16:17]
	v_fma_f64 v[18:19], v[12:13], v[37:38], v[18:19]
	global_load_dwordx4 v[12:15], v[52:53], off offset:16
	s_waitcnt vmcnt(0)
	v_fma_f64 v[16:17], v[12:13], v[35:36], v[20:21]
	v_fma_f64 v[39:40], v[14:15], v[35:36], v[46:47]
	v_fma_f64 v[20:21], -v[14:15], v[37:38], v[16:17]
	v_fma_f64 v[16:17], v[12:13], v[37:38], v[39:40]
	global_load_dwordx4 v[12:15], v[52:53], off offset:32
	global_load_dwordx4 v[39:42], v[52:53], off offset:48
	s_waitcnt vmcnt(1)
	v_fma_f64 v[24:25], v[12:13], v[35:36], v[24:25]
	v_fma_f64 v[22:23], v[14:15], v[35:36], v[22:23]
	s_waitcnt vmcnt(0)
	v_fma_f64 v[43:44], v[39:40], v[35:36], v[48:49]
	v_fma_f64 v[35:36], v[41:42], v[35:36], v[50:51]
	v_fma_f64 v[24:25], -v[14:15], v[37:38], v[24:25]
	v_fma_f64 v[22:23], v[12:13], v[37:38], v[22:23]
	v_fma_f64 v[12:13], -v[41:42], v[37:38], v[43:44]
	v_fma_f64 v[14:15], v[39:40], v[37:38], v[35:36]
	s_andn2_b64 exec, exec, s[8:9]
	s_cbranch_execnz .LBB121_7
; %bb.8:
	s_or_b64 exec, exec, s[8:9]
.LBB121_9:
	s_or_b64 exec, exec, s[6:7]
	s_cbranch_execz .LBB121_11
	s_branch .LBB121_16
.LBB121_10:
                                        ; implicit-def: $vgpr18_vgpr19
                                        ; implicit-def: $vgpr26_vgpr27
                                        ; implicit-def: $vgpr12_vgpr13
                                        ; implicit-def: $vgpr14_vgpr15
                                        ; implicit-def: $vgpr24_vgpr25
                                        ; implicit-def: $vgpr22_vgpr23
                                        ; implicit-def: $vgpr20_vgpr21
                                        ; implicit-def: $vgpr16_vgpr17
.LBB121_11:
	v_mov_b32_e32 v18, 0
	v_mov_b32_e32 v26, 0
	;; [unrolled: 1-line block ×16, first 2 shown]
	s_and_saveexec_b64 s[2:3], s[0:1]
	s_cbranch_execz .LBB121_15
; %bb.12:
	v_mad_u64_u32 v[28:29], s[0:1], v10, 12, 11
	v_mov_b32_e32 v18, 0
	v_mov_b32_e32 v26, 0
	v_mov_b32_e32 v12, 0
	v_mov_b32_e32 v14, 0
	v_mov_b32_e32 v24, 0
	v_mov_b32_e32 v22, 0
	v_mov_b32_e32 v20, 0
	v_mov_b32_e32 v16, 0
	v_mov_b32_e32 v19, 0
	s_mov_b64 s[0:1], 0
	v_mov_b32_e32 v33, s11
	v_mov_b32_e32 v31, 0
	;; [unrolled: 1-line block ×11, first 2 shown]
.LBB121_13:                             ; =>This Inner Loop Header: Depth=1
	v_ashrrev_i32_e32 v11, 31, v10
	v_lshlrev_b64 v[36:37], 2, v[10:11]
	v_add_u32_e32 v30, -11, v28
	v_lshlrev_b64 v[29:30], 4, v[30:31]
	v_add_co_u32_e32 v44, vcc, s10, v36
	v_addc_co_u32_e32 v45, vcc, v33, v37, vcc
	v_add_co_u32_e32 v29, vcc, s12, v29
	v_addc_co_u32_e32 v30, vcc, v34, v30, vcc
	global_load_dword v11, v[44:45], off
	global_load_dwordx4 v[36:39], v[29:30], off
	global_load_dwordx4 v[40:43], v[29:30], off offset:16
	v_mov_b32_e32 v53, v31
	v_add_u32_e32 v10, 4, v10
	s_waitcnt vmcnt(2)
	v_subrev_u32_e32 v11, s16, v11
	v_lshl_add_u32 v52, v11, 1, v11
	v_lshlrev_b64 v[44:45], 4, v[52:53]
	v_add_co_u32_e32 v44, vcc, s14, v44
	v_addc_co_u32_e32 v45, vcc, v35, v45, vcc
	global_load_dwordx4 v[44:47], v[44:45], off
	s_waitcnt vmcnt(0)
	v_fma_f64 v[26:27], v[36:37], v[44:45], v[26:27]
	v_fma_f64 v[18:19], v[38:39], v[44:45], v[18:19]
	v_fma_f64 v[26:27], -v[38:39], v[46:47], v[26:27]
	v_fma_f64 v[53:54], v[36:37], v[46:47], v[18:19]
	global_load_dwordx4 v[36:39], v[29:30], off offset:48
	global_load_dwordx4 v[48:51], v[29:30], off offset:32
	s_waitcnt vmcnt(1)
	v_fma_f64 v[16:17], v[38:39], v[44:45], v[16:17]
	v_fma_f64 v[18:19], v[36:37], v[44:45], v[20:21]
	;; [unrolled: 1-line block ×3, first 2 shown]
	v_add_u32_e32 v16, -5, v28
	v_mov_b32_e32 v17, v31
	v_lshlrev_b64 v[16:17], 4, v[16:17]
	v_fma_f64 v[55:56], -v[38:39], v[46:47], v[18:19]
	v_add_co_u32_e32 v20, vcc, s12, v16
	v_addc_co_u32_e32 v21, vcc, v34, v17, vcc
	v_add_u32_e32 v16, -2, v28
	v_mov_b32_e32 v17, v31
	v_lshlrev_b64 v[16:17], 4, v[16:17]
	v_add_co_u32_e32 v29, vcc, s12, v16
	v_addc_co_u32_e32 v30, vcc, v34, v17, vcc
	global_load_dwordx4 v[16:19], v[20:21], off
	global_load_dwordx4 v[36:39], v[29:30], off
	v_add_u32_e32 v30, 1, v52
	v_mov_b32_e32 v29, v31
	s_waitcnt vmcnt(1)
	v_fma_f64 v[20:21], v[16:17], v[44:45], v[24:25]
	s_waitcnt vmcnt(0)
	v_fma_f64 v[11:12], v[36:37], v[44:45], v[12:13]
	v_fma_f64 v[22:23], v[18:19], v[44:45], v[22:23]
	;; [unrolled: 1-line block ×3, first 2 shown]
	v_fma_f64 v[24:25], -v[18:19], v[46:47], v[20:21]
	v_fma_f64 v[44:45], -v[38:39], v[46:47], v[11:12]
	v_lshlrev_b64 v[11:12], 4, v[30:31]
	v_add_u32_e32 v30, -7, v28
	v_fma_f64 v[59:60], v[16:17], v[46:47], v[22:23]
	v_fma_f64 v[46:47], v[36:37], v[46:47], v[13:14]
	v_lshlrev_b64 v[13:14], 4, v[30:31]
	v_add_co_u32_e32 v11, vcc, s14, v11
	v_addc_co_u32_e32 v12, vcc, v35, v12, vcc
	v_add_co_u32_e32 v15, vcc, s12, v13
	v_addc_co_u32_e32 v16, vcc, v34, v14, vcc
	global_load_dwordx4 v[11:14], v[11:12], off
	v_add_u32_e32 v30, -4, v28
	v_lshlrev_b64 v[19:20], 4, v[30:31]
	v_add_u32_e32 v30, -1, v28
	v_add_co_u32_e32 v19, vcc, s12, v19
	v_addc_co_u32_e32 v20, vcc, v34, v20, vcc
	s_waitcnt vmcnt(0)
	v_fma_f64 v[17:18], v[40:41], v[11:12], v[26:27]
	v_fma_f64 v[21:22], v[42:43], v[11:12], v[53:54]
	v_fma_f64 v[26:27], -v[42:43], v[13:14], v[17:18]
	global_load_dwordx4 v[15:18], v[15:16], off
	v_fma_f64 v[40:41], v[40:41], v[13:14], v[21:22]
	global_load_dwordx4 v[19:22], v[19:20], off
	s_waitcnt vmcnt(1)
	v_fma_f64 v[38:39], v[17:18], v[11:12], v[57:58]
	v_fma_f64 v[36:37], v[15:16], v[11:12], v[55:56]
	;; [unrolled: 1-line block ×3, first 2 shown]
	v_lshlrev_b64 v[15:16], 4, v[28:29]
	v_fma_f64 v[53:54], -v[17:18], v[13:14], v[36:37]
	v_add_co_u32_e32 v15, vcc, s12, v15
	v_addc_co_u32_e32 v16, vcc, v34, v16, vcc
	global_load_dwordx4 v[36:39], v[15:16], off
	s_waitcnt vmcnt(1)
	v_fma_f64 v[15:16], v[19:20], v[11:12], v[24:25]
	v_lshlrev_b64 v[17:18], 4, v[30:31]
	v_fma_f64 v[23:24], v[21:22], v[11:12], v[59:60]
	v_add_u32_e32 v30, 2, v52
	v_fma_f64 v[57:58], -v[21:22], v[13:14], v[15:16]
	v_add_co_u32_e32 v15, vcc, s12, v17
	v_addc_co_u32_e32 v16, vcc, v34, v18, vcc
	global_load_dwordx4 v[15:18], v[15:16], off
	v_fma_f64 v[20:21], v[19:20], v[13:14], v[23:24]
	v_lshlrev_b64 v[22:23], 4, v[30:31]
	v_add_u32_e32 v30, -6, v28
	s_waitcnt vmcnt(0)
	v_fma_f64 v[24:25], v[15:16], v[11:12], v[44:45]
	v_fma_f64 v[11:12], v[17:18], v[11:12], v[46:47]
	v_fma_f64 v[44:45], -v[17:18], v[13:14], v[24:25]
	v_fma_f64 v[16:17], v[15:16], v[13:14], v[11:12]
	v_add_co_u32_e32 v11, vcc, s14, v22
	v_addc_co_u32_e32 v12, vcc, v35, v23, vcc
	global_load_dwordx4 v[12:15], v[11:12], off
	v_lshlrev_b64 v[18:19], 4, v[30:31]
	v_add_u32_e32 v30, -3, v28
	v_lshlrev_b64 v[22:23], 4, v[30:31]
	v_add_co_u32_e32 v18, vcc, s12, v18
	v_addc_co_u32_e32 v19, vcc, v34, v19, vcc
	v_add_co_u32_e32 v29, vcc, s12, v22
	v_addc_co_u32_e32 v30, vcc, v34, v23, vcc
	global_load_dwordx4 v[22:25], v[18:19], off
	v_cmp_ge_i32_e32 vcc, v10, v32
	s_or_b64 s[0:1], vcc, s[0:1]
	v_add_u32_e32 v28, 48, v28
	s_waitcnt vmcnt(1)
	v_fma_f64 v[18:19], v[48:49], v[12:13], v[26:27]
	v_fma_f64 v[40:41], v[50:51], v[12:13], v[40:41]
	;; [unrolled: 1-line block ×3, first 2 shown]
	v_fma_f64 v[26:27], -v[50:51], v[14:15], v[18:19]
	v_fma_f64 v[18:19], v[48:49], v[14:15], v[40:41]
	global_load_dwordx4 v[40:43], v[29:30], off
	s_waitcnt vmcnt(1)
	v_fma_f64 v[29:30], v[22:23], v[12:13], v[53:54]
	v_fma_f64 v[46:47], v[24:25], v[12:13], v[55:56]
	;; [unrolled: 1-line block ×4, first 2 shown]
	s_waitcnt vmcnt(0)
	v_fma_f64 v[48:49], v[40:41], v[12:13], v[57:58]
	v_fma_f64 v[50:51], v[42:43], v[12:13], v[20:21]
	v_fma_f64 v[20:21], -v[24:25], v[14:15], v[29:30]
	v_fma_f64 v[12:13], -v[38:39], v[14:15], v[44:45]
	;; [unrolled: 1-line block ×3, first 2 shown]
	v_fma_f64 v[22:23], v[40:41], v[14:15], v[50:51]
	v_fma_f64 v[14:15], v[36:37], v[14:15], v[52:53]
	s_andn2_b64 exec, exec, s[0:1]
	s_cbranch_execnz .LBB121_13
; %bb.14:
	s_or_b64 exec, exec, s[0:1]
.LBB121_15:
	s_or_b64 exec, exec, s[2:3]
.LBB121_16:
	v_mov_b32_dpp v10, v26 row_shr:1 row_mask:0xf bank_mask:0xf
	v_mov_b32_dpp v11, v27 row_shr:1 row_mask:0xf bank_mask:0xf
	;; [unrolled: 1-line block ×4, first 2 shown]
	v_add_f64 v[10:11], v[26:27], v[10:11]
	v_mov_b32_dpp v26, v18 row_shr:1 row_mask:0xf bank_mask:0xf
	v_mov_b32_dpp v27, v19 row_shr:1 row_mask:0xf bank_mask:0xf
	v_add_f64 v[34:35], v[24:25], v[34:35]
	v_mov_b32_dpp v24, v22 row_shr:1 row_mask:0xf bank_mask:0xf
	v_mov_b32_dpp v25, v23 row_shr:1 row_mask:0xf bank_mask:0xf
	;; [unrolled: 3-line block ×6, first 2 shown]
	v_add_f64 v[26:27], v[16:17], v[26:27]
	v_add_f64 v[40:41], v[14:15], v[12:13]
	v_mov_b32_dpp v16, v10 row_shr:2 row_mask:0xf bank_mask:0xf
	v_mov_b32_dpp v17, v11 row_shr:2 row_mask:0xf bank_mask:0xf
	v_mov_b32_dpp v32, v18 row_shr:2 row_mask:0xf bank_mask:0xf
	v_mov_b32_dpp v33, v19 row_shr:2 row_mask:0xf bank_mask:0xf
	v_mov_b32_dpp v30, v20 row_shr:2 row_mask:0xf bank_mask:0xf
	v_mov_b32_dpp v31, v21 row_shr:2 row_mask:0xf bank_mask:0xf
	v_mov_b32_dpp v28, v26 row_shr:2 row_mask:0xf bank_mask:0xf
	v_mov_b32_dpp v29, v27 row_shr:2 row_mask:0xf bank_mask:0xf
	v_mov_b32_dpp v12, v34 row_shr:2 row_mask:0xf bank_mask:0xf
	v_mov_b32_dpp v13, v35 row_shr:2 row_mask:0xf bank_mask:0xf
	v_mov_b32_dpp v44, v36 row_shr:2 row_mask:0xf bank_mask:0xf
	v_mov_b32_dpp v45, v37 row_shr:2 row_mask:0xf bank_mask:0xf
	v_mov_b32_dpp v14, v38 row_shr:2 row_mask:0xf bank_mask:0xf
	v_mov_b32_dpp v15, v39 row_shr:2 row_mask:0xf bank_mask:0xf
	v_mov_b32_dpp v42, v40 row_shr:2 row_mask:0xf bank_mask:0xf
	v_mov_b32_dpp v43, v41 row_shr:2 row_mask:0xf bank_mask:0xf
	v_cmp_eq_u32_e32 vcc, 3, v0
	s_and_b64 exec, exec, vcc
	s_cbranch_execz .LBB121_21
; %bb.17:
	v_cmp_eq_f64_e32 vcc, 0, v[5:6]
	v_cmp_eq_f64_e64 s[0:1], 0, v[7:8]
	v_add_f64 v[16:17], v[10:11], v[16:17]
	v_add_f64 v[24:25], v[18:19], v[32:33]
	;; [unrolled: 1-line block ×8, first 2 shown]
	s_load_dwordx2 s[2:3], s[4:5], 0x48
	s_and_b64 s[0:1], vcc, s[0:1]
	s_and_saveexec_b64 s[4:5], s[0:1]
	s_xor_b64 s[0:1], exec, s[4:5]
	s_cbranch_execz .LBB121_19
; %bb.18:
	v_mul_f64 v[5:6], v[24:25], -v[3:4]
	v_mul_f64 v[7:8], v[1:2], v[24:25]
	v_mul_f64 v[26:27], v[22:23], -v[3:4]
	v_mul_f64 v[22:23], v[1:2], v[22:23]
	v_mul_f64 v[28:29], v[18:19], -v[3:4]
	v_mul_f64 v[30:31], v[1:2], v[18:19]
	v_mul_f64 v[32:33], v[20:21], -v[3:4]
	v_mul_f64 v[20:21], v[1:2], v[20:21]
	v_fma_f64 v[5:6], v[1:2], v[16:17], v[5:6]
	v_fma_f64 v[7:8], v[3:4], v[16:17], v[7:8]
	;; [unrolled: 1-line block ×4, first 2 shown]
	v_lshlrev_b32_e32 v24, 2, v9
	v_fma_f64 v[9:10], v[1:2], v[12:13], v[28:29]
	v_fma_f64 v[11:12], v[3:4], v[12:13], v[30:31]
	v_ashrrev_i32_e32 v25, 31, v24
	v_fma_f64 v[0:1], v[1:2], v[14:15], v[32:33]
	v_fma_f64 v[2:3], v[3:4], v[14:15], v[20:21]
	v_lshlrev_b64 v[24:25], 4, v[24:25]
	s_waitcnt lgkmcnt(0)
	v_mov_b32_e32 v34, s3
	v_add_co_u32_e32 v13, vcc, s2, v24
	v_addc_co_u32_e32 v14, vcc, v34, v25, vcc
	global_store_dwordx4 v[13:14], v[5:8], off
	global_store_dwordx4 v[13:14], v[16:19], off offset:16
	global_store_dwordx4 v[13:14], v[9:12], off offset:32
	;; [unrolled: 1-line block ×3, first 2 shown]
                                        ; implicit-def: $vgpr9
                                        ; implicit-def: $vgpr16_vgpr17
                                        ; implicit-def: $vgpr24_vgpr25
                                        ; implicit-def: $vgpr10_vgpr11
                                        ; implicit-def: $vgpr22_vgpr23
                                        ; implicit-def: $vgpr12_vgpr13
                                        ; implicit-def: $vgpr18_vgpr19
                                        ; implicit-def: $vgpr14_vgpr15
                                        ; implicit-def: $vgpr20_vgpr21
                                        ; implicit-def: $vgpr7_vgpr8
                                        ; implicit-def: $vgpr3_vgpr4
.LBB121_19:
	s_andn2_saveexec_b64 s[0:1], s[0:1]
	s_cbranch_execz .LBB121_21
; %bb.20:
	v_lshlrev_b32_e32 v26, 2, v9
	v_ashrrev_i32_e32 v27, 31, v26
	v_lshlrev_b64 v[26:27], 4, v[26:27]
	s_waitcnt lgkmcnt(0)
	v_mov_b32_e32 v0, s3
	v_add_co_u32_e32 v42, vcc, s2, v26
	v_addc_co_u32_e32 v43, vcc, v0, v27, vcc
	global_load_dwordx4 v[26:29], v[42:43], off
	global_load_dwordx4 v[30:33], v[42:43], off offset:16
	global_load_dwordx4 v[34:37], v[42:43], off offset:32
	;; [unrolled: 1-line block ×3, first 2 shown]
	v_mul_f64 v[44:45], v[24:25], -v[3:4]
	v_mul_f64 v[24:25], v[1:2], v[24:25]
	v_mul_f64 v[46:47], v[22:23], -v[3:4]
	v_mul_f64 v[22:23], v[1:2], v[22:23]
	;; [unrolled: 2-line block ×4, first 2 shown]
	v_fma_f64 v[44:45], v[1:2], v[16:17], v[44:45]
	v_fma_f64 v[16:17], v[3:4], v[16:17], v[24:25]
	;; [unrolled: 1-line block ×8, first 2 shown]
	s_waitcnt vmcnt(3)
	v_fma_f64 v[13:14], v[5:6], v[26:27], v[44:45]
	v_fma_f64 v[15:16], v[7:8], v[26:27], v[16:17]
	s_waitcnt vmcnt(2)
	v_fma_f64 v[17:18], v[5:6], v[30:31], v[24:25]
	v_fma_f64 v[19:20], v[7:8], v[30:31], v[9:10]
	;; [unrolled: 3-line block ×4, first 2 shown]
	v_fma_f64 v[0:1], -v[7:8], v[28:29], v[13:14]
	v_fma_f64 v[2:3], v[5:6], v[28:29], v[15:16]
	v_fma_f64 v[9:10], -v[7:8], v[32:33], v[17:18]
	v_fma_f64 v[11:12], v[5:6], v[32:33], v[19:20]
	;; [unrolled: 2-line block ×4, first 2 shown]
	global_store_dwordx4 v[42:43], v[0:3], off
	global_store_dwordx4 v[42:43], v[9:12], off offset:16
	global_store_dwordx4 v[42:43], v[13:16], off offset:32
	;; [unrolled: 1-line block ×3, first 2 shown]
.LBB121_21:
	s_endpgm
	.section	.rodata,"a",@progbits
	.p2align	6, 0x0
	.amdhsa_kernel _ZN9rocsparseL19gebsrmvn_4xn_kernelILj128ELj3ELj4E21rocsparse_complex_numIdEEEvi20rocsparse_direction_NS_24const_host_device_scalarIT2_EEPKiS8_PKS5_SA_S6_PS5_21rocsparse_index_base_b
		.amdhsa_group_segment_fixed_size 0
		.amdhsa_private_segment_fixed_size 0
		.amdhsa_kernarg_size 88
		.amdhsa_user_sgpr_count 6
		.amdhsa_user_sgpr_private_segment_buffer 1
		.amdhsa_user_sgpr_dispatch_ptr 0
		.amdhsa_user_sgpr_queue_ptr 0
		.amdhsa_user_sgpr_kernarg_segment_ptr 1
		.amdhsa_user_sgpr_dispatch_id 0
		.amdhsa_user_sgpr_flat_scratch_init 0
		.amdhsa_user_sgpr_private_segment_size 0
		.amdhsa_uses_dynamic_stack 0
		.amdhsa_system_sgpr_private_segment_wavefront_offset 0
		.amdhsa_system_sgpr_workgroup_id_x 1
		.amdhsa_system_sgpr_workgroup_id_y 0
		.amdhsa_system_sgpr_workgroup_id_z 0
		.amdhsa_system_sgpr_workgroup_info 0
		.amdhsa_system_vgpr_workitem_id 0
		.amdhsa_next_free_vgpr 61
		.amdhsa_next_free_sgpr 18
		.amdhsa_reserve_vcc 1
		.amdhsa_reserve_flat_scratch 0
		.amdhsa_float_round_mode_32 0
		.amdhsa_float_round_mode_16_64 0
		.amdhsa_float_denorm_mode_32 3
		.amdhsa_float_denorm_mode_16_64 3
		.amdhsa_dx10_clamp 1
		.amdhsa_ieee_mode 1
		.amdhsa_fp16_overflow 0
		.amdhsa_exception_fp_ieee_invalid_op 0
		.amdhsa_exception_fp_denorm_src 0
		.amdhsa_exception_fp_ieee_div_zero 0
		.amdhsa_exception_fp_ieee_overflow 0
		.amdhsa_exception_fp_ieee_underflow 0
		.amdhsa_exception_fp_ieee_inexact 0
		.amdhsa_exception_int_div_zero 0
	.end_amdhsa_kernel
	.section	.text._ZN9rocsparseL19gebsrmvn_4xn_kernelILj128ELj3ELj4E21rocsparse_complex_numIdEEEvi20rocsparse_direction_NS_24const_host_device_scalarIT2_EEPKiS8_PKS5_SA_S6_PS5_21rocsparse_index_base_b,"axG",@progbits,_ZN9rocsparseL19gebsrmvn_4xn_kernelILj128ELj3ELj4E21rocsparse_complex_numIdEEEvi20rocsparse_direction_NS_24const_host_device_scalarIT2_EEPKiS8_PKS5_SA_S6_PS5_21rocsparse_index_base_b,comdat
.Lfunc_end121:
	.size	_ZN9rocsparseL19gebsrmvn_4xn_kernelILj128ELj3ELj4E21rocsparse_complex_numIdEEEvi20rocsparse_direction_NS_24const_host_device_scalarIT2_EEPKiS8_PKS5_SA_S6_PS5_21rocsparse_index_base_b, .Lfunc_end121-_ZN9rocsparseL19gebsrmvn_4xn_kernelILj128ELj3ELj4E21rocsparse_complex_numIdEEEvi20rocsparse_direction_NS_24const_host_device_scalarIT2_EEPKiS8_PKS5_SA_S6_PS5_21rocsparse_index_base_b
                                        ; -- End function
	.set _ZN9rocsparseL19gebsrmvn_4xn_kernelILj128ELj3ELj4E21rocsparse_complex_numIdEEEvi20rocsparse_direction_NS_24const_host_device_scalarIT2_EEPKiS8_PKS5_SA_S6_PS5_21rocsparse_index_base_b.num_vgpr, 61
	.set _ZN9rocsparseL19gebsrmvn_4xn_kernelILj128ELj3ELj4E21rocsparse_complex_numIdEEEvi20rocsparse_direction_NS_24const_host_device_scalarIT2_EEPKiS8_PKS5_SA_S6_PS5_21rocsparse_index_base_b.num_agpr, 0
	.set _ZN9rocsparseL19gebsrmvn_4xn_kernelILj128ELj3ELj4E21rocsparse_complex_numIdEEEvi20rocsparse_direction_NS_24const_host_device_scalarIT2_EEPKiS8_PKS5_SA_S6_PS5_21rocsparse_index_base_b.numbered_sgpr, 18
	.set _ZN9rocsparseL19gebsrmvn_4xn_kernelILj128ELj3ELj4E21rocsparse_complex_numIdEEEvi20rocsparse_direction_NS_24const_host_device_scalarIT2_EEPKiS8_PKS5_SA_S6_PS5_21rocsparse_index_base_b.num_named_barrier, 0
	.set _ZN9rocsparseL19gebsrmvn_4xn_kernelILj128ELj3ELj4E21rocsparse_complex_numIdEEEvi20rocsparse_direction_NS_24const_host_device_scalarIT2_EEPKiS8_PKS5_SA_S6_PS5_21rocsparse_index_base_b.private_seg_size, 0
	.set _ZN9rocsparseL19gebsrmvn_4xn_kernelILj128ELj3ELj4E21rocsparse_complex_numIdEEEvi20rocsparse_direction_NS_24const_host_device_scalarIT2_EEPKiS8_PKS5_SA_S6_PS5_21rocsparse_index_base_b.uses_vcc, 1
	.set _ZN9rocsparseL19gebsrmvn_4xn_kernelILj128ELj3ELj4E21rocsparse_complex_numIdEEEvi20rocsparse_direction_NS_24const_host_device_scalarIT2_EEPKiS8_PKS5_SA_S6_PS5_21rocsparse_index_base_b.uses_flat_scratch, 0
	.set _ZN9rocsparseL19gebsrmvn_4xn_kernelILj128ELj3ELj4E21rocsparse_complex_numIdEEEvi20rocsparse_direction_NS_24const_host_device_scalarIT2_EEPKiS8_PKS5_SA_S6_PS5_21rocsparse_index_base_b.has_dyn_sized_stack, 0
	.set _ZN9rocsparseL19gebsrmvn_4xn_kernelILj128ELj3ELj4E21rocsparse_complex_numIdEEEvi20rocsparse_direction_NS_24const_host_device_scalarIT2_EEPKiS8_PKS5_SA_S6_PS5_21rocsparse_index_base_b.has_recursion, 0
	.set _ZN9rocsparseL19gebsrmvn_4xn_kernelILj128ELj3ELj4E21rocsparse_complex_numIdEEEvi20rocsparse_direction_NS_24const_host_device_scalarIT2_EEPKiS8_PKS5_SA_S6_PS5_21rocsparse_index_base_b.has_indirect_call, 0
	.section	.AMDGPU.csdata,"",@progbits
; Kernel info:
; codeLenInByte = 3264
; TotalNumSgprs: 22
; NumVgprs: 61
; ScratchSize: 0
; MemoryBound: 0
; FloatMode: 240
; IeeeMode: 1
; LDSByteSize: 0 bytes/workgroup (compile time only)
; SGPRBlocks: 2
; VGPRBlocks: 15
; NumSGPRsForWavesPerEU: 22
; NumVGPRsForWavesPerEU: 61
; Occupancy: 4
; WaveLimiterHint : 1
; COMPUTE_PGM_RSRC2:SCRATCH_EN: 0
; COMPUTE_PGM_RSRC2:USER_SGPR: 6
; COMPUTE_PGM_RSRC2:TRAP_HANDLER: 0
; COMPUTE_PGM_RSRC2:TGID_X_EN: 1
; COMPUTE_PGM_RSRC2:TGID_Y_EN: 0
; COMPUTE_PGM_RSRC2:TGID_Z_EN: 0
; COMPUTE_PGM_RSRC2:TIDIG_COMP_CNT: 0
	.section	.text._ZN9rocsparseL19gebsrmvn_4xn_kernelILj128ELj3ELj8E21rocsparse_complex_numIdEEEvi20rocsparse_direction_NS_24const_host_device_scalarIT2_EEPKiS8_PKS5_SA_S6_PS5_21rocsparse_index_base_b,"axG",@progbits,_ZN9rocsparseL19gebsrmvn_4xn_kernelILj128ELj3ELj8E21rocsparse_complex_numIdEEEvi20rocsparse_direction_NS_24const_host_device_scalarIT2_EEPKiS8_PKS5_SA_S6_PS5_21rocsparse_index_base_b,comdat
	.globl	_ZN9rocsparseL19gebsrmvn_4xn_kernelILj128ELj3ELj8E21rocsparse_complex_numIdEEEvi20rocsparse_direction_NS_24const_host_device_scalarIT2_EEPKiS8_PKS5_SA_S6_PS5_21rocsparse_index_base_b ; -- Begin function _ZN9rocsparseL19gebsrmvn_4xn_kernelILj128ELj3ELj8E21rocsparse_complex_numIdEEEvi20rocsparse_direction_NS_24const_host_device_scalarIT2_EEPKiS8_PKS5_SA_S6_PS5_21rocsparse_index_base_b
	.p2align	8
	.type	_ZN9rocsparseL19gebsrmvn_4xn_kernelILj128ELj3ELj8E21rocsparse_complex_numIdEEEvi20rocsparse_direction_NS_24const_host_device_scalarIT2_EEPKiS8_PKS5_SA_S6_PS5_21rocsparse_index_base_b,@function
_ZN9rocsparseL19gebsrmvn_4xn_kernelILj128ELj3ELj8E21rocsparse_complex_numIdEEEvi20rocsparse_direction_NS_24const_host_device_scalarIT2_EEPKiS8_PKS5_SA_S6_PS5_21rocsparse_index_base_b: ; @_ZN9rocsparseL19gebsrmvn_4xn_kernelILj128ELj3ELj8E21rocsparse_complex_numIdEEEvi20rocsparse_direction_NS_24const_host_device_scalarIT2_EEPKiS8_PKS5_SA_S6_PS5_21rocsparse_index_base_b
; %bb.0:
	s_load_dwordx2 s[0:1], s[4:5], 0x8
	s_load_dwordx2 s[2:3], s[4:5], 0x38
	;; [unrolled: 1-line block ×3, first 2 shown]
	s_add_u32 s7, s4, 8
	s_addc_u32 s8, s5, 0
	s_add_u32 s9, s4, 56
	s_addc_u32 s10, s5, 0
	s_waitcnt lgkmcnt(0)
	s_bitcmp1_b32 s17, 0
	s_cselect_b32 s1, s8, s1
	s_cselect_b32 s0, s7, s0
	v_mov_b32_e32 v1, s0
	v_mov_b32_e32 v2, s1
	flat_load_dwordx4 v[1:4], v[1:2]
	s_cselect_b32 s0, s10, s3
	s_cselect_b32 s1, s9, s2
	v_mov_b32_e32 v5, s1
	v_mov_b32_e32 v6, s0
	flat_load_dwordx4 v[5:8], v[5:6]
	s_waitcnt vmcnt(0) lgkmcnt(0)
	v_cmp_eq_f64_e32 vcc, 0, v[1:2]
	v_cmp_eq_f64_e64 s[0:1], 0, v[3:4]
	s_and_b64 s[8:9], vcc, s[0:1]
	s_mov_b64 s[0:1], -1
	s_and_saveexec_b64 s[2:3], s[8:9]
	s_cbranch_execz .LBB122_2
; %bb.1:
	v_cmp_neq_f64_e32 vcc, 1.0, v[5:6]
	v_cmp_neq_f64_e64 s[0:1], 0, v[7:8]
	s_or_b64 s[0:1], vcc, s[0:1]
	s_orn2_b64 s[0:1], s[0:1], exec
.LBB122_2:
	s_or_b64 exec, exec, s[2:3]
	s_and_saveexec_b64 s[2:3], s[0:1]
	s_cbranch_execz .LBB122_21
; %bb.3:
	s_load_dwordx2 s[0:1], s[4:5], 0x0
	v_lshrrev_b32_e32 v9, 3, v0
	v_lshl_or_b32 v9, s6, 4, v9
	s_waitcnt lgkmcnt(0)
	v_cmp_gt_i32_e32 vcc, s0, v9
	s_and_b64 exec, exec, vcc
	s_cbranch_execz .LBB122_21
; %bb.4:
	s_load_dwordx8 s[8:15], s[4:5], 0x18
	v_ashrrev_i32_e32 v10, 31, v9
	v_lshlrev_b64 v[10:11], 2, v[9:10]
	v_and_b32_e32 v0, 7, v0
	s_cmp_lg_u32 s1, 0
	s_waitcnt lgkmcnt(0)
	v_mov_b32_e32 v12, s9
	v_add_co_u32_e32 v10, vcc, s8, v10
	v_addc_co_u32_e32 v11, vcc, v12, v11, vcc
	global_load_dwordx2 v[10:11], v[10:11], off
	s_waitcnt vmcnt(0)
	v_subrev_u32_e32 v10, s16, v10
	v_subrev_u32_e32 v32, s16, v11
	v_add_u32_e32 v10, v10, v0
	v_cmp_lt_i32_e64 s[0:1], v10, v32
	s_cbranch_scc0 .LBB122_10
; %bb.5:
	v_mov_b32_e32 v22, 0
	v_mov_b32_e32 v26, 0
	;; [unrolled: 1-line block ×16, first 2 shown]
	s_and_saveexec_b64 s[6:7], s[0:1]
	s_cbranch_execz .LBB122_9
; %bb.6:
	v_mul_lo_u32 v28, v10, 12
	v_mov_b32_e32 v22, 0
	v_mov_b32_e32 v26, 0
	;; [unrolled: 1-line block ×9, first 2 shown]
	s_mov_b64 s[8:9], 0
	v_mov_b32_e32 v11, s11
	v_mov_b32_e32 v29, 0
	;; [unrolled: 1-line block ×12, first 2 shown]
.LBB122_7:                              ; =>This Inner Loop Header: Depth=1
	v_ashrrev_i32_e32 v31, 31, v30
	v_lshlrev_b64 v[35:36], 4, v[28:29]
	v_lshlrev_b64 v[37:38], 2, v[30:31]
	v_add_co_u32_e32 v45, vcc, s12, v35
	v_add_co_u32_e64 v39, s[2:3], s10, v37
	v_addc_co_u32_e32 v46, vcc, v33, v36, vcc
	v_addc_co_u32_e64 v40, vcc, v11, v38, s[2:3]
	global_load_dwordx4 v[35:38], v[45:46], off
	global_load_dword v31, v[39:40], off
	v_mov_b32_e32 v44, v29
	v_add_u32_e32 v30, 8, v30
	s_waitcnt vmcnt(0)
	v_subrev_u32_e32 v31, s16, v31
	v_lshl_add_u32 v43, v31, 1, v31
	v_lshlrev_b64 v[39:40], 4, v[43:44]
	v_add_co_u32_e32 v39, vcc, s14, v39
	v_addc_co_u32_e32 v40, vcc, v34, v40, vcc
	global_load_dwordx4 v[39:42], v[39:40], off
	s_waitcnt vmcnt(0)
	v_fma_f64 v[26:27], v[35:36], v[39:40], v[26:27]
	v_fma_f64 v[22:23], v[37:38], v[39:40], v[22:23]
	v_fma_f64 v[26:27], -v[37:38], v[41:42], v[26:27]
	v_fma_f64 v[47:48], v[35:36], v[41:42], v[22:23]
	global_load_dwordx4 v[35:38], v[45:46], off offset:16
	s_waitcnt vmcnt(0)
	v_fma_f64 v[22:23], v[35:36], v[39:40], v[24:25]
	v_fma_f64 v[18:19], v[37:38], v[39:40], v[18:19]
	v_fma_f64 v[37:38], -v[37:38], v[41:42], v[22:23]
	global_load_dwordx4 v[22:25], v[45:46], off offset:32
	v_fma_f64 v[35:36], v[35:36], v[41:42], v[18:19]
	s_waitcnt vmcnt(0)
	v_fma_f64 v[18:19], v[22:23], v[39:40], v[20:21]
	v_fma_f64 v[16:17], v[24:25], v[39:40], v[16:17]
	v_fma_f64 v[20:21], -v[24:25], v[41:42], v[18:19]
	v_fma_f64 v[22:23], v[22:23], v[41:42], v[16:17]
	global_load_dwordx4 v[16:19], v[45:46], off offset:48
	v_add_u32_e32 v24, 4, v28
	v_mov_b32_e32 v25, v29
	s_waitcnt vmcnt(0)
	v_fma_f64 v[12:13], v[16:17], v[39:40], v[12:13]
	v_fma_f64 v[14:15], v[18:19], v[39:40], v[14:15]
	v_fma_f64 v[39:40], -v[18:19], v[41:42], v[12:13]
	v_lshlrev_b64 v[12:13], 4, v[24:25]
	v_fma_f64 v[41:42], v[16:17], v[41:42], v[14:15]
	v_mov_b32_e32 v17, v29
	v_add_u32_e32 v16, 1, v43
	v_add_co_u32_e32 v24, vcc, s12, v12
	v_lshlrev_b64 v[16:17], 4, v[16:17]
	v_addc_co_u32_e32 v25, vcc, v33, v13, vcc
	v_add_co_u32_e32 v16, vcc, s14, v16
	v_addc_co_u32_e32 v17, vcc, v34, v17, vcc
	global_load_dwordx4 v[12:15], v[24:25], off
	s_nop 0
	global_load_dwordx4 v[16:19], v[16:17], off
	s_waitcnt vmcnt(0)
	v_fma_f64 v[26:27], v[12:13], v[16:17], v[26:27]
	v_fma_f64 v[44:45], v[14:15], v[16:17], v[47:48]
	v_fma_f64 v[26:27], -v[14:15], v[18:19], v[26:27]
	v_fma_f64 v[44:45], v[12:13], v[18:19], v[44:45]
	global_load_dwordx4 v[12:15], v[24:25], off offset:16
	s_waitcnt vmcnt(0)
	v_fma_f64 v[37:38], v[12:13], v[16:17], v[37:38]
	v_fma_f64 v[35:36], v[14:15], v[16:17], v[35:36]
	v_fma_f64 v[46:47], -v[14:15], v[18:19], v[37:38]
	v_fma_f64 v[48:49], v[12:13], v[18:19], v[35:36]
	global_load_dwordx4 v[12:15], v[24:25], off offset:32
	;; [unrolled: 6-line block ×3, first 2 shown]
	v_add_u32_e32 v22, 8, v28
	v_mov_b32_e32 v23, v29
	v_add_u32_e32 v28, 0x60, v28
	s_waitcnt vmcnt(0)
	v_fma_f64 v[24:25], v[12:13], v[16:17], v[39:40]
	v_fma_f64 v[16:17], v[14:15], v[16:17], v[41:42]
	v_fma_f64 v[52:53], -v[14:15], v[18:19], v[24:25]
	v_fma_f64 v[16:17], v[12:13], v[18:19], v[16:17]
	v_lshlrev_b64 v[12:13], 4, v[22:23]
	v_mov_b32_e32 v19, v29
	v_add_u32_e32 v18, 2, v43
	v_add_co_u32_e32 v54, vcc, s12, v12
	v_lshlrev_b64 v[18:19], 4, v[18:19]
	v_addc_co_u32_e32 v55, vcc, v33, v13, vcc
	v_add_co_u32_e32 v18, vcc, s14, v18
	v_addc_co_u32_e32 v19, vcc, v34, v19, vcc
	global_load_dwordx4 v[12:15], v[54:55], off
	global_load_dwordx4 v[35:38], v[18:19], off
	v_cmp_ge_i32_e32 vcc, v30, v32
	s_or_b64 s[8:9], vcc, s[8:9]
	s_waitcnt vmcnt(0)
	v_fma_f64 v[18:19], v[12:13], v[35:36], v[26:27]
	v_fma_f64 v[22:23], v[14:15], v[35:36], v[44:45]
	v_fma_f64 v[26:27], -v[14:15], v[37:38], v[18:19]
	v_fma_f64 v[22:23], v[12:13], v[37:38], v[22:23]
	global_load_dwordx4 v[12:15], v[54:55], off offset:16
	s_waitcnt vmcnt(0)
	v_fma_f64 v[18:19], v[12:13], v[35:36], v[46:47]
	v_fma_f64 v[39:40], v[14:15], v[35:36], v[48:49]
	v_fma_f64 v[24:25], -v[14:15], v[37:38], v[18:19]
	v_fma_f64 v[18:19], v[12:13], v[37:38], v[39:40]
	global_load_dwordx4 v[12:15], v[54:55], off offset:32
	global_load_dwordx4 v[39:42], v[54:55], off offset:48
	s_waitcnt vmcnt(1)
	v_fma_f64 v[20:21], v[12:13], v[35:36], v[20:21]
	v_fma_f64 v[43:44], v[14:15], v[35:36], v[50:51]
	s_waitcnt vmcnt(0)
	v_fma_f64 v[45:46], v[39:40], v[35:36], v[52:53]
	v_fma_f64 v[35:36], v[41:42], v[35:36], v[16:17]
	v_fma_f64 v[20:21], -v[14:15], v[37:38], v[20:21]
	v_fma_f64 v[16:17], v[12:13], v[37:38], v[43:44]
	v_fma_f64 v[12:13], -v[41:42], v[37:38], v[45:46]
	v_fma_f64 v[14:15], v[39:40], v[37:38], v[35:36]
	s_andn2_b64 exec, exec, s[8:9]
	s_cbranch_execnz .LBB122_7
; %bb.8:
	s_or_b64 exec, exec, s[8:9]
.LBB122_9:
	s_or_b64 exec, exec, s[6:7]
	s_cbranch_execz .LBB122_11
	s_branch .LBB122_16
.LBB122_10:
                                        ; implicit-def: $vgpr22_vgpr23
                                        ; implicit-def: $vgpr26_vgpr27
                                        ; implicit-def: $vgpr12_vgpr13
                                        ; implicit-def: $vgpr14_vgpr15
                                        ; implicit-def: $vgpr20_vgpr21
                                        ; implicit-def: $vgpr16_vgpr17
                                        ; implicit-def: $vgpr24_vgpr25
                                        ; implicit-def: $vgpr18_vgpr19
.LBB122_11:
	v_mov_b32_e32 v22, 0
	v_mov_b32_e32 v26, 0
	;; [unrolled: 1-line block ×16, first 2 shown]
	s_and_saveexec_b64 s[2:3], s[0:1]
	s_cbranch_execz .LBB122_15
; %bb.12:
	v_mad_u64_u32 v[28:29], s[0:1], v10, 12, 11
	v_mov_b32_e32 v22, 0
	v_mov_b32_e32 v26, 0
	;; [unrolled: 1-line block ×9, first 2 shown]
	s_mov_b64 s[0:1], 0
	v_mov_b32_e32 v33, s11
	v_mov_b32_e32 v31, 0
	;; [unrolled: 1-line block ×11, first 2 shown]
.LBB122_13:                             ; =>This Inner Loop Header: Depth=1
	v_ashrrev_i32_e32 v11, 31, v10
	v_lshlrev_b64 v[36:37], 2, v[10:11]
	v_add_u32_e32 v30, -11, v28
	v_lshlrev_b64 v[29:30], 4, v[30:31]
	v_add_co_u32_e32 v44, vcc, s10, v36
	v_addc_co_u32_e32 v45, vcc, v33, v37, vcc
	v_add_co_u32_e32 v29, vcc, s12, v29
	v_addc_co_u32_e32 v30, vcc, v34, v30, vcc
	global_load_dword v11, v[44:45], off
	global_load_dwordx4 v[36:39], v[29:30], off
	global_load_dwordx4 v[40:43], v[29:30], off offset:16
	v_mov_b32_e32 v53, v31
	v_add_u32_e32 v10, 8, v10
	s_waitcnt vmcnt(2)
	v_subrev_u32_e32 v11, s16, v11
	v_lshl_add_u32 v52, v11, 1, v11
	v_lshlrev_b64 v[44:45], 4, v[52:53]
	v_add_co_u32_e32 v44, vcc, s14, v44
	v_addc_co_u32_e32 v45, vcc, v35, v45, vcc
	global_load_dwordx4 v[44:47], v[44:45], off
	s_waitcnt vmcnt(0)
	v_fma_f64 v[26:27], v[36:37], v[44:45], v[26:27]
	v_fma_f64 v[22:23], v[38:39], v[44:45], v[22:23]
	v_fma_f64 v[26:27], -v[38:39], v[46:47], v[26:27]
	v_fma_f64 v[53:54], v[36:37], v[46:47], v[22:23]
	global_load_dwordx4 v[36:39], v[29:30], off offset:48
	global_load_dwordx4 v[48:51], v[29:30], off offset:32
	s_waitcnt vmcnt(1)
	v_fma_f64 v[18:19], v[38:39], v[44:45], v[18:19]
	v_fma_f64 v[22:23], v[36:37], v[44:45], v[24:25]
	;; [unrolled: 1-line block ×3, first 2 shown]
	v_add_u32_e32 v18, -5, v28
	v_mov_b32_e32 v19, v31
	v_lshlrev_b64 v[18:19], 4, v[18:19]
	v_fma_f64 v[55:56], -v[38:39], v[46:47], v[22:23]
	v_add_u32_e32 v22, -2, v28
	v_mov_b32_e32 v23, v31
	v_add_co_u32_e32 v18, vcc, s12, v18
	v_lshlrev_b64 v[22:23], 4, v[22:23]
	v_addc_co_u32_e32 v19, vcc, v34, v19, vcc
	v_add_co_u32_e32 v29, vcc, s12, v22
	v_addc_co_u32_e32 v30, vcc, v34, v23, vcc
	global_load_dwordx4 v[22:25], v[18:19], off
	global_load_dwordx4 v[36:39], v[29:30], off
	v_add_u32_e32 v30, 1, v52
	v_mov_b32_e32 v29, v31
	s_waitcnt vmcnt(1)
	v_fma_f64 v[18:19], v[22:23], v[44:45], v[20:21]
	s_waitcnt vmcnt(0)
	v_fma_f64 v[11:12], v[36:37], v[44:45], v[12:13]
	v_fma_f64 v[16:17], v[24:25], v[44:45], v[16:17]
	;; [unrolled: 1-line block ×3, first 2 shown]
	v_fma_f64 v[24:25], -v[24:25], v[46:47], v[18:19]
	v_fma_f64 v[44:45], -v[38:39], v[46:47], v[11:12]
	v_lshlrev_b64 v[11:12], 4, v[30:31]
	v_add_u32_e32 v30, -7, v28
	v_fma_f64 v[59:60], v[22:23], v[46:47], v[16:17]
	v_fma_f64 v[46:47], v[36:37], v[46:47], v[13:14]
	v_lshlrev_b64 v[13:14], 4, v[30:31]
	v_add_co_u32_e32 v11, vcc, s14, v11
	v_addc_co_u32_e32 v12, vcc, v35, v12, vcc
	v_add_co_u32_e32 v15, vcc, s12, v13
	v_addc_co_u32_e32 v16, vcc, v34, v14, vcc
	global_load_dwordx4 v[11:14], v[11:12], off
	v_add_u32_e32 v30, -4, v28
	v_lshlrev_b64 v[19:20], 4, v[30:31]
	v_add_u32_e32 v30, -1, v28
	v_add_co_u32_e32 v19, vcc, s12, v19
	v_addc_co_u32_e32 v20, vcc, v34, v20, vcc
	s_waitcnt vmcnt(0)
	v_fma_f64 v[17:18], v[40:41], v[11:12], v[26:27]
	v_fma_f64 v[21:22], v[42:43], v[11:12], v[53:54]
	v_fma_f64 v[26:27], -v[42:43], v[13:14], v[17:18]
	global_load_dwordx4 v[15:18], v[15:16], off
	v_fma_f64 v[40:41], v[40:41], v[13:14], v[21:22]
	global_load_dwordx4 v[19:22], v[19:20], off
	s_waitcnt vmcnt(1)
	v_fma_f64 v[38:39], v[17:18], v[11:12], v[57:58]
	v_fma_f64 v[36:37], v[15:16], v[11:12], v[55:56]
	;; [unrolled: 1-line block ×3, first 2 shown]
	v_lshlrev_b64 v[15:16], 4, v[28:29]
	v_fma_f64 v[53:54], -v[17:18], v[13:14], v[36:37]
	v_add_co_u32_e32 v15, vcc, s12, v15
	v_addc_co_u32_e32 v16, vcc, v34, v16, vcc
	global_load_dwordx4 v[36:39], v[15:16], off
	s_waitcnt vmcnt(1)
	v_fma_f64 v[15:16], v[19:20], v[11:12], v[24:25]
	v_lshlrev_b64 v[17:18], 4, v[30:31]
	v_fma_f64 v[23:24], v[21:22], v[11:12], v[59:60]
	v_add_u32_e32 v30, 2, v52
	v_fma_f64 v[57:58], -v[21:22], v[13:14], v[15:16]
	v_add_co_u32_e32 v15, vcc, s12, v17
	v_addc_co_u32_e32 v16, vcc, v34, v18, vcc
	global_load_dwordx4 v[15:18], v[15:16], off
	v_fma_f64 v[20:21], v[19:20], v[13:14], v[23:24]
	v_lshlrev_b64 v[22:23], 4, v[30:31]
	v_add_u32_e32 v30, -6, v28
	s_waitcnt vmcnt(0)
	v_fma_f64 v[24:25], v[15:16], v[11:12], v[44:45]
	v_fma_f64 v[11:12], v[17:18], v[11:12], v[46:47]
	v_fma_f64 v[24:25], -v[17:18], v[13:14], v[24:25]
	v_fma_f64 v[44:45], v[15:16], v[13:14], v[11:12]
	v_add_co_u32_e32 v11, vcc, s14, v22
	v_addc_co_u32_e32 v12, vcc, v35, v23, vcc
	global_load_dwordx4 v[12:15], v[11:12], off
	v_lshlrev_b64 v[16:17], 4, v[30:31]
	v_add_u32_e32 v30, -3, v28
	v_lshlrev_b64 v[18:19], 4, v[30:31]
	v_add_co_u32_e32 v16, vcc, s12, v16
	v_addc_co_u32_e32 v17, vcc, v34, v17, vcc
	v_add_co_u32_e32 v29, vcc, s12, v18
	v_addc_co_u32_e32 v30, vcc, v34, v19, vcc
	global_load_dwordx4 v[16:19], v[16:17], off
	v_cmp_ge_i32_e32 vcc, v10, v32
	s_or_b64 s[0:1], vcc, s[0:1]
	v_add_u32_e32 v28, 0x60, v28
	s_waitcnt vmcnt(1)
	v_fma_f64 v[22:23], v[48:49], v[12:13], v[26:27]
	v_fma_f64 v[40:41], v[50:51], v[12:13], v[40:41]
	;; [unrolled: 1-line block ×3, first 2 shown]
	v_fma_f64 v[26:27], -v[50:51], v[14:15], v[22:23]
	v_fma_f64 v[22:23], v[48:49], v[14:15], v[40:41]
	global_load_dwordx4 v[40:43], v[29:30], off
	s_waitcnt vmcnt(1)
	v_fma_f64 v[29:30], v[16:17], v[12:13], v[53:54]
	v_fma_f64 v[46:47], v[18:19], v[12:13], v[55:56]
	;; [unrolled: 1-line block ×3, first 2 shown]
	v_fma_f64 v[24:25], -v[18:19], v[14:15], v[29:30]
	v_fma_f64 v[18:19], v[16:17], v[14:15], v[46:47]
	s_waitcnt vmcnt(0)
	v_fma_f64 v[48:49], v[40:41], v[12:13], v[57:58]
	v_fma_f64 v[50:51], v[42:43], v[12:13], v[20:21]
	v_fma_f64 v[12:13], -v[38:39], v[14:15], v[52:53]
	v_fma_f64 v[20:21], -v[42:43], v[14:15], v[48:49]
	v_fma_f64 v[16:17], v[40:41], v[14:15], v[50:51]
	v_fma_f64 v[14:15], v[36:37], v[14:15], v[44:45]
	s_andn2_b64 exec, exec, s[0:1]
	s_cbranch_execnz .LBB122_13
; %bb.14:
	s_or_b64 exec, exec, s[0:1]
.LBB122_15:
	s_or_b64 exec, exec, s[2:3]
.LBB122_16:
	v_mov_b32_dpp v10, v26 row_shr:1 row_mask:0xf bank_mask:0xf
	v_mov_b32_dpp v11, v27 row_shr:1 row_mask:0xf bank_mask:0xf
	v_add_f64 v[10:11], v[26:27], v[10:11]
	v_mov_b32_dpp v26, v22 row_shr:1 row_mask:0xf bank_mask:0xf
	v_mov_b32_dpp v27, v23 row_shr:1 row_mask:0xf bank_mask:0xf
	v_mov_b32_dpp v28, v24 row_shr:1 row_mask:0xf bank_mask:0xf
	v_mov_b32_dpp v29, v25 row_shr:1 row_mask:0xf bank_mask:0xf
	v_add_f64 v[22:23], v[22:23], v[26:27]
	v_add_f64 v[24:25], v[24:25], v[28:29]
	v_mov_b32_dpp v28, v18 row_shr:1 row_mask:0xf bank_mask:0xf
	v_mov_b32_dpp v29, v19 row_shr:1 row_mask:0xf bank_mask:0xf
	v_add_f64 v[28:29], v[18:19], v[28:29]
	v_mov_b32_dpp v26, v10 row_shr:2 row_mask:0xf bank_mask:0xf
	v_mov_b32_dpp v27, v11 row_shr:2 row_mask:0xf bank_mask:0xf
	;; [unrolled: 1-line block ×5, first 2 shown]
	v_add_f64 v[18:19], v[22:23], v[18:19]
	v_mov_b32_dpp v22, v24 row_shr:2 row_mask:0xf bank_mask:0xf
	v_mov_b32_dpp v23, v25 row_shr:2 row_mask:0xf bank_mask:0xf
	v_add_f64 v[22:23], v[24:25], v[22:23]
	v_mov_b32_dpp v24, v28 row_shr:2 row_mask:0xf bank_mask:0xf
	v_mov_b32_dpp v25, v29 row_shr:2 row_mask:0xf bank_mask:0xf
	v_mov_b32_dpp v37, v17 row_shr:1 row_mask:0xf bank_mask:0xf
	v_add_f64 v[10:11], v[10:11], v[26:27]
	v_add_f64 v[26:27], v[28:29], v[24:25]
	v_mov_b32_dpp v24, v20 row_shr:1 row_mask:0xf bank_mask:0xf
	v_mov_b32_dpp v25, v21 row_shr:1 row_mask:0xf bank_mask:0xf
	v_add_f64 v[16:17], v[16:17], v[36:37]
	v_mov_b32_dpp v36, v12 row_shr:1 row_mask:0xf bank_mask:0xf
	v_mov_b32_dpp v37, v13 row_shr:1 row_mask:0xf bank_mask:0xf
	v_add_f64 v[32:33], v[20:21], v[24:25]
	v_add_f64 v[36:37], v[12:13], v[36:37]
	v_mov_b32_dpp v12, v14 row_shr:1 row_mask:0xf bank_mask:0xf
	v_mov_b32_dpp v13, v15 row_shr:1 row_mask:0xf bank_mask:0xf
	v_add_f64 v[38:39], v[14:15], v[12:13]
	v_mov_b32_dpp v14, v16 row_shr:2 row_mask:0xf bank_mask:0xf
	v_mov_b32_dpp v15, v17 row_shr:2 row_mask:0xf bank_mask:0xf
	;; [unrolled: 3-line block ×3, first 2 shown]
	v_mov_b32_dpp v16, v36 row_shr:2 row_mask:0xf bank_mask:0xf
	v_mov_b32_dpp v17, v37 row_shr:2 row_mask:0xf bank_mask:0xf
	v_add_f64 v[12:13], v[32:33], v[34:35]
	v_add_f64 v[34:35], v[36:37], v[16:17]
	v_mov_b32_dpp v16, v38 row_shr:2 row_mask:0xf bank_mask:0xf
	v_mov_b32_dpp v17, v39 row_shr:2 row_mask:0xf bank_mask:0xf
	v_add_f64 v[32:33], v[38:39], v[16:17]
	v_mov_b32_dpp v30, v10 row_shr:4 row_mask:0xf bank_mask:0xe
	v_mov_b32_dpp v31, v11 row_shr:4 row_mask:0xf bank_mask:0xe
	;; [unrolled: 1-line block ×16, first 2 shown]
	v_cmp_eq_u32_e32 vcc, 7, v0
	s_and_b64 exec, exec, vcc
	s_cbranch_execz .LBB122_21
; %bb.17:
	v_cmp_eq_f64_e32 vcc, 0, v[5:6]
	v_cmp_eq_f64_e64 s[0:1], 0, v[7:8]
	v_add_f64 v[16:17], v[10:11], v[30:31]
	v_add_f64 v[24:25], v[18:19], v[24:25]
	v_add_f64 v[10:11], v[22:23], v[28:29]
	v_add_f64 v[22:23], v[26:27], v[20:21]
	v_add_f64 v[12:13], v[12:13], v[42:43]
	v_add_f64 v[18:19], v[14:15], v[40:41]
	v_add_f64 v[14:15], v[34:35], v[38:39]
	v_add_f64 v[20:21], v[32:33], v[36:37]
	s_load_dwordx2 s[2:3], s[4:5], 0x48
	s_and_b64 s[0:1], vcc, s[0:1]
	s_and_saveexec_b64 s[4:5], s[0:1]
	s_xor_b64 s[0:1], exec, s[4:5]
	s_cbranch_execz .LBB122_19
; %bb.18:
	v_mul_f64 v[5:6], v[24:25], -v[3:4]
	v_mul_f64 v[7:8], v[1:2], v[24:25]
	v_mul_f64 v[26:27], v[22:23], -v[3:4]
	v_mul_f64 v[22:23], v[1:2], v[22:23]
	;; [unrolled: 2-line block ×4, first 2 shown]
	v_fma_f64 v[5:6], v[1:2], v[16:17], v[5:6]
	v_fma_f64 v[7:8], v[3:4], v[16:17], v[7:8]
	;; [unrolled: 1-line block ×4, first 2 shown]
	v_lshlrev_b32_e32 v24, 2, v9
	v_fma_f64 v[9:10], v[1:2], v[12:13], v[28:29]
	v_fma_f64 v[11:12], v[3:4], v[12:13], v[30:31]
	v_ashrrev_i32_e32 v25, 31, v24
	v_fma_f64 v[0:1], v[1:2], v[14:15], v[32:33]
	v_fma_f64 v[2:3], v[3:4], v[14:15], v[20:21]
	v_lshlrev_b64 v[24:25], 4, v[24:25]
	s_waitcnt lgkmcnt(0)
	v_mov_b32_e32 v34, s3
	v_add_co_u32_e32 v13, vcc, s2, v24
	v_addc_co_u32_e32 v14, vcc, v34, v25, vcc
	global_store_dwordx4 v[13:14], v[5:8], off
	global_store_dwordx4 v[13:14], v[16:19], off offset:16
	global_store_dwordx4 v[13:14], v[9:12], off offset:32
	;; [unrolled: 1-line block ×3, first 2 shown]
                                        ; implicit-def: $vgpr9
                                        ; implicit-def: $vgpr16_vgpr17
                                        ; implicit-def: $vgpr24_vgpr25
                                        ; implicit-def: $vgpr10_vgpr11
                                        ; implicit-def: $vgpr22_vgpr23
                                        ; implicit-def: $vgpr12_vgpr13
                                        ; implicit-def: $vgpr18_vgpr19
                                        ; implicit-def: $vgpr14_vgpr15
                                        ; implicit-def: $vgpr20_vgpr21
                                        ; implicit-def: $vgpr7_vgpr8
                                        ; implicit-def: $vgpr3_vgpr4
.LBB122_19:
	s_andn2_saveexec_b64 s[0:1], s[0:1]
	s_cbranch_execz .LBB122_21
; %bb.20:
	v_lshlrev_b32_e32 v26, 2, v9
	v_ashrrev_i32_e32 v27, 31, v26
	v_lshlrev_b64 v[26:27], 4, v[26:27]
	s_waitcnt lgkmcnt(0)
	v_mov_b32_e32 v0, s3
	v_add_co_u32_e32 v42, vcc, s2, v26
	v_addc_co_u32_e32 v43, vcc, v0, v27, vcc
	global_load_dwordx4 v[26:29], v[42:43], off
	global_load_dwordx4 v[30:33], v[42:43], off offset:16
	global_load_dwordx4 v[34:37], v[42:43], off offset:32
	;; [unrolled: 1-line block ×3, first 2 shown]
	v_mul_f64 v[44:45], v[24:25], -v[3:4]
	v_mul_f64 v[24:25], v[1:2], v[24:25]
	v_mul_f64 v[46:47], v[22:23], -v[3:4]
	v_mul_f64 v[22:23], v[1:2], v[22:23]
	;; [unrolled: 2-line block ×4, first 2 shown]
	v_fma_f64 v[44:45], v[1:2], v[16:17], v[44:45]
	v_fma_f64 v[16:17], v[3:4], v[16:17], v[24:25]
	;; [unrolled: 1-line block ×8, first 2 shown]
	s_waitcnt vmcnt(3)
	v_fma_f64 v[13:14], v[5:6], v[26:27], v[44:45]
	v_fma_f64 v[15:16], v[7:8], v[26:27], v[16:17]
	s_waitcnt vmcnt(2)
	v_fma_f64 v[17:18], v[5:6], v[30:31], v[24:25]
	v_fma_f64 v[19:20], v[7:8], v[30:31], v[9:10]
	;; [unrolled: 3-line block ×4, first 2 shown]
	v_fma_f64 v[0:1], -v[7:8], v[28:29], v[13:14]
	v_fma_f64 v[2:3], v[5:6], v[28:29], v[15:16]
	v_fma_f64 v[9:10], -v[7:8], v[32:33], v[17:18]
	v_fma_f64 v[11:12], v[5:6], v[32:33], v[19:20]
	;; [unrolled: 2-line block ×4, first 2 shown]
	global_store_dwordx4 v[42:43], v[0:3], off
	global_store_dwordx4 v[42:43], v[9:12], off offset:16
	global_store_dwordx4 v[42:43], v[13:16], off offset:32
	;; [unrolled: 1-line block ×3, first 2 shown]
.LBB122_21:
	s_endpgm
	.section	.rodata,"a",@progbits
	.p2align	6, 0x0
	.amdhsa_kernel _ZN9rocsparseL19gebsrmvn_4xn_kernelILj128ELj3ELj8E21rocsparse_complex_numIdEEEvi20rocsparse_direction_NS_24const_host_device_scalarIT2_EEPKiS8_PKS5_SA_S6_PS5_21rocsparse_index_base_b
		.amdhsa_group_segment_fixed_size 0
		.amdhsa_private_segment_fixed_size 0
		.amdhsa_kernarg_size 88
		.amdhsa_user_sgpr_count 6
		.amdhsa_user_sgpr_private_segment_buffer 1
		.amdhsa_user_sgpr_dispatch_ptr 0
		.amdhsa_user_sgpr_queue_ptr 0
		.amdhsa_user_sgpr_kernarg_segment_ptr 1
		.amdhsa_user_sgpr_dispatch_id 0
		.amdhsa_user_sgpr_flat_scratch_init 0
		.amdhsa_user_sgpr_private_segment_size 0
		.amdhsa_uses_dynamic_stack 0
		.amdhsa_system_sgpr_private_segment_wavefront_offset 0
		.amdhsa_system_sgpr_workgroup_id_x 1
		.amdhsa_system_sgpr_workgroup_id_y 0
		.amdhsa_system_sgpr_workgroup_id_z 0
		.amdhsa_system_sgpr_workgroup_info 0
		.amdhsa_system_vgpr_workitem_id 0
		.amdhsa_next_free_vgpr 61
		.amdhsa_next_free_sgpr 18
		.amdhsa_reserve_vcc 1
		.amdhsa_reserve_flat_scratch 0
		.amdhsa_float_round_mode_32 0
		.amdhsa_float_round_mode_16_64 0
		.amdhsa_float_denorm_mode_32 3
		.amdhsa_float_denorm_mode_16_64 3
		.amdhsa_dx10_clamp 1
		.amdhsa_ieee_mode 1
		.amdhsa_fp16_overflow 0
		.amdhsa_exception_fp_ieee_invalid_op 0
		.amdhsa_exception_fp_denorm_src 0
		.amdhsa_exception_fp_ieee_div_zero 0
		.amdhsa_exception_fp_ieee_overflow 0
		.amdhsa_exception_fp_ieee_underflow 0
		.amdhsa_exception_fp_ieee_inexact 0
		.amdhsa_exception_int_div_zero 0
	.end_amdhsa_kernel
	.section	.text._ZN9rocsparseL19gebsrmvn_4xn_kernelILj128ELj3ELj8E21rocsparse_complex_numIdEEEvi20rocsparse_direction_NS_24const_host_device_scalarIT2_EEPKiS8_PKS5_SA_S6_PS5_21rocsparse_index_base_b,"axG",@progbits,_ZN9rocsparseL19gebsrmvn_4xn_kernelILj128ELj3ELj8E21rocsparse_complex_numIdEEEvi20rocsparse_direction_NS_24const_host_device_scalarIT2_EEPKiS8_PKS5_SA_S6_PS5_21rocsparse_index_base_b,comdat
.Lfunc_end122:
	.size	_ZN9rocsparseL19gebsrmvn_4xn_kernelILj128ELj3ELj8E21rocsparse_complex_numIdEEEvi20rocsparse_direction_NS_24const_host_device_scalarIT2_EEPKiS8_PKS5_SA_S6_PS5_21rocsparse_index_base_b, .Lfunc_end122-_ZN9rocsparseL19gebsrmvn_4xn_kernelILj128ELj3ELj8E21rocsparse_complex_numIdEEEvi20rocsparse_direction_NS_24const_host_device_scalarIT2_EEPKiS8_PKS5_SA_S6_PS5_21rocsparse_index_base_b
                                        ; -- End function
	.set _ZN9rocsparseL19gebsrmvn_4xn_kernelILj128ELj3ELj8E21rocsparse_complex_numIdEEEvi20rocsparse_direction_NS_24const_host_device_scalarIT2_EEPKiS8_PKS5_SA_S6_PS5_21rocsparse_index_base_b.num_vgpr, 61
	.set _ZN9rocsparseL19gebsrmvn_4xn_kernelILj128ELj3ELj8E21rocsparse_complex_numIdEEEvi20rocsparse_direction_NS_24const_host_device_scalarIT2_EEPKiS8_PKS5_SA_S6_PS5_21rocsparse_index_base_b.num_agpr, 0
	.set _ZN9rocsparseL19gebsrmvn_4xn_kernelILj128ELj3ELj8E21rocsparse_complex_numIdEEEvi20rocsparse_direction_NS_24const_host_device_scalarIT2_EEPKiS8_PKS5_SA_S6_PS5_21rocsparse_index_base_b.numbered_sgpr, 18
	.set _ZN9rocsparseL19gebsrmvn_4xn_kernelILj128ELj3ELj8E21rocsparse_complex_numIdEEEvi20rocsparse_direction_NS_24const_host_device_scalarIT2_EEPKiS8_PKS5_SA_S6_PS5_21rocsparse_index_base_b.num_named_barrier, 0
	.set _ZN9rocsparseL19gebsrmvn_4xn_kernelILj128ELj3ELj8E21rocsparse_complex_numIdEEEvi20rocsparse_direction_NS_24const_host_device_scalarIT2_EEPKiS8_PKS5_SA_S6_PS5_21rocsparse_index_base_b.private_seg_size, 0
	.set _ZN9rocsparseL19gebsrmvn_4xn_kernelILj128ELj3ELj8E21rocsparse_complex_numIdEEEvi20rocsparse_direction_NS_24const_host_device_scalarIT2_EEPKiS8_PKS5_SA_S6_PS5_21rocsparse_index_base_b.uses_vcc, 1
	.set _ZN9rocsparseL19gebsrmvn_4xn_kernelILj128ELj3ELj8E21rocsparse_complex_numIdEEEvi20rocsparse_direction_NS_24const_host_device_scalarIT2_EEPKiS8_PKS5_SA_S6_PS5_21rocsparse_index_base_b.uses_flat_scratch, 0
	.set _ZN9rocsparseL19gebsrmvn_4xn_kernelILj128ELj3ELj8E21rocsparse_complex_numIdEEEvi20rocsparse_direction_NS_24const_host_device_scalarIT2_EEPKiS8_PKS5_SA_S6_PS5_21rocsparse_index_base_b.has_dyn_sized_stack, 0
	.set _ZN9rocsparseL19gebsrmvn_4xn_kernelILj128ELj3ELj8E21rocsparse_complex_numIdEEEvi20rocsparse_direction_NS_24const_host_device_scalarIT2_EEPKiS8_PKS5_SA_S6_PS5_21rocsparse_index_base_b.has_recursion, 0
	.set _ZN9rocsparseL19gebsrmvn_4xn_kernelILj128ELj3ELj8E21rocsparse_complex_numIdEEEvi20rocsparse_direction_NS_24const_host_device_scalarIT2_EEPKiS8_PKS5_SA_S6_PS5_21rocsparse_index_base_b.has_indirect_call, 0
	.section	.AMDGPU.csdata,"",@progbits
; Kernel info:
; codeLenInByte = 3464
; TotalNumSgprs: 22
; NumVgprs: 61
; ScratchSize: 0
; MemoryBound: 0
; FloatMode: 240
; IeeeMode: 1
; LDSByteSize: 0 bytes/workgroup (compile time only)
; SGPRBlocks: 2
; VGPRBlocks: 15
; NumSGPRsForWavesPerEU: 22
; NumVGPRsForWavesPerEU: 61
; Occupancy: 4
; WaveLimiterHint : 1
; COMPUTE_PGM_RSRC2:SCRATCH_EN: 0
; COMPUTE_PGM_RSRC2:USER_SGPR: 6
; COMPUTE_PGM_RSRC2:TRAP_HANDLER: 0
; COMPUTE_PGM_RSRC2:TGID_X_EN: 1
; COMPUTE_PGM_RSRC2:TGID_Y_EN: 0
; COMPUTE_PGM_RSRC2:TGID_Z_EN: 0
; COMPUTE_PGM_RSRC2:TIDIG_COMP_CNT: 0
	.section	.text._ZN9rocsparseL19gebsrmvn_4xn_kernelILj128ELj3ELj16E21rocsparse_complex_numIdEEEvi20rocsparse_direction_NS_24const_host_device_scalarIT2_EEPKiS8_PKS5_SA_S6_PS5_21rocsparse_index_base_b,"axG",@progbits,_ZN9rocsparseL19gebsrmvn_4xn_kernelILj128ELj3ELj16E21rocsparse_complex_numIdEEEvi20rocsparse_direction_NS_24const_host_device_scalarIT2_EEPKiS8_PKS5_SA_S6_PS5_21rocsparse_index_base_b,comdat
	.globl	_ZN9rocsparseL19gebsrmvn_4xn_kernelILj128ELj3ELj16E21rocsparse_complex_numIdEEEvi20rocsparse_direction_NS_24const_host_device_scalarIT2_EEPKiS8_PKS5_SA_S6_PS5_21rocsparse_index_base_b ; -- Begin function _ZN9rocsparseL19gebsrmvn_4xn_kernelILj128ELj3ELj16E21rocsparse_complex_numIdEEEvi20rocsparse_direction_NS_24const_host_device_scalarIT2_EEPKiS8_PKS5_SA_S6_PS5_21rocsparse_index_base_b
	.p2align	8
	.type	_ZN9rocsparseL19gebsrmvn_4xn_kernelILj128ELj3ELj16E21rocsparse_complex_numIdEEEvi20rocsparse_direction_NS_24const_host_device_scalarIT2_EEPKiS8_PKS5_SA_S6_PS5_21rocsparse_index_base_b,@function
_ZN9rocsparseL19gebsrmvn_4xn_kernelILj128ELj3ELj16E21rocsparse_complex_numIdEEEvi20rocsparse_direction_NS_24const_host_device_scalarIT2_EEPKiS8_PKS5_SA_S6_PS5_21rocsparse_index_base_b: ; @_ZN9rocsparseL19gebsrmvn_4xn_kernelILj128ELj3ELj16E21rocsparse_complex_numIdEEEvi20rocsparse_direction_NS_24const_host_device_scalarIT2_EEPKiS8_PKS5_SA_S6_PS5_21rocsparse_index_base_b
; %bb.0:
	s_load_dwordx2 s[0:1], s[4:5], 0x8
	s_load_dwordx2 s[2:3], s[4:5], 0x38
	;; [unrolled: 1-line block ×3, first 2 shown]
	s_add_u32 s7, s4, 8
	s_addc_u32 s8, s5, 0
	s_add_u32 s9, s4, 56
	s_addc_u32 s10, s5, 0
	s_waitcnt lgkmcnt(0)
	s_bitcmp1_b32 s17, 0
	s_cselect_b32 s1, s8, s1
	s_cselect_b32 s0, s7, s0
	v_mov_b32_e32 v1, s0
	v_mov_b32_e32 v2, s1
	flat_load_dwordx4 v[1:4], v[1:2]
	s_cselect_b32 s0, s10, s3
	s_cselect_b32 s1, s9, s2
	v_mov_b32_e32 v5, s1
	v_mov_b32_e32 v6, s0
	flat_load_dwordx4 v[5:8], v[5:6]
	s_waitcnt vmcnt(0) lgkmcnt(0)
	v_cmp_eq_f64_e32 vcc, 0, v[1:2]
	v_cmp_eq_f64_e64 s[0:1], 0, v[3:4]
	s_and_b64 s[8:9], vcc, s[0:1]
	s_mov_b64 s[0:1], -1
	s_and_saveexec_b64 s[2:3], s[8:9]
	s_cbranch_execz .LBB123_2
; %bb.1:
	v_cmp_neq_f64_e32 vcc, 1.0, v[5:6]
	v_cmp_neq_f64_e64 s[0:1], 0, v[7:8]
	s_or_b64 s[0:1], vcc, s[0:1]
	s_orn2_b64 s[0:1], s[0:1], exec
.LBB123_2:
	s_or_b64 exec, exec, s[2:3]
	s_and_saveexec_b64 s[2:3], s[0:1]
	s_cbranch_execz .LBB123_21
; %bb.3:
	s_load_dwordx2 s[0:1], s[4:5], 0x0
	v_lshrrev_b32_e32 v9, 4, v0
	v_lshl_or_b32 v9, s6, 3, v9
	s_waitcnt lgkmcnt(0)
	v_cmp_gt_i32_e32 vcc, s0, v9
	s_and_b64 exec, exec, vcc
	s_cbranch_execz .LBB123_21
; %bb.4:
	s_load_dwordx8 s[8:15], s[4:5], 0x18
	v_ashrrev_i32_e32 v10, 31, v9
	v_lshlrev_b64 v[10:11], 2, v[9:10]
	v_and_b32_e32 v0, 15, v0
	s_cmp_lg_u32 s1, 0
	s_waitcnt lgkmcnt(0)
	v_mov_b32_e32 v12, s9
	v_add_co_u32_e32 v10, vcc, s8, v10
	v_addc_co_u32_e32 v11, vcc, v12, v11, vcc
	global_load_dwordx2 v[10:11], v[10:11], off
	s_waitcnt vmcnt(0)
	v_subrev_u32_e32 v10, s16, v10
	v_subrev_u32_e32 v32, s16, v11
	v_add_u32_e32 v10, v10, v0
	v_cmp_lt_i32_e64 s[0:1], v10, v32
	s_cbranch_scc0 .LBB123_10
; %bb.5:
	v_mov_b32_e32 v24, 0
	v_mov_b32_e32 v26, 0
	;; [unrolled: 1-line block ×16, first 2 shown]
	s_and_saveexec_b64 s[6:7], s[0:1]
	s_cbranch_execz .LBB123_9
; %bb.6:
	v_mul_lo_u32 v28, v10, 12
	v_mov_b32_e32 v24, 0
	v_mov_b32_e32 v26, 0
	v_mov_b32_e32 v14, 0
	v_mov_b32_e32 v12, 0
	v_mov_b32_e32 v18, 0
	v_mov_b32_e32 v16, 0
	v_mov_b32_e32 v20, 0
	v_mov_b32_e32 v22, 0
	v_mov_b32_e32 v25, 0
	s_mov_b64 s[8:9], 0
	v_mov_b32_e32 v11, s11
	v_mov_b32_e32 v29, 0
	;; [unrolled: 1-line block ×12, first 2 shown]
.LBB123_7:                              ; =>This Inner Loop Header: Depth=1
	v_ashrrev_i32_e32 v31, 31, v30
	v_lshlrev_b64 v[35:36], 4, v[28:29]
	v_lshlrev_b64 v[37:38], 2, v[30:31]
	v_add_co_u32_e32 v45, vcc, s12, v35
	v_add_co_u32_e64 v39, s[2:3], s10, v37
	v_addc_co_u32_e32 v46, vcc, v33, v36, vcc
	v_addc_co_u32_e64 v40, vcc, v11, v38, s[2:3]
	global_load_dwordx4 v[35:38], v[45:46], off
	global_load_dword v31, v[39:40], off
	v_mov_b32_e32 v44, v29
	v_add_u32_e32 v47, 4, v28
	v_mov_b32_e32 v48, v29
	v_add_u32_e32 v30, 16, v30
	s_waitcnt vmcnt(0)
	v_subrev_u32_e32 v31, s16, v31
	v_lshl_add_u32 v43, v31, 1, v31
	v_lshlrev_b64 v[39:40], 4, v[43:44]
	v_add_co_u32_e32 v39, vcc, s14, v39
	v_addc_co_u32_e32 v40, vcc, v34, v40, vcc
	global_load_dwordx4 v[39:42], v[39:40], off
	s_waitcnt vmcnt(0)
	v_fma_f64 v[26:27], v[35:36], v[39:40], v[26:27]
	v_fma_f64 v[24:25], v[37:38], v[39:40], v[24:25]
	v_fma_f64 v[37:38], -v[37:38], v[41:42], v[26:27]
	v_fma_f64 v[35:36], v[35:36], v[41:42], v[24:25]
	global_load_dwordx4 v[24:27], v[45:46], off offset:16
	s_waitcnt vmcnt(0)
	v_fma_f64 v[20:21], v[24:25], v[39:40], v[20:21]
	v_fma_f64 v[22:23], v[26:27], v[39:40], v[22:23]
	v_fma_f64 v[26:27], -v[26:27], v[41:42], v[20:21]
	v_fma_f64 v[24:25], v[24:25], v[41:42], v[22:23]
	global_load_dwordx4 v[20:23], v[45:46], off offset:32
	;; [unrolled: 6-line block ×3, first 2 shown]
	s_waitcnt vmcnt(0)
	v_fma_f64 v[14:15], v[16:17], v[39:40], v[14:15]
	v_fma_f64 v[12:13], v[18:19], v[39:40], v[12:13]
	v_fma_f64 v[39:40], -v[18:19], v[41:42], v[14:15]
	v_fma_f64 v[41:42], v[16:17], v[41:42], v[12:13]
	v_lshlrev_b64 v[12:13], 4, v[47:48]
	v_mov_b32_e32 v17, v29
	v_add_u32_e32 v16, 1, v43
	v_add_co_u32_e32 v44, vcc, s12, v12
	v_lshlrev_b64 v[16:17], 4, v[16:17]
	v_addc_co_u32_e32 v45, vcc, v33, v13, vcc
	v_add_co_u32_e32 v16, vcc, s14, v16
	v_addc_co_u32_e32 v17, vcc, v34, v17, vcc
	global_load_dwordx4 v[12:15], v[44:45], off
	s_nop 0
	global_load_dwordx4 v[16:19], v[16:17], off
	s_waitcnt vmcnt(0)
	v_fma_f64 v[37:38], v[12:13], v[16:17], v[37:38]
	v_fma_f64 v[35:36], v[14:15], v[16:17], v[35:36]
	v_fma_f64 v[46:47], -v[14:15], v[18:19], v[37:38]
	v_fma_f64 v[48:49], v[12:13], v[18:19], v[35:36]
	global_load_dwordx4 v[12:15], v[44:45], off offset:16
	s_waitcnt vmcnt(0)
	v_fma_f64 v[26:27], v[12:13], v[16:17], v[26:27]
	v_fma_f64 v[24:25], v[14:15], v[16:17], v[24:25]
	v_fma_f64 v[50:51], -v[14:15], v[18:19], v[26:27]
	v_fma_f64 v[52:53], v[12:13], v[18:19], v[24:25]
	global_load_dwordx4 v[12:15], v[44:45], off offset:32
	s_waitcnt vmcnt(0)
	v_fma_f64 v[22:23], v[12:13], v[16:17], v[22:23]
	v_fma_f64 v[20:21], v[14:15], v[16:17], v[20:21]
	v_fma_f64 v[54:55], -v[14:15], v[18:19], v[22:23]
	v_fma_f64 v[56:57], v[12:13], v[18:19], v[20:21]
	global_load_dwordx4 v[12:15], v[44:45], off offset:48
	v_add_u32_e32 v20, 8, v28
	v_mov_b32_e32 v21, v29
	v_add_u32_e32 v28, 0xc0, v28
	s_waitcnt vmcnt(0)
	v_fma_f64 v[22:23], v[12:13], v[16:17], v[39:40]
	v_fma_f64 v[16:17], v[14:15], v[16:17], v[41:42]
	v_fma_f64 v[44:45], -v[14:15], v[18:19], v[22:23]
	v_fma_f64 v[16:17], v[12:13], v[18:19], v[16:17]
	v_lshlrev_b64 v[12:13], 4, v[20:21]
	v_mov_b32_e32 v19, v29
	v_add_u32_e32 v18, 2, v43
	v_add_co_u32_e32 v58, vcc, s12, v12
	v_lshlrev_b64 v[18:19], 4, v[18:19]
	v_addc_co_u32_e32 v59, vcc, v33, v13, vcc
	v_add_co_u32_e32 v18, vcc, s14, v18
	v_addc_co_u32_e32 v19, vcc, v34, v19, vcc
	global_load_dwordx4 v[12:15], v[58:59], off
	global_load_dwordx4 v[35:38], v[18:19], off
	v_cmp_ge_i32_e32 vcc, v30, v32
	s_or_b64 s[8:9], vcc, s[8:9]
	s_waitcnt vmcnt(0)
	v_fma_f64 v[18:19], v[12:13], v[35:36], v[46:47]
	v_fma_f64 v[20:21], v[14:15], v[35:36], v[48:49]
	v_fma_f64 v[26:27], -v[14:15], v[37:38], v[18:19]
	v_fma_f64 v[24:25], v[12:13], v[37:38], v[20:21]
	global_load_dwordx4 v[12:15], v[58:59], off offset:16
	s_waitcnt vmcnt(0)
	v_fma_f64 v[18:19], v[12:13], v[35:36], v[50:51]
	v_fma_f64 v[22:23], v[14:15], v[35:36], v[52:53]
	v_fma_f64 v[20:21], -v[14:15], v[37:38], v[18:19]
	v_fma_f64 v[22:23], v[12:13], v[37:38], v[22:23]
	global_load_dwordx4 v[12:15], v[58:59], off offset:32
	global_load_dwordx4 v[39:42], v[58:59], off offset:48
	s_waitcnt vmcnt(1)
	v_fma_f64 v[18:19], v[12:13], v[35:36], v[54:55]
	v_fma_f64 v[46:47], v[14:15], v[35:36], v[56:57]
	s_waitcnt vmcnt(0)
	v_fma_f64 v[43:44], v[39:40], v[35:36], v[44:45]
	v_fma_f64 v[35:36], v[41:42], v[35:36], v[16:17]
	v_fma_f64 v[18:19], -v[14:15], v[37:38], v[18:19]
	v_fma_f64 v[16:17], v[12:13], v[37:38], v[46:47]
	v_fma_f64 v[14:15], -v[41:42], v[37:38], v[43:44]
	v_fma_f64 v[12:13], v[39:40], v[37:38], v[35:36]
	s_andn2_b64 exec, exec, s[8:9]
	s_cbranch_execnz .LBB123_7
; %bb.8:
	s_or_b64 exec, exec, s[8:9]
.LBB123_9:
	s_or_b64 exec, exec, s[6:7]
	s_cbranch_execz .LBB123_11
	s_branch .LBB123_16
.LBB123_10:
                                        ; implicit-def: $vgpr24_vgpr25
                                        ; implicit-def: $vgpr26_vgpr27
                                        ; implicit-def: $vgpr14_vgpr15
                                        ; implicit-def: $vgpr12_vgpr13
                                        ; implicit-def: $vgpr18_vgpr19
                                        ; implicit-def: $vgpr16_vgpr17
                                        ; implicit-def: $vgpr20_vgpr21
                                        ; implicit-def: $vgpr22_vgpr23
.LBB123_11:
	v_mov_b32_e32 v24, 0
	v_mov_b32_e32 v26, 0
	v_mov_b32_e32 v14, 0
	v_mov_b32_e32 v12, 0
	v_mov_b32_e32 v18, 0
	v_mov_b32_e32 v16, 0
	v_mov_b32_e32 v20, 0
	v_mov_b32_e32 v22, 0
	v_mov_b32_e32 v25, 0
	v_mov_b32_e32 v27, 0
	v_mov_b32_e32 v15, 0
	v_mov_b32_e32 v13, 0
	v_mov_b32_e32 v19, 0
	v_mov_b32_e32 v17, 0
	v_mov_b32_e32 v21, 0
	v_mov_b32_e32 v23, 0
	s_and_saveexec_b64 s[2:3], s[0:1]
	s_cbranch_execz .LBB123_15
; %bb.12:
	v_mad_u64_u32 v[28:29], s[0:1], v10, 12, 11
	v_mov_b32_e32 v24, 0
	v_mov_b32_e32 v26, 0
	;; [unrolled: 1-line block ×9, first 2 shown]
	s_mov_b64 s[0:1], 0
	v_mov_b32_e32 v33, s11
	v_mov_b32_e32 v31, 0
	;; [unrolled: 1-line block ×11, first 2 shown]
.LBB123_13:                             ; =>This Inner Loop Header: Depth=1
	v_ashrrev_i32_e32 v11, 31, v10
	v_lshlrev_b64 v[36:37], 2, v[10:11]
	v_add_u32_e32 v30, -11, v28
	v_lshlrev_b64 v[29:30], 4, v[30:31]
	v_add_co_u32_e32 v44, vcc, s10, v36
	v_addc_co_u32_e32 v45, vcc, v33, v37, vcc
	v_add_co_u32_e32 v29, vcc, s12, v29
	v_addc_co_u32_e32 v30, vcc, v34, v30, vcc
	global_load_dword v11, v[44:45], off
	global_load_dwordx4 v[36:39], v[29:30], off
	global_load_dwordx4 v[40:43], v[29:30], off offset:16
	v_mov_b32_e32 v49, v31
	v_add_u32_e32 v10, 16, v10
	s_waitcnt vmcnt(2)
	v_subrev_u32_e32 v11, s16, v11
	v_lshl_add_u32 v48, v11, 1, v11
	v_lshlrev_b64 v[44:45], 4, v[48:49]
	v_add_co_u32_e32 v44, vcc, s14, v44
	v_addc_co_u32_e32 v45, vcc, v35, v45, vcc
	global_load_dwordx4 v[44:47], v[44:45], off
	s_waitcnt vmcnt(0)
	v_fma_f64 v[26:27], v[36:37], v[44:45], v[26:27]
	v_fma_f64 v[24:25], v[38:39], v[44:45], v[24:25]
	v_fma_f64 v[49:50], -v[38:39], v[46:47], v[26:27]
	v_fma_f64 v[51:52], v[36:37], v[46:47], v[24:25]
	global_load_dwordx4 v[24:27], v[29:30], off offset:48
	global_load_dwordx4 v[36:39], v[29:30], off offset:32
	s_waitcnt vmcnt(1)
	v_fma_f64 v[20:21], v[24:25], v[44:45], v[20:21]
	v_fma_f64 v[22:23], v[26:27], v[44:45], v[22:23]
	v_fma_f64 v[53:54], -v[26:27], v[46:47], v[20:21]
	v_add_u32_e32 v20, -5, v28
	v_mov_b32_e32 v21, v31
	v_lshlrev_b64 v[20:21], 4, v[20:21]
	v_fma_f64 v[55:56], v[24:25], v[46:47], v[22:23]
	v_add_co_u32_e32 v29, vcc, s12, v20
	v_addc_co_u32_e32 v30, vcc, v34, v21, vcc
	v_add_u32_e32 v20, -2, v28
	v_mov_b32_e32 v21, v31
	v_lshlrev_b64 v[20:21], 4, v[20:21]
	v_add_co_u32_e32 v57, vcc, s12, v20
	v_addc_co_u32_e32 v58, vcc, v34, v21, vcc
	global_load_dwordx4 v[20:23], v[29:30], off
	global_load_dwordx4 v[24:27], v[57:58], off
	v_add_u32_e32 v30, 1, v48
	v_mov_b32_e32 v29, v31
	s_waitcnt vmcnt(1)
	v_fma_f64 v[18:19], v[20:21], v[44:45], v[18:19]
	s_waitcnt vmcnt(0)
	v_fma_f64 v[11:12], v[26:27], v[44:45], v[12:13]
	v_fma_f64 v[14:15], v[24:25], v[44:45], v[14:15]
	v_fma_f64 v[16:17], v[22:23], v[44:45], v[16:17]
	v_fma_f64 v[57:58], -v[22:23], v[46:47], v[18:19]
	v_fma_f64 v[23:24], v[24:25], v[46:47], v[11:12]
	v_lshlrev_b64 v[11:12], 4, v[30:31]
	v_add_u32_e32 v30, -7, v28
	v_fma_f64 v[26:27], -v[26:27], v[46:47], v[14:15]
	v_lshlrev_b64 v[13:14], 4, v[30:31]
	v_add_co_u32_e32 v11, vcc, s14, v11
	v_addc_co_u32_e32 v12, vcc, v35, v12, vcc
	v_add_co_u32_e32 v15, vcc, s12, v13
	v_fma_f64 v[59:60], v[20:21], v[46:47], v[16:17]
	v_addc_co_u32_e32 v16, vcc, v34, v14, vcc
	global_load_dwordx4 v[11:14], v[11:12], off
	v_add_u32_e32 v30, -4, v28
	v_lshlrev_b64 v[19:20], 4, v[30:31]
	v_add_u32_e32 v30, -1, v28
	v_add_co_u32_e32 v19, vcc, s12, v19
	v_addc_co_u32_e32 v20, vcc, v34, v20, vcc
	s_waitcnt vmcnt(0)
	v_fma_f64 v[17:18], v[40:41], v[11:12], v[49:50]
	v_fma_f64 v[21:22], v[42:43], v[11:12], v[51:52]
	v_fma_f64 v[49:50], -v[42:43], v[13:14], v[17:18]
	global_load_dwordx4 v[15:18], v[15:16], off
	v_fma_f64 v[51:52], v[40:41], v[13:14], v[21:22]
	global_load_dwordx4 v[19:22], v[19:20], off
	s_waitcnt vmcnt(1)
	v_fma_f64 v[42:43], v[17:18], v[11:12], v[55:56]
	v_fma_f64 v[40:41], v[15:16], v[11:12], v[53:54]
	s_waitcnt vmcnt(0)
	v_fma_f64 v[44:45], v[21:22], v[11:12], v[59:60]
	v_fma_f64 v[55:56], v[15:16], v[13:14], v[42:43]
	v_lshlrev_b64 v[15:16], 4, v[28:29]
	v_fma_f64 v[53:54], -v[17:18], v[13:14], v[40:41]
	v_add_co_u32_e32 v15, vcc, s12, v15
	v_addc_co_u32_e32 v16, vcc, v34, v16, vcc
	global_load_dwordx4 v[40:43], v[15:16], off
	v_fma_f64 v[15:16], v[19:20], v[11:12], v[57:58]
	v_lshlrev_b64 v[17:18], 4, v[30:31]
	v_add_u32_e32 v30, 2, v48
	v_fma_f64 v[19:20], v[19:20], v[13:14], v[44:45]
	v_lshlrev_b64 v[44:45], 4, v[30:31]
	v_add_u32_e32 v30, -6, v28
	v_fma_f64 v[21:22], -v[21:22], v[13:14], v[15:16]
	v_add_co_u32_e32 v15, vcc, s12, v17
	v_addc_co_u32_e32 v16, vcc, v34, v18, vcc
	global_load_dwordx4 v[15:18], v[15:16], off
	s_waitcnt vmcnt(0)
	v_fma_f64 v[25:26], v[15:16], v[11:12], v[26:27]
	v_fma_f64 v[11:12], v[17:18], v[11:12], v[23:24]
	v_fma_f64 v[57:58], -v[17:18], v[13:14], v[25:26]
	v_fma_f64 v[59:60], v[15:16], v[13:14], v[11:12]
	v_add_co_u32_e32 v13, vcc, s14, v44
	v_addc_co_u32_e32 v14, vcc, v35, v45, vcc
	global_load_dwordx4 v[44:47], v[13:14], off
	v_lshlrev_b64 v[11:12], 4, v[30:31]
	v_add_u32_e32 v30, -3, v28
	v_lshlrev_b64 v[15:16], 4, v[30:31]
	v_add_co_u32_e32 v11, vcc, s12, v11
	v_addc_co_u32_e32 v12, vcc, v34, v12, vcc
	v_add_co_u32_e32 v15, vcc, s12, v15
	v_addc_co_u32_e32 v16, vcc, v34, v16, vcc
	global_load_dwordx4 v[11:14], v[11:12], off
	v_cmp_ge_i32_e32 vcc, v10, v32
	s_or_b64 s[0:1], vcc, s[0:1]
	v_add_u32_e32 v28, 0xc0, v28
	s_waitcnt vmcnt(1)
	v_fma_f64 v[17:18], v[36:37], v[44:45], v[49:50]
	v_fma_f64 v[23:24], v[38:39], v[44:45], v[51:52]
	;; [unrolled: 1-line block ×3, first 2 shown]
	v_fma_f64 v[26:27], -v[38:39], v[46:47], v[17:18]
	global_load_dwordx4 v[15:18], v[15:16], off
	v_fma_f64 v[24:25], v[36:37], v[46:47], v[23:24]
	s_waitcnt vmcnt(1)
	v_fma_f64 v[29:30], v[11:12], v[44:45], v[53:54]
	v_fma_f64 v[36:37], v[13:14], v[44:45], v[55:56]
	s_waitcnt vmcnt(0)
	v_fma_f64 v[38:39], v[15:16], v[44:45], v[21:22]
	v_fma_f64 v[48:49], v[17:18], v[44:45], v[19:20]
	;; [unrolled: 1-line block ×3, first 2 shown]
	v_fma_f64 v[20:21], -v[13:14], v[46:47], v[29:30]
	v_fma_f64 v[22:23], v[11:12], v[46:47], v[36:37]
	v_fma_f64 v[18:19], -v[17:18], v[46:47], v[38:39]
	v_fma_f64 v[16:17], v[15:16], v[46:47], v[48:49]
	;; [unrolled: 2-line block ×3, first 2 shown]
	s_andn2_b64 exec, exec, s[0:1]
	s_cbranch_execnz .LBB123_13
; %bb.14:
	s_or_b64 exec, exec, s[0:1]
.LBB123_15:
	s_or_b64 exec, exec, s[2:3]
.LBB123_16:
	v_mov_b32_dpp v10, v26 row_shr:1 row_mask:0xf bank_mask:0xf
	v_mov_b32_dpp v11, v27 row_shr:1 row_mask:0xf bank_mask:0xf
	v_add_f64 v[10:11], v[26:27], v[10:11]
	v_mov_b32_dpp v26, v24 row_shr:1 row_mask:0xf bank_mask:0xf
	v_mov_b32_dpp v27, v25 row_shr:1 row_mask:0xf bank_mask:0xf
	v_add_f64 v[24:25], v[24:25], v[26:27]
	;; [unrolled: 3-line block ×3, first 2 shown]
	v_mov_b32_dpp v35, v16 row_shr:1 row_mask:0xf bank_mask:0xf
	v_mov_b32_dpp v28, v10 row_shr:2 row_mask:0xf bank_mask:0xf
	;; [unrolled: 1-line block ×3, first 2 shown]
	v_add_f64 v[10:11], v[10:11], v[28:29]
	v_mov_b32_dpp v28, v24 row_shr:2 row_mask:0xf bank_mask:0xf
	v_mov_b32_dpp v29, v25 row_shr:2 row_mask:0xf bank_mask:0xf
	v_add_f64 v[24:25], v[24:25], v[28:29]
	v_mov_b32_dpp v28, v22 row_shr:1 row_mask:0xf bank_mask:0xf
	v_mov_b32_dpp v29, v23 row_shr:1 row_mask:0xf bank_mask:0xf
	;; [unrolled: 3-line block ×3, first 2 shown]
	v_add_f64 v[20:21], v[20:21], v[28:29]
	v_mov_b32_dpp v36, v17 row_shr:1 row_mask:0xf bank_mask:0xf
	v_add_f64 v[16:17], v[16:17], v[35:36]
	v_mov_b32_dpp v35, v14 row_shr:1 row_mask:0xf bank_mask:0xf
	v_mov_b32_dpp v36, v15 row_shr:1 row_mask:0xf bank_mask:0xf
	;; [unrolled: 1-line block ×4, first 2 shown]
	v_add_f64 v[22:23], v[22:23], v[28:29]
	v_mov_b32_dpp v28, v18 row_shr:1 row_mask:0xf bank_mask:0xf
	v_mov_b32_dpp v29, v19 row_shr:1 row_mask:0xf bank_mask:0xf
	v_add_f64 v[28:29], v[18:19], v[28:29]
	v_add_f64 v[14:15], v[14:15], v[35:36]
	v_mov_b32_dpp v35, v12 row_shr:1 row_mask:0xf bank_mask:0xf
	v_mov_b32_dpp v36, v13 row_shr:1 row_mask:0xf bank_mask:0xf
	v_add_f64 v[12:13], v[12:13], v[35:36]
	v_mov_b32_dpp v26, v10 row_shr:4 row_mask:0xf bank_mask:0xe
	v_mov_b32_dpp v27, v11 row_shr:4 row_mask:0xf bank_mask:0xe
	;; [unrolled: 3-line block ×5, first 2 shown]
	v_mov_b32_dpp v36, v16 row_shr:2 row_mask:0xf bank_mask:0xf
	v_mov_b32_dpp v37, v17 row_shr:2 row_mask:0xf bank_mask:0xf
	v_add_f64 v[22:23], v[22:23], v[24:25]
	v_mov_b32_dpp v24, v28 row_shr:2 row_mask:0xf bank_mask:0xf
	v_mov_b32_dpp v25, v29 row_shr:2 row_mask:0xf bank_mask:0xf
	v_add_f64 v[16:17], v[16:17], v[36:37]
	;; [unrolled: 3-line block ×3, first 2 shown]
	v_add_f64 v[36:37], v[14:15], v[36:37]
	v_mov_b32_dpp v14, v12 row_shr:2 row_mask:0xf bank_mask:0xf
	v_mov_b32_dpp v15, v13 row_shr:2 row_mask:0xf bank_mask:0xf
	v_add_f64 v[38:39], v[12:13], v[14:15]
	v_mov_b32_dpp v14, v16 row_shr:4 row_mask:0xf bank_mask:0xe
	v_mov_b32_dpp v15, v17 row_shr:4 row_mask:0xf bank_mask:0xe
	v_add_f64 v[14:15], v[16:17], v[14:15]
	v_mov_b32_dpp v34, v32 row_shr:4 row_mask:0xf bank_mask:0xe
	v_mov_b32_dpp v35, v33 row_shr:4 row_mask:0xf bank_mask:0xe
	v_mov_b32_dpp v16, v36 row_shr:4 row_mask:0xf bank_mask:0xe
	v_mov_b32_dpp v17, v37 row_shr:4 row_mask:0xf bank_mask:0xe
	v_add_f64 v[12:13], v[32:33], v[34:35]
	v_add_f64 v[34:35], v[36:37], v[16:17]
	v_mov_b32_dpp v16, v38 row_shr:4 row_mask:0xf bank_mask:0xe
	v_mov_b32_dpp v17, v39 row_shr:4 row_mask:0xf bank_mask:0xe
	v_add_f64 v[32:33], v[38:39], v[16:17]
	v_mov_b32_dpp v30, v10 row_shr:8 row_mask:0xf bank_mask:0xc
	v_mov_b32_dpp v31, v11 row_shr:8 row_mask:0xf bank_mask:0xc
	;; [unrolled: 1-line block ×16, first 2 shown]
	v_cmp_eq_u32_e32 vcc, 15, v0
	s_and_b64 exec, exec, vcc
	s_cbranch_execz .LBB123_21
; %bb.17:
	v_cmp_eq_f64_e32 vcc, 0, v[5:6]
	v_cmp_eq_f64_e64 s[0:1], 0, v[7:8]
	v_add_f64 v[16:17], v[10:11], v[30:31]
	v_add_f64 v[24:25], v[18:19], v[24:25]
	;; [unrolled: 1-line block ×8, first 2 shown]
	s_load_dwordx2 s[2:3], s[4:5], 0x48
	s_and_b64 s[0:1], vcc, s[0:1]
	s_and_saveexec_b64 s[4:5], s[0:1]
	s_xor_b64 s[0:1], exec, s[4:5]
	s_cbranch_execz .LBB123_19
; %bb.18:
	v_mul_f64 v[5:6], v[24:25], -v[3:4]
	v_mul_f64 v[7:8], v[1:2], v[24:25]
	v_mul_f64 v[26:27], v[22:23], -v[3:4]
	v_mul_f64 v[22:23], v[1:2], v[22:23]
	;; [unrolled: 2-line block ×4, first 2 shown]
	v_fma_f64 v[5:6], v[1:2], v[16:17], v[5:6]
	v_fma_f64 v[7:8], v[3:4], v[16:17], v[7:8]
	;; [unrolled: 1-line block ×4, first 2 shown]
	v_lshlrev_b32_e32 v24, 2, v9
	v_fma_f64 v[9:10], v[1:2], v[12:13], v[28:29]
	v_fma_f64 v[11:12], v[3:4], v[12:13], v[30:31]
	v_ashrrev_i32_e32 v25, 31, v24
	v_fma_f64 v[0:1], v[1:2], v[14:15], v[32:33]
	v_fma_f64 v[2:3], v[3:4], v[14:15], v[20:21]
	v_lshlrev_b64 v[24:25], 4, v[24:25]
	s_waitcnt lgkmcnt(0)
	v_mov_b32_e32 v34, s3
	v_add_co_u32_e32 v13, vcc, s2, v24
	v_addc_co_u32_e32 v14, vcc, v34, v25, vcc
	global_store_dwordx4 v[13:14], v[5:8], off
	global_store_dwordx4 v[13:14], v[16:19], off offset:16
	global_store_dwordx4 v[13:14], v[9:12], off offset:32
	;; [unrolled: 1-line block ×3, first 2 shown]
                                        ; implicit-def: $vgpr9
                                        ; implicit-def: $vgpr16_vgpr17
                                        ; implicit-def: $vgpr24_vgpr25
                                        ; implicit-def: $vgpr10_vgpr11
                                        ; implicit-def: $vgpr22_vgpr23
                                        ; implicit-def: $vgpr12_vgpr13
                                        ; implicit-def: $vgpr18_vgpr19
                                        ; implicit-def: $vgpr14_vgpr15
                                        ; implicit-def: $vgpr20_vgpr21
                                        ; implicit-def: $vgpr7_vgpr8
                                        ; implicit-def: $vgpr3_vgpr4
.LBB123_19:
	s_andn2_saveexec_b64 s[0:1], s[0:1]
	s_cbranch_execz .LBB123_21
; %bb.20:
	v_lshlrev_b32_e32 v26, 2, v9
	v_ashrrev_i32_e32 v27, 31, v26
	v_lshlrev_b64 v[26:27], 4, v[26:27]
	s_waitcnt lgkmcnt(0)
	v_mov_b32_e32 v0, s3
	v_add_co_u32_e32 v42, vcc, s2, v26
	v_addc_co_u32_e32 v43, vcc, v0, v27, vcc
	global_load_dwordx4 v[26:29], v[42:43], off
	global_load_dwordx4 v[30:33], v[42:43], off offset:16
	global_load_dwordx4 v[34:37], v[42:43], off offset:32
	;; [unrolled: 1-line block ×3, first 2 shown]
	v_mul_f64 v[44:45], v[24:25], -v[3:4]
	v_mul_f64 v[24:25], v[1:2], v[24:25]
	v_mul_f64 v[46:47], v[22:23], -v[3:4]
	v_mul_f64 v[22:23], v[1:2], v[22:23]
	;; [unrolled: 2-line block ×4, first 2 shown]
	v_fma_f64 v[44:45], v[1:2], v[16:17], v[44:45]
	v_fma_f64 v[16:17], v[3:4], v[16:17], v[24:25]
	;; [unrolled: 1-line block ×8, first 2 shown]
	s_waitcnt vmcnt(3)
	v_fma_f64 v[13:14], v[5:6], v[26:27], v[44:45]
	v_fma_f64 v[15:16], v[7:8], v[26:27], v[16:17]
	s_waitcnt vmcnt(2)
	v_fma_f64 v[17:18], v[5:6], v[30:31], v[24:25]
	v_fma_f64 v[19:20], v[7:8], v[30:31], v[9:10]
	s_waitcnt vmcnt(1)
	v_fma_f64 v[21:22], v[5:6], v[34:35], v[22:23]
	v_fma_f64 v[23:24], v[7:8], v[34:35], v[11:12]
	s_waitcnt vmcnt(0)
	v_fma_f64 v[25:26], v[5:6], v[38:39], v[0:1]
	v_fma_f64 v[30:31], v[7:8], v[38:39], v[2:3]
	v_fma_f64 v[0:1], -v[7:8], v[28:29], v[13:14]
	v_fma_f64 v[2:3], v[5:6], v[28:29], v[15:16]
	v_fma_f64 v[9:10], -v[7:8], v[32:33], v[17:18]
	v_fma_f64 v[11:12], v[5:6], v[32:33], v[19:20]
	;; [unrolled: 2-line block ×4, first 2 shown]
	global_store_dwordx4 v[42:43], v[0:3], off
	global_store_dwordx4 v[42:43], v[9:12], off offset:16
	global_store_dwordx4 v[42:43], v[13:16], off offset:32
	global_store_dwordx4 v[42:43], v[17:20], off offset:48
.LBB123_21:
	s_endpgm
	.section	.rodata,"a",@progbits
	.p2align	6, 0x0
	.amdhsa_kernel _ZN9rocsparseL19gebsrmvn_4xn_kernelILj128ELj3ELj16E21rocsparse_complex_numIdEEEvi20rocsparse_direction_NS_24const_host_device_scalarIT2_EEPKiS8_PKS5_SA_S6_PS5_21rocsparse_index_base_b
		.amdhsa_group_segment_fixed_size 0
		.amdhsa_private_segment_fixed_size 0
		.amdhsa_kernarg_size 88
		.amdhsa_user_sgpr_count 6
		.amdhsa_user_sgpr_private_segment_buffer 1
		.amdhsa_user_sgpr_dispatch_ptr 0
		.amdhsa_user_sgpr_queue_ptr 0
		.amdhsa_user_sgpr_kernarg_segment_ptr 1
		.amdhsa_user_sgpr_dispatch_id 0
		.amdhsa_user_sgpr_flat_scratch_init 0
		.amdhsa_user_sgpr_private_segment_size 0
		.amdhsa_uses_dynamic_stack 0
		.amdhsa_system_sgpr_private_segment_wavefront_offset 0
		.amdhsa_system_sgpr_workgroup_id_x 1
		.amdhsa_system_sgpr_workgroup_id_y 0
		.amdhsa_system_sgpr_workgroup_id_z 0
		.amdhsa_system_sgpr_workgroup_info 0
		.amdhsa_system_vgpr_workitem_id 0
		.amdhsa_next_free_vgpr 61
		.amdhsa_next_free_sgpr 18
		.amdhsa_reserve_vcc 1
		.amdhsa_reserve_flat_scratch 0
		.amdhsa_float_round_mode_32 0
		.amdhsa_float_round_mode_16_64 0
		.amdhsa_float_denorm_mode_32 3
		.amdhsa_float_denorm_mode_16_64 3
		.amdhsa_dx10_clamp 1
		.amdhsa_ieee_mode 1
		.amdhsa_fp16_overflow 0
		.amdhsa_exception_fp_ieee_invalid_op 0
		.amdhsa_exception_fp_denorm_src 0
		.amdhsa_exception_fp_ieee_div_zero 0
		.amdhsa_exception_fp_ieee_overflow 0
		.amdhsa_exception_fp_ieee_underflow 0
		.amdhsa_exception_fp_ieee_inexact 0
		.amdhsa_exception_int_div_zero 0
	.end_amdhsa_kernel
	.section	.text._ZN9rocsparseL19gebsrmvn_4xn_kernelILj128ELj3ELj16E21rocsparse_complex_numIdEEEvi20rocsparse_direction_NS_24const_host_device_scalarIT2_EEPKiS8_PKS5_SA_S6_PS5_21rocsparse_index_base_b,"axG",@progbits,_ZN9rocsparseL19gebsrmvn_4xn_kernelILj128ELj3ELj16E21rocsparse_complex_numIdEEEvi20rocsparse_direction_NS_24const_host_device_scalarIT2_EEPKiS8_PKS5_SA_S6_PS5_21rocsparse_index_base_b,comdat
.Lfunc_end123:
	.size	_ZN9rocsparseL19gebsrmvn_4xn_kernelILj128ELj3ELj16E21rocsparse_complex_numIdEEEvi20rocsparse_direction_NS_24const_host_device_scalarIT2_EEPKiS8_PKS5_SA_S6_PS5_21rocsparse_index_base_b, .Lfunc_end123-_ZN9rocsparseL19gebsrmvn_4xn_kernelILj128ELj3ELj16E21rocsparse_complex_numIdEEEvi20rocsparse_direction_NS_24const_host_device_scalarIT2_EEPKiS8_PKS5_SA_S6_PS5_21rocsparse_index_base_b
                                        ; -- End function
	.set _ZN9rocsparseL19gebsrmvn_4xn_kernelILj128ELj3ELj16E21rocsparse_complex_numIdEEEvi20rocsparse_direction_NS_24const_host_device_scalarIT2_EEPKiS8_PKS5_SA_S6_PS5_21rocsparse_index_base_b.num_vgpr, 61
	.set _ZN9rocsparseL19gebsrmvn_4xn_kernelILj128ELj3ELj16E21rocsparse_complex_numIdEEEvi20rocsparse_direction_NS_24const_host_device_scalarIT2_EEPKiS8_PKS5_SA_S6_PS5_21rocsparse_index_base_b.num_agpr, 0
	.set _ZN9rocsparseL19gebsrmvn_4xn_kernelILj128ELj3ELj16E21rocsparse_complex_numIdEEEvi20rocsparse_direction_NS_24const_host_device_scalarIT2_EEPKiS8_PKS5_SA_S6_PS5_21rocsparse_index_base_b.numbered_sgpr, 18
	.set _ZN9rocsparseL19gebsrmvn_4xn_kernelILj128ELj3ELj16E21rocsparse_complex_numIdEEEvi20rocsparse_direction_NS_24const_host_device_scalarIT2_EEPKiS8_PKS5_SA_S6_PS5_21rocsparse_index_base_b.num_named_barrier, 0
	.set _ZN9rocsparseL19gebsrmvn_4xn_kernelILj128ELj3ELj16E21rocsparse_complex_numIdEEEvi20rocsparse_direction_NS_24const_host_device_scalarIT2_EEPKiS8_PKS5_SA_S6_PS5_21rocsparse_index_base_b.private_seg_size, 0
	.set _ZN9rocsparseL19gebsrmvn_4xn_kernelILj128ELj3ELj16E21rocsparse_complex_numIdEEEvi20rocsparse_direction_NS_24const_host_device_scalarIT2_EEPKiS8_PKS5_SA_S6_PS5_21rocsparse_index_base_b.uses_vcc, 1
	.set _ZN9rocsparseL19gebsrmvn_4xn_kernelILj128ELj3ELj16E21rocsparse_complex_numIdEEEvi20rocsparse_direction_NS_24const_host_device_scalarIT2_EEPKiS8_PKS5_SA_S6_PS5_21rocsparse_index_base_b.uses_flat_scratch, 0
	.set _ZN9rocsparseL19gebsrmvn_4xn_kernelILj128ELj3ELj16E21rocsparse_complex_numIdEEEvi20rocsparse_direction_NS_24const_host_device_scalarIT2_EEPKiS8_PKS5_SA_S6_PS5_21rocsparse_index_base_b.has_dyn_sized_stack, 0
	.set _ZN9rocsparseL19gebsrmvn_4xn_kernelILj128ELj3ELj16E21rocsparse_complex_numIdEEEvi20rocsparse_direction_NS_24const_host_device_scalarIT2_EEPKiS8_PKS5_SA_S6_PS5_21rocsparse_index_base_b.has_recursion, 0
	.set _ZN9rocsparseL19gebsrmvn_4xn_kernelILj128ELj3ELj16E21rocsparse_complex_numIdEEEvi20rocsparse_direction_NS_24const_host_device_scalarIT2_EEPKiS8_PKS5_SA_S6_PS5_21rocsparse_index_base_b.has_indirect_call, 0
	.section	.AMDGPU.csdata,"",@progbits
; Kernel info:
; codeLenInByte = 3656
; TotalNumSgprs: 22
; NumVgprs: 61
; ScratchSize: 0
; MemoryBound: 0
; FloatMode: 240
; IeeeMode: 1
; LDSByteSize: 0 bytes/workgroup (compile time only)
; SGPRBlocks: 2
; VGPRBlocks: 15
; NumSGPRsForWavesPerEU: 22
; NumVGPRsForWavesPerEU: 61
; Occupancy: 4
; WaveLimiterHint : 1
; COMPUTE_PGM_RSRC2:SCRATCH_EN: 0
; COMPUTE_PGM_RSRC2:USER_SGPR: 6
; COMPUTE_PGM_RSRC2:TRAP_HANDLER: 0
; COMPUTE_PGM_RSRC2:TGID_X_EN: 1
; COMPUTE_PGM_RSRC2:TGID_Y_EN: 0
; COMPUTE_PGM_RSRC2:TGID_Z_EN: 0
; COMPUTE_PGM_RSRC2:TIDIG_COMP_CNT: 0
	.section	.text._ZN9rocsparseL19gebsrmvn_4xn_kernelILj128ELj3ELj32E21rocsparse_complex_numIdEEEvi20rocsparse_direction_NS_24const_host_device_scalarIT2_EEPKiS8_PKS5_SA_S6_PS5_21rocsparse_index_base_b,"axG",@progbits,_ZN9rocsparseL19gebsrmvn_4xn_kernelILj128ELj3ELj32E21rocsparse_complex_numIdEEEvi20rocsparse_direction_NS_24const_host_device_scalarIT2_EEPKiS8_PKS5_SA_S6_PS5_21rocsparse_index_base_b,comdat
	.globl	_ZN9rocsparseL19gebsrmvn_4xn_kernelILj128ELj3ELj32E21rocsparse_complex_numIdEEEvi20rocsparse_direction_NS_24const_host_device_scalarIT2_EEPKiS8_PKS5_SA_S6_PS5_21rocsparse_index_base_b ; -- Begin function _ZN9rocsparseL19gebsrmvn_4xn_kernelILj128ELj3ELj32E21rocsparse_complex_numIdEEEvi20rocsparse_direction_NS_24const_host_device_scalarIT2_EEPKiS8_PKS5_SA_S6_PS5_21rocsparse_index_base_b
	.p2align	8
	.type	_ZN9rocsparseL19gebsrmvn_4xn_kernelILj128ELj3ELj32E21rocsparse_complex_numIdEEEvi20rocsparse_direction_NS_24const_host_device_scalarIT2_EEPKiS8_PKS5_SA_S6_PS5_21rocsparse_index_base_b,@function
_ZN9rocsparseL19gebsrmvn_4xn_kernelILj128ELj3ELj32E21rocsparse_complex_numIdEEEvi20rocsparse_direction_NS_24const_host_device_scalarIT2_EEPKiS8_PKS5_SA_S6_PS5_21rocsparse_index_base_b: ; @_ZN9rocsparseL19gebsrmvn_4xn_kernelILj128ELj3ELj32E21rocsparse_complex_numIdEEEvi20rocsparse_direction_NS_24const_host_device_scalarIT2_EEPKiS8_PKS5_SA_S6_PS5_21rocsparse_index_base_b
; %bb.0:
	s_load_dwordx2 s[0:1], s[4:5], 0x8
	s_load_dwordx2 s[2:3], s[4:5], 0x38
	;; [unrolled: 1-line block ×3, first 2 shown]
	s_add_u32 s7, s4, 8
	s_addc_u32 s8, s5, 0
	s_add_u32 s9, s4, 56
	s_addc_u32 s10, s5, 0
	s_waitcnt lgkmcnt(0)
	s_bitcmp1_b32 s17, 0
	s_cselect_b32 s1, s8, s1
	s_cselect_b32 s0, s7, s0
	v_mov_b32_e32 v1, s0
	v_mov_b32_e32 v2, s1
	flat_load_dwordx4 v[1:4], v[1:2]
	s_cselect_b32 s0, s10, s3
	s_cselect_b32 s1, s9, s2
	v_mov_b32_e32 v5, s1
	v_mov_b32_e32 v6, s0
	flat_load_dwordx4 v[5:8], v[5:6]
	s_waitcnt vmcnt(0) lgkmcnt(0)
	v_cmp_eq_f64_e32 vcc, 0, v[1:2]
	v_cmp_eq_f64_e64 s[0:1], 0, v[3:4]
	s_and_b64 s[8:9], vcc, s[0:1]
	s_mov_b64 s[0:1], -1
	s_and_saveexec_b64 s[2:3], s[8:9]
	s_cbranch_execz .LBB124_2
; %bb.1:
	v_cmp_neq_f64_e32 vcc, 1.0, v[5:6]
	v_cmp_neq_f64_e64 s[0:1], 0, v[7:8]
	s_or_b64 s[0:1], vcc, s[0:1]
	s_orn2_b64 s[0:1], s[0:1], exec
.LBB124_2:
	s_or_b64 exec, exec, s[2:3]
	s_and_saveexec_b64 s[2:3], s[0:1]
	s_cbranch_execz .LBB124_21
; %bb.3:
	s_load_dwordx2 s[0:1], s[4:5], 0x0
	v_lshrrev_b32_e32 v9, 5, v0
	v_lshl_or_b32 v9, s6, 2, v9
	s_waitcnt lgkmcnt(0)
	v_cmp_gt_i32_e32 vcc, s0, v9
	s_and_b64 exec, exec, vcc
	s_cbranch_execz .LBB124_21
; %bb.4:
	s_load_dwordx8 s[8:15], s[4:5], 0x18
	v_ashrrev_i32_e32 v10, 31, v9
	v_lshlrev_b64 v[10:11], 2, v[9:10]
	v_and_b32_e32 v0, 31, v0
	s_cmp_lg_u32 s1, 0
	s_waitcnt lgkmcnt(0)
	v_mov_b32_e32 v12, s9
	v_add_co_u32_e32 v10, vcc, s8, v10
	v_addc_co_u32_e32 v11, vcc, v12, v11, vcc
	global_load_dwordx2 v[10:11], v[10:11], off
	s_waitcnt vmcnt(0)
	v_subrev_u32_e32 v10, s16, v10
	v_subrev_u32_e32 v32, s16, v11
	v_add_u32_e32 v10, v10, v0
	v_cmp_lt_i32_e64 s[0:1], v10, v32
	s_cbranch_scc0 .LBB124_10
; %bb.5:
	v_mov_b32_e32 v24, 0
	v_mov_b32_e32 v26, 0
	;; [unrolled: 1-line block ×16, first 2 shown]
	s_and_saveexec_b64 s[6:7], s[0:1]
	s_cbranch_execz .LBB124_9
; %bb.6:
	v_mul_lo_u32 v28, v10, 12
	v_mov_b32_e32 v24, 0
	v_mov_b32_e32 v26, 0
	v_mov_b32_e32 v14, 0
	v_mov_b32_e32 v12, 0
	v_mov_b32_e32 v18, 0
	v_mov_b32_e32 v16, 0
	v_mov_b32_e32 v22, 0
	v_mov_b32_e32 v20, 0
	v_mov_b32_e32 v25, 0
	s_mov_b64 s[8:9], 0
	v_mov_b32_e32 v11, s11
	v_mov_b32_e32 v29, 0
	;; [unrolled: 1-line block ×12, first 2 shown]
.LBB124_7:                              ; =>This Inner Loop Header: Depth=1
	v_ashrrev_i32_e32 v31, 31, v30
	v_lshlrev_b64 v[35:36], 4, v[28:29]
	v_lshlrev_b64 v[37:38], 2, v[30:31]
	v_add_co_u32_e32 v45, vcc, s12, v35
	v_add_co_u32_e64 v39, s[2:3], s10, v37
	v_addc_co_u32_e32 v46, vcc, v33, v36, vcc
	v_addc_co_u32_e64 v40, vcc, v11, v38, s[2:3]
	global_load_dwordx4 v[35:38], v[45:46], off
	global_load_dword v31, v[39:40], off
	v_mov_b32_e32 v44, v29
	v_add_u32_e32 v47, 4, v28
	v_mov_b32_e32 v48, v29
	v_add_u32_e32 v30, 32, v30
	s_waitcnt vmcnt(0)
	v_subrev_u32_e32 v31, s16, v31
	v_lshl_add_u32 v43, v31, 1, v31
	v_lshlrev_b64 v[39:40], 4, v[43:44]
	v_add_co_u32_e32 v39, vcc, s14, v39
	v_addc_co_u32_e32 v40, vcc, v34, v40, vcc
	global_load_dwordx4 v[39:42], v[39:40], off
	s_waitcnt vmcnt(0)
	v_fma_f64 v[26:27], v[35:36], v[39:40], v[26:27]
	v_fma_f64 v[24:25], v[37:38], v[39:40], v[24:25]
	v_fma_f64 v[37:38], -v[37:38], v[41:42], v[26:27]
	v_fma_f64 v[35:36], v[35:36], v[41:42], v[24:25]
	global_load_dwordx4 v[24:27], v[45:46], off offset:16
	s_waitcnt vmcnt(0)
	v_fma_f64 v[22:23], v[24:25], v[39:40], v[22:23]
	v_fma_f64 v[20:21], v[26:27], v[39:40], v[20:21]
	v_fma_f64 v[26:27], -v[26:27], v[41:42], v[22:23]
	v_fma_f64 v[24:25], v[24:25], v[41:42], v[20:21]
	global_load_dwordx4 v[20:23], v[45:46], off offset:32
	;; [unrolled: 6-line block ×3, first 2 shown]
	s_waitcnt vmcnt(0)
	v_fma_f64 v[14:15], v[16:17], v[39:40], v[14:15]
	v_fma_f64 v[12:13], v[18:19], v[39:40], v[12:13]
	v_fma_f64 v[39:40], -v[18:19], v[41:42], v[14:15]
	v_fma_f64 v[41:42], v[16:17], v[41:42], v[12:13]
	v_lshlrev_b64 v[12:13], 4, v[47:48]
	v_mov_b32_e32 v17, v29
	v_add_u32_e32 v16, 1, v43
	v_add_co_u32_e32 v44, vcc, s12, v12
	v_lshlrev_b64 v[16:17], 4, v[16:17]
	v_addc_co_u32_e32 v45, vcc, v33, v13, vcc
	v_add_co_u32_e32 v16, vcc, s14, v16
	v_addc_co_u32_e32 v17, vcc, v34, v17, vcc
	global_load_dwordx4 v[12:15], v[44:45], off
	s_nop 0
	global_load_dwordx4 v[16:19], v[16:17], off
	s_waitcnt vmcnt(0)
	v_fma_f64 v[37:38], v[12:13], v[16:17], v[37:38]
	v_fma_f64 v[35:36], v[14:15], v[16:17], v[35:36]
	v_fma_f64 v[46:47], -v[14:15], v[18:19], v[37:38]
	v_fma_f64 v[48:49], v[12:13], v[18:19], v[35:36]
	global_load_dwordx4 v[12:15], v[44:45], off offset:16
	s_waitcnt vmcnt(0)
	v_fma_f64 v[26:27], v[12:13], v[16:17], v[26:27]
	v_fma_f64 v[24:25], v[14:15], v[16:17], v[24:25]
	v_fma_f64 v[50:51], -v[14:15], v[18:19], v[26:27]
	v_fma_f64 v[52:53], v[12:13], v[18:19], v[24:25]
	global_load_dwordx4 v[12:15], v[44:45], off offset:32
	;; [unrolled: 6-line block ×3, first 2 shown]
	v_add_u32_e32 v20, 8, v28
	v_mov_b32_e32 v21, v29
	v_add_u32_e32 v28, 0x180, v28
	s_waitcnt vmcnt(0)
	v_fma_f64 v[22:23], v[12:13], v[16:17], v[39:40]
	v_fma_f64 v[16:17], v[14:15], v[16:17], v[41:42]
	v_fma_f64 v[44:45], -v[14:15], v[18:19], v[22:23]
	v_fma_f64 v[16:17], v[12:13], v[18:19], v[16:17]
	v_lshlrev_b64 v[12:13], 4, v[20:21]
	v_mov_b32_e32 v19, v29
	v_add_u32_e32 v18, 2, v43
	v_add_co_u32_e32 v58, vcc, s12, v12
	v_lshlrev_b64 v[18:19], 4, v[18:19]
	v_addc_co_u32_e32 v59, vcc, v33, v13, vcc
	v_add_co_u32_e32 v18, vcc, s14, v18
	v_addc_co_u32_e32 v19, vcc, v34, v19, vcc
	global_load_dwordx4 v[12:15], v[58:59], off
	global_load_dwordx4 v[35:38], v[18:19], off
	v_cmp_ge_i32_e32 vcc, v30, v32
	s_or_b64 s[8:9], vcc, s[8:9]
	s_waitcnt vmcnt(0)
	v_fma_f64 v[18:19], v[12:13], v[35:36], v[46:47]
	v_fma_f64 v[20:21], v[14:15], v[35:36], v[48:49]
	v_fma_f64 v[26:27], -v[14:15], v[37:38], v[18:19]
	v_fma_f64 v[24:25], v[12:13], v[37:38], v[20:21]
	global_load_dwordx4 v[12:15], v[58:59], off offset:16
	s_waitcnt vmcnt(0)
	v_fma_f64 v[18:19], v[12:13], v[35:36], v[50:51]
	v_fma_f64 v[20:21], v[14:15], v[35:36], v[52:53]
	v_fma_f64 v[22:23], -v[14:15], v[37:38], v[18:19]
	v_fma_f64 v[20:21], v[12:13], v[37:38], v[20:21]
	global_load_dwordx4 v[12:15], v[58:59], off offset:32
	global_load_dwordx4 v[39:42], v[58:59], off offset:48
	s_waitcnt vmcnt(1)
	v_fma_f64 v[18:19], v[12:13], v[35:36], v[54:55]
	v_fma_f64 v[46:47], v[14:15], v[35:36], v[56:57]
	s_waitcnt vmcnt(0)
	v_fma_f64 v[43:44], v[39:40], v[35:36], v[44:45]
	v_fma_f64 v[35:36], v[41:42], v[35:36], v[16:17]
	v_fma_f64 v[18:19], -v[14:15], v[37:38], v[18:19]
	v_fma_f64 v[16:17], v[12:13], v[37:38], v[46:47]
	v_fma_f64 v[14:15], -v[41:42], v[37:38], v[43:44]
	v_fma_f64 v[12:13], v[39:40], v[37:38], v[35:36]
	s_andn2_b64 exec, exec, s[8:9]
	s_cbranch_execnz .LBB124_7
; %bb.8:
	s_or_b64 exec, exec, s[8:9]
.LBB124_9:
	s_or_b64 exec, exec, s[6:7]
	s_cbranch_execz .LBB124_11
	s_branch .LBB124_16
.LBB124_10:
                                        ; implicit-def: $vgpr24_vgpr25
                                        ; implicit-def: $vgpr26_vgpr27
                                        ; implicit-def: $vgpr14_vgpr15
                                        ; implicit-def: $vgpr12_vgpr13
                                        ; implicit-def: $vgpr18_vgpr19
                                        ; implicit-def: $vgpr16_vgpr17
                                        ; implicit-def: $vgpr22_vgpr23
                                        ; implicit-def: $vgpr20_vgpr21
.LBB124_11:
	v_mov_b32_e32 v24, 0
	v_mov_b32_e32 v26, 0
	;; [unrolled: 1-line block ×16, first 2 shown]
	s_and_saveexec_b64 s[2:3], s[0:1]
	s_cbranch_execz .LBB124_15
; %bb.12:
	v_mad_u64_u32 v[28:29], s[0:1], v10, 12, 11
	v_mov_b32_e32 v24, 0
	v_mov_b32_e32 v26, 0
	;; [unrolled: 1-line block ×9, first 2 shown]
	s_mov_b64 s[0:1], 0
	v_mov_b32_e32 v33, s11
	v_mov_b32_e32 v31, 0
	;; [unrolled: 1-line block ×11, first 2 shown]
.LBB124_13:                             ; =>This Inner Loop Header: Depth=1
	v_ashrrev_i32_e32 v11, 31, v10
	v_lshlrev_b64 v[36:37], 2, v[10:11]
	v_add_u32_e32 v30, -11, v28
	v_lshlrev_b64 v[29:30], 4, v[30:31]
	v_add_co_u32_e32 v44, vcc, s10, v36
	v_addc_co_u32_e32 v45, vcc, v33, v37, vcc
	v_add_co_u32_e32 v29, vcc, s12, v29
	v_addc_co_u32_e32 v30, vcc, v34, v30, vcc
	global_load_dword v11, v[44:45], off
	global_load_dwordx4 v[36:39], v[29:30], off
	global_load_dwordx4 v[40:43], v[29:30], off offset:16
	v_mov_b32_e32 v49, v31
	v_add_u32_e32 v10, 32, v10
	s_waitcnt vmcnt(2)
	v_subrev_u32_e32 v11, s16, v11
	v_lshl_add_u32 v48, v11, 1, v11
	v_lshlrev_b64 v[44:45], 4, v[48:49]
	v_add_co_u32_e32 v44, vcc, s14, v44
	v_addc_co_u32_e32 v45, vcc, v35, v45, vcc
	global_load_dwordx4 v[44:47], v[44:45], off
	s_waitcnt vmcnt(0)
	v_fma_f64 v[26:27], v[36:37], v[44:45], v[26:27]
	v_fma_f64 v[24:25], v[38:39], v[44:45], v[24:25]
	v_fma_f64 v[49:50], -v[38:39], v[46:47], v[26:27]
	v_fma_f64 v[51:52], v[36:37], v[46:47], v[24:25]
	global_load_dwordx4 v[24:27], v[29:30], off offset:48
	global_load_dwordx4 v[36:39], v[29:30], off offset:32
	s_waitcnt vmcnt(1)
	v_fma_f64 v[20:21], v[26:27], v[44:45], v[20:21]
	v_fma_f64 v[22:23], v[24:25], v[44:45], v[22:23]
	;; [unrolled: 1-line block ×3, first 2 shown]
	v_add_u32_e32 v20, -5, v28
	v_mov_b32_e32 v21, v31
	v_lshlrev_b64 v[20:21], 4, v[20:21]
	v_fma_f64 v[53:54], -v[26:27], v[46:47], v[22:23]
	v_add_co_u32_e32 v29, vcc, s12, v20
	v_addc_co_u32_e32 v30, vcc, v34, v21, vcc
	v_add_u32_e32 v20, -2, v28
	v_mov_b32_e32 v21, v31
	v_lshlrev_b64 v[20:21], 4, v[20:21]
	v_add_co_u32_e32 v57, vcc, s12, v20
	v_addc_co_u32_e32 v58, vcc, v34, v21, vcc
	global_load_dwordx4 v[20:23], v[29:30], off
	global_load_dwordx4 v[24:27], v[57:58], off
	v_add_u32_e32 v30, 1, v48
	v_mov_b32_e32 v29, v31
	s_waitcnt vmcnt(1)
	v_fma_f64 v[18:19], v[20:21], v[44:45], v[18:19]
	s_waitcnt vmcnt(0)
	v_fma_f64 v[11:12], v[26:27], v[44:45], v[12:13]
	v_fma_f64 v[14:15], v[24:25], v[44:45], v[14:15]
	v_fma_f64 v[16:17], v[22:23], v[44:45], v[16:17]
	v_fma_f64 v[57:58], -v[22:23], v[46:47], v[18:19]
	v_fma_f64 v[23:24], v[24:25], v[46:47], v[11:12]
	v_lshlrev_b64 v[11:12], 4, v[30:31]
	v_add_u32_e32 v30, -7, v28
	v_fma_f64 v[26:27], -v[26:27], v[46:47], v[14:15]
	v_lshlrev_b64 v[13:14], 4, v[30:31]
	v_add_co_u32_e32 v11, vcc, s14, v11
	v_addc_co_u32_e32 v12, vcc, v35, v12, vcc
	v_add_co_u32_e32 v15, vcc, s12, v13
	v_fma_f64 v[59:60], v[20:21], v[46:47], v[16:17]
	v_addc_co_u32_e32 v16, vcc, v34, v14, vcc
	global_load_dwordx4 v[11:14], v[11:12], off
	v_add_u32_e32 v30, -4, v28
	v_lshlrev_b64 v[19:20], 4, v[30:31]
	v_add_u32_e32 v30, -1, v28
	v_add_co_u32_e32 v19, vcc, s12, v19
	v_addc_co_u32_e32 v20, vcc, v34, v20, vcc
	s_waitcnt vmcnt(0)
	v_fma_f64 v[17:18], v[40:41], v[11:12], v[49:50]
	v_fma_f64 v[21:22], v[42:43], v[11:12], v[51:52]
	v_fma_f64 v[49:50], -v[42:43], v[13:14], v[17:18]
	global_load_dwordx4 v[15:18], v[15:16], off
	v_fma_f64 v[51:52], v[40:41], v[13:14], v[21:22]
	global_load_dwordx4 v[19:22], v[19:20], off
	s_waitcnt vmcnt(1)
	v_fma_f64 v[42:43], v[17:18], v[11:12], v[55:56]
	v_fma_f64 v[40:41], v[15:16], v[11:12], v[53:54]
	s_waitcnt vmcnt(0)
	v_fma_f64 v[44:45], v[21:22], v[11:12], v[59:60]
	v_fma_f64 v[55:56], v[15:16], v[13:14], v[42:43]
	v_lshlrev_b64 v[15:16], 4, v[28:29]
	v_fma_f64 v[53:54], -v[17:18], v[13:14], v[40:41]
	v_add_co_u32_e32 v15, vcc, s12, v15
	v_addc_co_u32_e32 v16, vcc, v34, v16, vcc
	global_load_dwordx4 v[40:43], v[15:16], off
	v_fma_f64 v[15:16], v[19:20], v[11:12], v[57:58]
	v_lshlrev_b64 v[17:18], 4, v[30:31]
	v_add_u32_e32 v30, 2, v48
	v_fma_f64 v[19:20], v[19:20], v[13:14], v[44:45]
	v_lshlrev_b64 v[44:45], 4, v[30:31]
	v_add_u32_e32 v30, -6, v28
	v_fma_f64 v[21:22], -v[21:22], v[13:14], v[15:16]
	v_add_co_u32_e32 v15, vcc, s12, v17
	v_addc_co_u32_e32 v16, vcc, v34, v18, vcc
	global_load_dwordx4 v[15:18], v[15:16], off
	s_waitcnt vmcnt(0)
	v_fma_f64 v[25:26], v[15:16], v[11:12], v[26:27]
	v_fma_f64 v[11:12], v[17:18], v[11:12], v[23:24]
	v_fma_f64 v[57:58], -v[17:18], v[13:14], v[25:26]
	v_fma_f64 v[59:60], v[15:16], v[13:14], v[11:12]
	v_add_co_u32_e32 v13, vcc, s14, v44
	v_addc_co_u32_e32 v14, vcc, v35, v45, vcc
	global_load_dwordx4 v[44:47], v[13:14], off
	v_lshlrev_b64 v[11:12], 4, v[30:31]
	v_add_u32_e32 v30, -3, v28
	v_lshlrev_b64 v[15:16], 4, v[30:31]
	v_add_co_u32_e32 v11, vcc, s12, v11
	v_addc_co_u32_e32 v12, vcc, v34, v12, vcc
	v_add_co_u32_e32 v15, vcc, s12, v15
	v_addc_co_u32_e32 v16, vcc, v34, v16, vcc
	global_load_dwordx4 v[11:14], v[11:12], off
	v_cmp_ge_i32_e32 vcc, v10, v32
	s_or_b64 s[0:1], vcc, s[0:1]
	v_add_u32_e32 v28, 0x180, v28
	s_waitcnt vmcnt(1)
	v_fma_f64 v[17:18], v[36:37], v[44:45], v[49:50]
	v_fma_f64 v[23:24], v[38:39], v[44:45], v[51:52]
	v_fma_f64 v[50:51], v[40:41], v[44:45], v[57:58]
	v_fma_f64 v[26:27], -v[38:39], v[46:47], v[17:18]
	global_load_dwordx4 v[15:18], v[15:16], off
	v_fma_f64 v[24:25], v[36:37], v[46:47], v[23:24]
	s_waitcnt vmcnt(1)
	v_fma_f64 v[29:30], v[11:12], v[44:45], v[53:54]
	v_fma_f64 v[36:37], v[13:14], v[44:45], v[55:56]
	s_waitcnt vmcnt(0)
	v_fma_f64 v[38:39], v[15:16], v[44:45], v[21:22]
	v_fma_f64 v[48:49], v[17:18], v[44:45], v[19:20]
	;; [unrolled: 1-line block ×3, first 2 shown]
	v_fma_f64 v[22:23], -v[13:14], v[46:47], v[29:30]
	v_fma_f64 v[20:21], v[11:12], v[46:47], v[36:37]
	v_fma_f64 v[18:19], -v[17:18], v[46:47], v[38:39]
	v_fma_f64 v[16:17], v[15:16], v[46:47], v[48:49]
	;; [unrolled: 2-line block ×3, first 2 shown]
	s_andn2_b64 exec, exec, s[0:1]
	s_cbranch_execnz .LBB124_13
; %bb.14:
	s_or_b64 exec, exec, s[0:1]
.LBB124_15:
	s_or_b64 exec, exec, s[2:3]
.LBB124_16:
	v_mov_b32_dpp v10, v26 row_shr:1 row_mask:0xf bank_mask:0xf
	v_mov_b32_dpp v11, v27 row_shr:1 row_mask:0xf bank_mask:0xf
	v_add_f64 v[10:11], v[26:27], v[10:11]
	v_mov_b32_dpp v26, v24 row_shr:1 row_mask:0xf bank_mask:0xf
	v_mov_b32_dpp v27, v25 row_shr:1 row_mask:0xf bank_mask:0xf
	v_add_f64 v[24:25], v[24:25], v[26:27]
	v_mov_b32_dpp v26, v22 row_shr:1 row_mask:0xf bank_mask:0xf
	v_mov_b32_dpp v29, v21 row_shr:1 row_mask:0xf bank_mask:0xf
	v_cmp_eq_u32_e32 vcc, 31, v0
	v_mov_b32_dpp v27, v10 row_shr:2 row_mask:0xf bank_mask:0xf
	v_mov_b32_dpp v28, v11 row_shr:2 row_mask:0xf bank_mask:0xf
	v_add_f64 v[10:11], v[10:11], v[27:28]
	v_mov_b32_dpp v27, v23 row_shr:1 row_mask:0xf bank_mask:0xf
	v_add_f64 v[22:23], v[22:23], v[26:27]
	v_mov_b32_dpp v26, v24 row_shr:2 row_mask:0xf bank_mask:0xf
	v_mov_b32_dpp v27, v25 row_shr:2 row_mask:0xf bank_mask:0xf
	;; [unrolled: 1-line block ×3, first 2 shown]
	v_add_f64 v[24:25], v[24:25], v[26:27]
	v_add_f64 v[20:21], v[20:21], v[28:29]
	v_mov_b32_dpp v26, v10 row_shr:4 row_mask:0xf bank_mask:0xe
	v_mov_b32_dpp v27, v11 row_shr:4 row_mask:0xf bank_mask:0xe
	v_add_f64 v[10:11], v[10:11], v[26:27]
	v_mov_b32_dpp v26, v22 row_shr:2 row_mask:0xf bank_mask:0xf
	v_mov_b32_dpp v27, v23 row_shr:2 row_mask:0xf bank_mask:0xf
	;; [unrolled: 3-line block ×5, first 2 shown]
	v_mov_b32_dpp v29, v23 row_shr:4 row_mask:0xf bank_mask:0xe
	v_add_f64 v[22:23], v[22:23], v[28:29]
	v_mov_b32_dpp v27, v11 row_shr:8 row_mask:0xf bank_mask:0xc
	v_add_f64 v[10:11], v[10:11], v[26:27]
	v_mov_b32_dpp v26, v24 row_shr:8 row_mask:0xf bank_mask:0xc
	v_mov_b32_dpp v28, v20 row_shr:4 row_mask:0xf bank_mask:0xe
	;; [unrolled: 1-line block ×3, first 2 shown]
	v_add_f64 v[28:29], v[20:21], v[28:29]
	v_mov_b32_dpp v20, v18 row_shr:1 row_mask:0xf bank_mask:0xf
	v_mov_b32_dpp v21, v19 row_shr:1 row_mask:0xf bank_mask:0xf
	v_add_f64 v[30:31], v[18:19], v[20:21]
	v_mov_b32_dpp v27, v25 row_shr:8 row_mask:0xf bank_mask:0xc
	v_add_f64 v[18:19], v[24:25], v[26:27]
	v_mov_b32_dpp v20, v22 row_shr:8 row_mask:0xf bank_mask:0xc
	v_mov_b32_dpp v21, v23 row_shr:8 row_mask:0xf bank_mask:0xc
	v_add_f64 v[20:21], v[22:23], v[20:21]
	v_mov_b32_dpp v22, v28 row_shr:8 row_mask:0xf bank_mask:0xc
	v_mov_b32_dpp v23, v29 row_shr:8 row_mask:0xf bank_mask:0xc
	;; [unrolled: 1-line block ×4, first 2 shown]
	v_add_f64 v[32:33], v[30:31], v[24:25]
	v_add_f64 v[22:23], v[28:29], v[22:23]
	v_mov_b32_dpp v30, v10 row_bcast:15 row_mask:0xa bank_mask:0xf
	v_mov_b32_dpp v31, v11 row_bcast:15 row_mask:0xa bank_mask:0xf
	;; [unrolled: 1-line block ×6, first 2 shown]
	v_mov_b32_dpp v34, v32 row_shr:4 row_mask:0xf bank_mask:0xe
	v_mov_b32_dpp v35, v33 row_shr:4 row_mask:0xf bank_mask:0xe
	v_add_f64 v[32:33], v[32:33], v[34:35]
	v_mov_b32_dpp v34, v16 row_shr:1 row_mask:0xf bank_mask:0xf
	v_mov_b32_dpp v35, v17 row_shr:1 row_mask:0xf bank_mask:0xf
	v_add_f64 v[16:17], v[16:17], v[34:35]
	;; [unrolled: 3-line block ×4, first 2 shown]
	v_mov_b32_dpp v34, v32 row_shr:8 row_mask:0xf bank_mask:0xc
	v_mov_b32_dpp v35, v16 row_shr:2 row_mask:0xf bank_mask:0xf
	v_mov_b32_dpp v36, v17 row_shr:2 row_mask:0xf bank_mask:0xf
	v_add_f64 v[16:17], v[16:17], v[35:36]
	v_mov_b32_dpp v35, v14 row_shr:2 row_mask:0xf bank_mask:0xf
	v_mov_b32_dpp v36, v15 row_shr:2 row_mask:0xf bank_mask:0xf
	v_add_f64 v[14:15], v[14:15], v[35:36]
	v_mov_b32_dpp v35, v12 row_shr:2 row_mask:0xf bank_mask:0xf
	v_mov_b32_dpp v36, v13 row_shr:2 row_mask:0xf bank_mask:0xf
	v_add_f64 v[12:13], v[12:13], v[35:36]
	v_mov_b32_dpp v35, v33 row_shr:8 row_mask:0xf bank_mask:0xc
	v_mov_b32_dpp v36, v16 row_shr:4 row_mask:0xf bank_mask:0xe
	v_mov_b32_dpp v37, v17 row_shr:4 row_mask:0xf bank_mask:0xe
	v_add_f64 v[16:17], v[16:17], v[36:37]
	v_mov_b32_dpp v36, v14 row_shr:4 row_mask:0xf bank_mask:0xe
	v_mov_b32_dpp v37, v15 row_shr:4 row_mask:0xf bank_mask:0xe
	v_add_f64 v[36:37], v[14:15], v[36:37]
	v_mov_b32_dpp v14, v12 row_shr:4 row_mask:0xf bank_mask:0xe
	v_mov_b32_dpp v15, v13 row_shr:4 row_mask:0xf bank_mask:0xe
	v_add_f64 v[38:39], v[12:13], v[14:15]
	v_add_f64 v[12:13], v[32:33], v[34:35]
	v_mov_b32_dpp v14, v16 row_shr:8 row_mask:0xf bank_mask:0xc
	v_mov_b32_dpp v15, v17 row_shr:8 row_mask:0xf bank_mask:0xc
	v_add_f64 v[14:15], v[16:17], v[14:15]
	v_mov_b32_dpp v16, v36 row_shr:8 row_mask:0xf bank_mask:0xc
	v_mov_b32_dpp v17, v37 row_shr:8 row_mask:0xf bank_mask:0xc
	;; [unrolled: 3-line block ×3, first 2 shown]
	v_add_f64 v[32:33], v[38:39], v[16:17]
	v_mov_b32_dpp v26, v22 row_bcast:15 row_mask:0xa bank_mask:0xf
	v_mov_b32_dpp v27, v23 row_bcast:15 row_mask:0xa bank_mask:0xf
	;; [unrolled: 1-line block ×10, first 2 shown]
	s_and_b64 exec, exec, vcc
	s_cbranch_execz .LBB124_21
; %bb.17:
	v_cmp_eq_f64_e32 vcc, 0, v[5:6]
	v_cmp_eq_f64_e64 s[0:1], 0, v[7:8]
	v_add_f64 v[16:17], v[10:11], v[30:31]
	v_add_f64 v[24:25], v[18:19], v[24:25]
	;; [unrolled: 1-line block ×8, first 2 shown]
	s_load_dwordx2 s[2:3], s[4:5], 0x48
	s_and_b64 s[0:1], vcc, s[0:1]
	s_and_saveexec_b64 s[4:5], s[0:1]
	s_xor_b64 s[0:1], exec, s[4:5]
	s_cbranch_execz .LBB124_19
; %bb.18:
	v_mul_f64 v[5:6], v[24:25], -v[3:4]
	v_mul_f64 v[7:8], v[1:2], v[24:25]
	v_mul_f64 v[26:27], v[22:23], -v[3:4]
	v_mul_f64 v[22:23], v[1:2], v[22:23]
	;; [unrolled: 2-line block ×4, first 2 shown]
	v_fma_f64 v[5:6], v[1:2], v[16:17], v[5:6]
	v_fma_f64 v[7:8], v[3:4], v[16:17], v[7:8]
	;; [unrolled: 1-line block ×4, first 2 shown]
	v_lshlrev_b32_e32 v24, 2, v9
	v_fma_f64 v[9:10], v[1:2], v[12:13], v[28:29]
	v_fma_f64 v[11:12], v[3:4], v[12:13], v[30:31]
	v_ashrrev_i32_e32 v25, 31, v24
	v_fma_f64 v[0:1], v[1:2], v[14:15], v[32:33]
	v_fma_f64 v[2:3], v[3:4], v[14:15], v[20:21]
	v_lshlrev_b64 v[24:25], 4, v[24:25]
	s_waitcnt lgkmcnt(0)
	v_mov_b32_e32 v34, s3
	v_add_co_u32_e32 v13, vcc, s2, v24
	v_addc_co_u32_e32 v14, vcc, v34, v25, vcc
	global_store_dwordx4 v[13:14], v[5:8], off
	global_store_dwordx4 v[13:14], v[16:19], off offset:16
	global_store_dwordx4 v[13:14], v[9:12], off offset:32
	;; [unrolled: 1-line block ×3, first 2 shown]
                                        ; implicit-def: $vgpr9
                                        ; implicit-def: $vgpr16_vgpr17
                                        ; implicit-def: $vgpr24_vgpr25
                                        ; implicit-def: $vgpr10_vgpr11
                                        ; implicit-def: $vgpr22_vgpr23
                                        ; implicit-def: $vgpr12_vgpr13
                                        ; implicit-def: $vgpr18_vgpr19
                                        ; implicit-def: $vgpr14_vgpr15
                                        ; implicit-def: $vgpr20_vgpr21
                                        ; implicit-def: $vgpr7_vgpr8
                                        ; implicit-def: $vgpr3_vgpr4
.LBB124_19:
	s_andn2_saveexec_b64 s[0:1], s[0:1]
	s_cbranch_execz .LBB124_21
; %bb.20:
	v_lshlrev_b32_e32 v26, 2, v9
	v_ashrrev_i32_e32 v27, 31, v26
	v_lshlrev_b64 v[26:27], 4, v[26:27]
	s_waitcnt lgkmcnt(0)
	v_mov_b32_e32 v0, s3
	v_add_co_u32_e32 v42, vcc, s2, v26
	v_addc_co_u32_e32 v43, vcc, v0, v27, vcc
	global_load_dwordx4 v[26:29], v[42:43], off
	global_load_dwordx4 v[30:33], v[42:43], off offset:16
	global_load_dwordx4 v[34:37], v[42:43], off offset:32
	;; [unrolled: 1-line block ×3, first 2 shown]
	v_mul_f64 v[44:45], v[24:25], -v[3:4]
	v_mul_f64 v[24:25], v[1:2], v[24:25]
	v_mul_f64 v[46:47], v[22:23], -v[3:4]
	v_mul_f64 v[22:23], v[1:2], v[22:23]
	;; [unrolled: 2-line block ×4, first 2 shown]
	v_fma_f64 v[44:45], v[1:2], v[16:17], v[44:45]
	v_fma_f64 v[16:17], v[3:4], v[16:17], v[24:25]
	;; [unrolled: 1-line block ×8, first 2 shown]
	s_waitcnt vmcnt(3)
	v_fma_f64 v[13:14], v[5:6], v[26:27], v[44:45]
	v_fma_f64 v[15:16], v[7:8], v[26:27], v[16:17]
	s_waitcnt vmcnt(2)
	v_fma_f64 v[17:18], v[5:6], v[30:31], v[24:25]
	v_fma_f64 v[19:20], v[7:8], v[30:31], v[9:10]
	;; [unrolled: 3-line block ×4, first 2 shown]
	v_fma_f64 v[0:1], -v[7:8], v[28:29], v[13:14]
	v_fma_f64 v[2:3], v[5:6], v[28:29], v[15:16]
	v_fma_f64 v[9:10], -v[7:8], v[32:33], v[17:18]
	v_fma_f64 v[11:12], v[5:6], v[32:33], v[19:20]
	;; [unrolled: 2-line block ×4, first 2 shown]
	global_store_dwordx4 v[42:43], v[0:3], off
	global_store_dwordx4 v[42:43], v[9:12], off offset:16
	global_store_dwordx4 v[42:43], v[13:16], off offset:32
	;; [unrolled: 1-line block ×3, first 2 shown]
.LBB124_21:
	s_endpgm
	.section	.rodata,"a",@progbits
	.p2align	6, 0x0
	.amdhsa_kernel _ZN9rocsparseL19gebsrmvn_4xn_kernelILj128ELj3ELj32E21rocsparse_complex_numIdEEEvi20rocsparse_direction_NS_24const_host_device_scalarIT2_EEPKiS8_PKS5_SA_S6_PS5_21rocsparse_index_base_b
		.amdhsa_group_segment_fixed_size 0
		.amdhsa_private_segment_fixed_size 0
		.amdhsa_kernarg_size 88
		.amdhsa_user_sgpr_count 6
		.amdhsa_user_sgpr_private_segment_buffer 1
		.amdhsa_user_sgpr_dispatch_ptr 0
		.amdhsa_user_sgpr_queue_ptr 0
		.amdhsa_user_sgpr_kernarg_segment_ptr 1
		.amdhsa_user_sgpr_dispatch_id 0
		.amdhsa_user_sgpr_flat_scratch_init 0
		.amdhsa_user_sgpr_private_segment_size 0
		.amdhsa_uses_dynamic_stack 0
		.amdhsa_system_sgpr_private_segment_wavefront_offset 0
		.amdhsa_system_sgpr_workgroup_id_x 1
		.amdhsa_system_sgpr_workgroup_id_y 0
		.amdhsa_system_sgpr_workgroup_id_z 0
		.amdhsa_system_sgpr_workgroup_info 0
		.amdhsa_system_vgpr_workitem_id 0
		.amdhsa_next_free_vgpr 61
		.amdhsa_next_free_sgpr 18
		.amdhsa_reserve_vcc 1
		.amdhsa_reserve_flat_scratch 0
		.amdhsa_float_round_mode_32 0
		.amdhsa_float_round_mode_16_64 0
		.amdhsa_float_denorm_mode_32 3
		.amdhsa_float_denorm_mode_16_64 3
		.amdhsa_dx10_clamp 1
		.amdhsa_ieee_mode 1
		.amdhsa_fp16_overflow 0
		.amdhsa_exception_fp_ieee_invalid_op 0
		.amdhsa_exception_fp_denorm_src 0
		.amdhsa_exception_fp_ieee_div_zero 0
		.amdhsa_exception_fp_ieee_overflow 0
		.amdhsa_exception_fp_ieee_underflow 0
		.amdhsa_exception_fp_ieee_inexact 0
		.amdhsa_exception_int_div_zero 0
	.end_amdhsa_kernel
	.section	.text._ZN9rocsparseL19gebsrmvn_4xn_kernelILj128ELj3ELj32E21rocsparse_complex_numIdEEEvi20rocsparse_direction_NS_24const_host_device_scalarIT2_EEPKiS8_PKS5_SA_S6_PS5_21rocsparse_index_base_b,"axG",@progbits,_ZN9rocsparseL19gebsrmvn_4xn_kernelILj128ELj3ELj32E21rocsparse_complex_numIdEEEvi20rocsparse_direction_NS_24const_host_device_scalarIT2_EEPKiS8_PKS5_SA_S6_PS5_21rocsparse_index_base_b,comdat
.Lfunc_end124:
	.size	_ZN9rocsparseL19gebsrmvn_4xn_kernelILj128ELj3ELj32E21rocsparse_complex_numIdEEEvi20rocsparse_direction_NS_24const_host_device_scalarIT2_EEPKiS8_PKS5_SA_S6_PS5_21rocsparse_index_base_b, .Lfunc_end124-_ZN9rocsparseL19gebsrmvn_4xn_kernelILj128ELj3ELj32E21rocsparse_complex_numIdEEEvi20rocsparse_direction_NS_24const_host_device_scalarIT2_EEPKiS8_PKS5_SA_S6_PS5_21rocsparse_index_base_b
                                        ; -- End function
	.set _ZN9rocsparseL19gebsrmvn_4xn_kernelILj128ELj3ELj32E21rocsparse_complex_numIdEEEvi20rocsparse_direction_NS_24const_host_device_scalarIT2_EEPKiS8_PKS5_SA_S6_PS5_21rocsparse_index_base_b.num_vgpr, 61
	.set _ZN9rocsparseL19gebsrmvn_4xn_kernelILj128ELj3ELj32E21rocsparse_complex_numIdEEEvi20rocsparse_direction_NS_24const_host_device_scalarIT2_EEPKiS8_PKS5_SA_S6_PS5_21rocsparse_index_base_b.num_agpr, 0
	.set _ZN9rocsparseL19gebsrmvn_4xn_kernelILj128ELj3ELj32E21rocsparse_complex_numIdEEEvi20rocsparse_direction_NS_24const_host_device_scalarIT2_EEPKiS8_PKS5_SA_S6_PS5_21rocsparse_index_base_b.numbered_sgpr, 18
	.set _ZN9rocsparseL19gebsrmvn_4xn_kernelILj128ELj3ELj32E21rocsparse_complex_numIdEEEvi20rocsparse_direction_NS_24const_host_device_scalarIT2_EEPKiS8_PKS5_SA_S6_PS5_21rocsparse_index_base_b.num_named_barrier, 0
	.set _ZN9rocsparseL19gebsrmvn_4xn_kernelILj128ELj3ELj32E21rocsparse_complex_numIdEEEvi20rocsparse_direction_NS_24const_host_device_scalarIT2_EEPKiS8_PKS5_SA_S6_PS5_21rocsparse_index_base_b.private_seg_size, 0
	.set _ZN9rocsparseL19gebsrmvn_4xn_kernelILj128ELj3ELj32E21rocsparse_complex_numIdEEEvi20rocsparse_direction_NS_24const_host_device_scalarIT2_EEPKiS8_PKS5_SA_S6_PS5_21rocsparse_index_base_b.uses_vcc, 1
	.set _ZN9rocsparseL19gebsrmvn_4xn_kernelILj128ELj3ELj32E21rocsparse_complex_numIdEEEvi20rocsparse_direction_NS_24const_host_device_scalarIT2_EEPKiS8_PKS5_SA_S6_PS5_21rocsparse_index_base_b.uses_flat_scratch, 0
	.set _ZN9rocsparseL19gebsrmvn_4xn_kernelILj128ELj3ELj32E21rocsparse_complex_numIdEEEvi20rocsparse_direction_NS_24const_host_device_scalarIT2_EEPKiS8_PKS5_SA_S6_PS5_21rocsparse_index_base_b.has_dyn_sized_stack, 0
	.set _ZN9rocsparseL19gebsrmvn_4xn_kernelILj128ELj3ELj32E21rocsparse_complex_numIdEEEvi20rocsparse_direction_NS_24const_host_device_scalarIT2_EEPKiS8_PKS5_SA_S6_PS5_21rocsparse_index_base_b.has_recursion, 0
	.set _ZN9rocsparseL19gebsrmvn_4xn_kernelILj128ELj3ELj32E21rocsparse_complex_numIdEEEvi20rocsparse_direction_NS_24const_host_device_scalarIT2_EEPKiS8_PKS5_SA_S6_PS5_21rocsparse_index_base_b.has_indirect_call, 0
	.section	.AMDGPU.csdata,"",@progbits
; Kernel info:
; codeLenInByte = 3848
; TotalNumSgprs: 22
; NumVgprs: 61
; ScratchSize: 0
; MemoryBound: 0
; FloatMode: 240
; IeeeMode: 1
; LDSByteSize: 0 bytes/workgroup (compile time only)
; SGPRBlocks: 2
; VGPRBlocks: 15
; NumSGPRsForWavesPerEU: 22
; NumVGPRsForWavesPerEU: 61
; Occupancy: 4
; WaveLimiterHint : 1
; COMPUTE_PGM_RSRC2:SCRATCH_EN: 0
; COMPUTE_PGM_RSRC2:USER_SGPR: 6
; COMPUTE_PGM_RSRC2:TRAP_HANDLER: 0
; COMPUTE_PGM_RSRC2:TGID_X_EN: 1
; COMPUTE_PGM_RSRC2:TGID_Y_EN: 0
; COMPUTE_PGM_RSRC2:TGID_Z_EN: 0
; COMPUTE_PGM_RSRC2:TIDIG_COMP_CNT: 0
	.section	.text._ZN9rocsparseL19gebsrmvn_4xn_kernelILj128ELj3ELj64E21rocsparse_complex_numIdEEEvi20rocsparse_direction_NS_24const_host_device_scalarIT2_EEPKiS8_PKS5_SA_S6_PS5_21rocsparse_index_base_b,"axG",@progbits,_ZN9rocsparseL19gebsrmvn_4xn_kernelILj128ELj3ELj64E21rocsparse_complex_numIdEEEvi20rocsparse_direction_NS_24const_host_device_scalarIT2_EEPKiS8_PKS5_SA_S6_PS5_21rocsparse_index_base_b,comdat
	.globl	_ZN9rocsparseL19gebsrmvn_4xn_kernelILj128ELj3ELj64E21rocsparse_complex_numIdEEEvi20rocsparse_direction_NS_24const_host_device_scalarIT2_EEPKiS8_PKS5_SA_S6_PS5_21rocsparse_index_base_b ; -- Begin function _ZN9rocsparseL19gebsrmvn_4xn_kernelILj128ELj3ELj64E21rocsparse_complex_numIdEEEvi20rocsparse_direction_NS_24const_host_device_scalarIT2_EEPKiS8_PKS5_SA_S6_PS5_21rocsparse_index_base_b
	.p2align	8
	.type	_ZN9rocsparseL19gebsrmvn_4xn_kernelILj128ELj3ELj64E21rocsparse_complex_numIdEEEvi20rocsparse_direction_NS_24const_host_device_scalarIT2_EEPKiS8_PKS5_SA_S6_PS5_21rocsparse_index_base_b,@function
_ZN9rocsparseL19gebsrmvn_4xn_kernelILj128ELj3ELj64E21rocsparse_complex_numIdEEEvi20rocsparse_direction_NS_24const_host_device_scalarIT2_EEPKiS8_PKS5_SA_S6_PS5_21rocsparse_index_base_b: ; @_ZN9rocsparseL19gebsrmvn_4xn_kernelILj128ELj3ELj64E21rocsparse_complex_numIdEEEvi20rocsparse_direction_NS_24const_host_device_scalarIT2_EEPKiS8_PKS5_SA_S6_PS5_21rocsparse_index_base_b
; %bb.0:
	s_load_dwordx2 s[0:1], s[4:5], 0x8
	s_load_dwordx2 s[2:3], s[4:5], 0x38
	;; [unrolled: 1-line block ×3, first 2 shown]
	s_add_u32 s7, s4, 8
	s_addc_u32 s8, s5, 0
	s_add_u32 s9, s4, 56
	s_addc_u32 s10, s5, 0
	s_waitcnt lgkmcnt(0)
	s_bitcmp1_b32 s17, 0
	s_cselect_b32 s1, s8, s1
	s_cselect_b32 s0, s7, s0
	v_mov_b32_e32 v1, s0
	v_mov_b32_e32 v2, s1
	flat_load_dwordx4 v[1:4], v[1:2]
	s_cselect_b32 s0, s10, s3
	s_cselect_b32 s1, s9, s2
	v_mov_b32_e32 v5, s1
	v_mov_b32_e32 v6, s0
	flat_load_dwordx4 v[5:8], v[5:6]
	s_waitcnt vmcnt(0) lgkmcnt(0)
	v_cmp_eq_f64_e32 vcc, 0, v[1:2]
	v_cmp_eq_f64_e64 s[0:1], 0, v[3:4]
	s_and_b64 s[8:9], vcc, s[0:1]
	s_mov_b64 s[0:1], -1
	s_and_saveexec_b64 s[2:3], s[8:9]
	s_cbranch_execz .LBB125_2
; %bb.1:
	v_cmp_neq_f64_e32 vcc, 1.0, v[5:6]
	v_cmp_neq_f64_e64 s[0:1], 0, v[7:8]
	s_or_b64 s[0:1], vcc, s[0:1]
	s_orn2_b64 s[0:1], s[0:1], exec
.LBB125_2:
	s_or_b64 exec, exec, s[2:3]
	s_and_saveexec_b64 s[2:3], s[0:1]
	s_cbranch_execz .LBB125_21
; %bb.3:
	s_load_dwordx2 s[0:1], s[4:5], 0x0
	v_lshrrev_b32_e32 v9, 6, v0
	v_lshl_or_b32 v9, s6, 1, v9
	s_waitcnt lgkmcnt(0)
	v_cmp_gt_i32_e32 vcc, s0, v9
	s_and_b64 exec, exec, vcc
	s_cbranch_execz .LBB125_21
; %bb.4:
	s_load_dwordx8 s[8:15], s[4:5], 0x18
	v_ashrrev_i32_e32 v10, 31, v9
	v_lshlrev_b64 v[10:11], 2, v[9:10]
	v_and_b32_e32 v0, 63, v0
	s_cmp_lg_u32 s1, 0
	s_waitcnt lgkmcnt(0)
	v_mov_b32_e32 v12, s9
	v_add_co_u32_e32 v10, vcc, s8, v10
	v_addc_co_u32_e32 v11, vcc, v12, v11, vcc
	global_load_dwordx2 v[10:11], v[10:11], off
	s_waitcnt vmcnt(0)
	v_subrev_u32_e32 v10, s16, v10
	v_subrev_u32_e32 v32, s16, v11
	v_add_u32_e32 v10, v10, v0
	v_cmp_lt_i32_e64 s[0:1], v10, v32
	s_cbranch_scc0 .LBB125_10
; %bb.5:
	v_mov_b32_e32 v24, 0
	v_mov_b32_e32 v26, 0
	;; [unrolled: 1-line block ×16, first 2 shown]
	s_and_saveexec_b64 s[6:7], s[0:1]
	s_cbranch_execz .LBB125_9
; %bb.6:
	v_mul_lo_u32 v28, v10, 12
	v_mov_b32_e32 v24, 0
	v_mov_b32_e32 v26, 0
	;; [unrolled: 1-line block ×9, first 2 shown]
	s_mov_b64 s[8:9], 0
	v_mov_b32_e32 v11, s11
	v_mov_b32_e32 v29, 0
	;; [unrolled: 1-line block ×12, first 2 shown]
.LBB125_7:                              ; =>This Inner Loop Header: Depth=1
	v_ashrrev_i32_e32 v31, 31, v30
	v_lshlrev_b64 v[35:36], 4, v[28:29]
	v_lshlrev_b64 v[37:38], 2, v[30:31]
	v_add_co_u32_e32 v45, vcc, s12, v35
	v_add_co_u32_e64 v39, s[2:3], s10, v37
	v_addc_co_u32_e32 v46, vcc, v33, v36, vcc
	v_addc_co_u32_e64 v40, vcc, v11, v38, s[2:3]
	global_load_dwordx4 v[35:38], v[45:46], off
	global_load_dword v31, v[39:40], off
	v_mov_b32_e32 v44, v29
	v_add_u32_e32 v47, 4, v28
	v_mov_b32_e32 v48, v29
	v_add_u32_e32 v30, 64, v30
	s_waitcnt vmcnt(0)
	v_subrev_u32_e32 v31, s16, v31
	v_lshl_add_u32 v43, v31, 1, v31
	v_lshlrev_b64 v[39:40], 4, v[43:44]
	v_add_co_u32_e32 v39, vcc, s14, v39
	v_addc_co_u32_e32 v40, vcc, v34, v40, vcc
	global_load_dwordx4 v[39:42], v[39:40], off
	s_waitcnt vmcnt(0)
	v_fma_f64 v[26:27], v[35:36], v[39:40], v[26:27]
	v_fma_f64 v[24:25], v[37:38], v[39:40], v[24:25]
	v_fma_f64 v[37:38], -v[37:38], v[41:42], v[26:27]
	v_fma_f64 v[35:36], v[35:36], v[41:42], v[24:25]
	global_load_dwordx4 v[24:27], v[45:46], off offset:16
	s_waitcnt vmcnt(0)
	v_fma_f64 v[22:23], v[24:25], v[39:40], v[22:23]
	v_fma_f64 v[20:21], v[26:27], v[39:40], v[20:21]
	v_fma_f64 v[26:27], -v[26:27], v[41:42], v[22:23]
	v_fma_f64 v[24:25], v[24:25], v[41:42], v[20:21]
	global_load_dwordx4 v[20:23], v[45:46], off offset:32
	;; [unrolled: 6-line block ×3, first 2 shown]
	s_waitcnt vmcnt(0)
	v_fma_f64 v[14:15], v[16:17], v[39:40], v[14:15]
	v_fma_f64 v[12:13], v[18:19], v[39:40], v[12:13]
	v_fma_f64 v[39:40], -v[18:19], v[41:42], v[14:15]
	v_fma_f64 v[41:42], v[16:17], v[41:42], v[12:13]
	v_lshlrev_b64 v[12:13], 4, v[47:48]
	v_mov_b32_e32 v17, v29
	v_add_u32_e32 v16, 1, v43
	v_add_co_u32_e32 v44, vcc, s12, v12
	v_lshlrev_b64 v[16:17], 4, v[16:17]
	v_addc_co_u32_e32 v45, vcc, v33, v13, vcc
	v_add_co_u32_e32 v16, vcc, s14, v16
	v_addc_co_u32_e32 v17, vcc, v34, v17, vcc
	global_load_dwordx4 v[12:15], v[44:45], off
	s_nop 0
	global_load_dwordx4 v[16:19], v[16:17], off
	s_waitcnt vmcnt(0)
	v_fma_f64 v[37:38], v[12:13], v[16:17], v[37:38]
	v_fma_f64 v[35:36], v[14:15], v[16:17], v[35:36]
	v_fma_f64 v[46:47], -v[14:15], v[18:19], v[37:38]
	v_fma_f64 v[48:49], v[12:13], v[18:19], v[35:36]
	global_load_dwordx4 v[12:15], v[44:45], off offset:16
	s_waitcnt vmcnt(0)
	v_fma_f64 v[26:27], v[12:13], v[16:17], v[26:27]
	v_fma_f64 v[24:25], v[14:15], v[16:17], v[24:25]
	v_fma_f64 v[50:51], -v[14:15], v[18:19], v[26:27]
	v_fma_f64 v[52:53], v[12:13], v[18:19], v[24:25]
	global_load_dwordx4 v[12:15], v[44:45], off offset:32
	;; [unrolled: 6-line block ×3, first 2 shown]
	v_add_u32_e32 v20, 8, v28
	v_mov_b32_e32 v21, v29
	v_add_u32_e32 v28, 0x300, v28
	s_waitcnt vmcnt(0)
	v_fma_f64 v[22:23], v[12:13], v[16:17], v[39:40]
	v_fma_f64 v[16:17], v[14:15], v[16:17], v[41:42]
	v_fma_f64 v[44:45], -v[14:15], v[18:19], v[22:23]
	v_fma_f64 v[16:17], v[12:13], v[18:19], v[16:17]
	v_lshlrev_b64 v[12:13], 4, v[20:21]
	v_mov_b32_e32 v19, v29
	v_add_u32_e32 v18, 2, v43
	v_add_co_u32_e32 v58, vcc, s12, v12
	v_lshlrev_b64 v[18:19], 4, v[18:19]
	v_addc_co_u32_e32 v59, vcc, v33, v13, vcc
	v_add_co_u32_e32 v18, vcc, s14, v18
	v_addc_co_u32_e32 v19, vcc, v34, v19, vcc
	global_load_dwordx4 v[12:15], v[58:59], off
	global_load_dwordx4 v[35:38], v[18:19], off
	v_cmp_ge_i32_e32 vcc, v30, v32
	s_or_b64 s[8:9], vcc, s[8:9]
	s_waitcnt vmcnt(0)
	v_fma_f64 v[18:19], v[12:13], v[35:36], v[46:47]
	v_fma_f64 v[20:21], v[14:15], v[35:36], v[48:49]
	v_fma_f64 v[26:27], -v[14:15], v[37:38], v[18:19]
	v_fma_f64 v[24:25], v[12:13], v[37:38], v[20:21]
	global_load_dwordx4 v[12:15], v[58:59], off offset:16
	s_waitcnt vmcnt(0)
	v_fma_f64 v[18:19], v[12:13], v[35:36], v[50:51]
	v_fma_f64 v[20:21], v[14:15], v[35:36], v[52:53]
	v_fma_f64 v[22:23], -v[14:15], v[37:38], v[18:19]
	v_fma_f64 v[20:21], v[12:13], v[37:38], v[20:21]
	global_load_dwordx4 v[12:15], v[58:59], off offset:32
	global_load_dwordx4 v[39:42], v[58:59], off offset:48
	s_waitcnt vmcnt(1)
	v_fma_f64 v[18:19], v[12:13], v[35:36], v[54:55]
	v_fma_f64 v[46:47], v[14:15], v[35:36], v[56:57]
	s_waitcnt vmcnt(0)
	v_fma_f64 v[43:44], v[39:40], v[35:36], v[44:45]
	v_fma_f64 v[35:36], v[41:42], v[35:36], v[16:17]
	v_fma_f64 v[18:19], -v[14:15], v[37:38], v[18:19]
	v_fma_f64 v[16:17], v[12:13], v[37:38], v[46:47]
	v_fma_f64 v[14:15], -v[41:42], v[37:38], v[43:44]
	v_fma_f64 v[12:13], v[39:40], v[37:38], v[35:36]
	s_andn2_b64 exec, exec, s[8:9]
	s_cbranch_execnz .LBB125_7
; %bb.8:
	s_or_b64 exec, exec, s[8:9]
.LBB125_9:
	s_or_b64 exec, exec, s[6:7]
	s_cbranch_execz .LBB125_11
	s_branch .LBB125_16
.LBB125_10:
                                        ; implicit-def: $vgpr24_vgpr25
                                        ; implicit-def: $vgpr26_vgpr27
                                        ; implicit-def: $vgpr14_vgpr15
                                        ; implicit-def: $vgpr12_vgpr13
                                        ; implicit-def: $vgpr18_vgpr19
                                        ; implicit-def: $vgpr16_vgpr17
                                        ; implicit-def: $vgpr22_vgpr23
                                        ; implicit-def: $vgpr20_vgpr21
.LBB125_11:
	v_mov_b32_e32 v24, 0
	v_mov_b32_e32 v26, 0
	;; [unrolled: 1-line block ×16, first 2 shown]
	s_and_saveexec_b64 s[2:3], s[0:1]
	s_cbranch_execz .LBB125_15
; %bb.12:
	v_mad_u64_u32 v[28:29], s[0:1], v10, 12, 11
	v_mov_b32_e32 v24, 0
	v_mov_b32_e32 v26, 0
	;; [unrolled: 1-line block ×9, first 2 shown]
	s_mov_b64 s[0:1], 0
	v_mov_b32_e32 v33, s11
	v_mov_b32_e32 v31, 0
	;; [unrolled: 1-line block ×11, first 2 shown]
.LBB125_13:                             ; =>This Inner Loop Header: Depth=1
	v_ashrrev_i32_e32 v11, 31, v10
	v_lshlrev_b64 v[36:37], 2, v[10:11]
	v_add_u32_e32 v30, -11, v28
	v_lshlrev_b64 v[29:30], 4, v[30:31]
	v_add_co_u32_e32 v44, vcc, s10, v36
	v_addc_co_u32_e32 v45, vcc, v33, v37, vcc
	v_add_co_u32_e32 v29, vcc, s12, v29
	v_addc_co_u32_e32 v30, vcc, v34, v30, vcc
	global_load_dword v11, v[44:45], off
	global_load_dwordx4 v[36:39], v[29:30], off
	global_load_dwordx4 v[40:43], v[29:30], off offset:16
	v_mov_b32_e32 v49, v31
	v_add_u32_e32 v10, 64, v10
	s_waitcnt vmcnt(2)
	v_subrev_u32_e32 v11, s16, v11
	v_lshl_add_u32 v48, v11, 1, v11
	v_lshlrev_b64 v[44:45], 4, v[48:49]
	v_add_co_u32_e32 v44, vcc, s14, v44
	v_addc_co_u32_e32 v45, vcc, v35, v45, vcc
	global_load_dwordx4 v[44:47], v[44:45], off
	s_waitcnt vmcnt(0)
	v_fma_f64 v[26:27], v[36:37], v[44:45], v[26:27]
	v_fma_f64 v[24:25], v[38:39], v[44:45], v[24:25]
	v_fma_f64 v[49:50], -v[38:39], v[46:47], v[26:27]
	v_fma_f64 v[51:52], v[36:37], v[46:47], v[24:25]
	global_load_dwordx4 v[24:27], v[29:30], off offset:48
	global_load_dwordx4 v[36:39], v[29:30], off offset:32
	s_waitcnt vmcnt(1)
	v_fma_f64 v[20:21], v[26:27], v[44:45], v[20:21]
	v_fma_f64 v[22:23], v[24:25], v[44:45], v[22:23]
	;; [unrolled: 1-line block ×3, first 2 shown]
	v_add_u32_e32 v20, -5, v28
	v_mov_b32_e32 v21, v31
	v_lshlrev_b64 v[20:21], 4, v[20:21]
	v_fma_f64 v[53:54], -v[26:27], v[46:47], v[22:23]
	v_add_co_u32_e32 v29, vcc, s12, v20
	v_addc_co_u32_e32 v30, vcc, v34, v21, vcc
	v_add_u32_e32 v20, -2, v28
	v_mov_b32_e32 v21, v31
	v_lshlrev_b64 v[20:21], 4, v[20:21]
	v_add_co_u32_e32 v57, vcc, s12, v20
	v_addc_co_u32_e32 v58, vcc, v34, v21, vcc
	global_load_dwordx4 v[20:23], v[29:30], off
	global_load_dwordx4 v[24:27], v[57:58], off
	v_add_u32_e32 v30, 1, v48
	v_mov_b32_e32 v29, v31
	s_waitcnt vmcnt(1)
	v_fma_f64 v[18:19], v[20:21], v[44:45], v[18:19]
	s_waitcnt vmcnt(0)
	v_fma_f64 v[11:12], v[26:27], v[44:45], v[12:13]
	v_fma_f64 v[14:15], v[24:25], v[44:45], v[14:15]
	v_fma_f64 v[16:17], v[22:23], v[44:45], v[16:17]
	v_fma_f64 v[57:58], -v[22:23], v[46:47], v[18:19]
	v_fma_f64 v[23:24], v[24:25], v[46:47], v[11:12]
	v_lshlrev_b64 v[11:12], 4, v[30:31]
	v_add_u32_e32 v30, -7, v28
	v_fma_f64 v[26:27], -v[26:27], v[46:47], v[14:15]
	v_lshlrev_b64 v[13:14], 4, v[30:31]
	v_add_co_u32_e32 v11, vcc, s14, v11
	v_addc_co_u32_e32 v12, vcc, v35, v12, vcc
	v_add_co_u32_e32 v15, vcc, s12, v13
	v_fma_f64 v[59:60], v[20:21], v[46:47], v[16:17]
	v_addc_co_u32_e32 v16, vcc, v34, v14, vcc
	global_load_dwordx4 v[11:14], v[11:12], off
	v_add_u32_e32 v30, -4, v28
	v_lshlrev_b64 v[19:20], 4, v[30:31]
	v_add_u32_e32 v30, -1, v28
	v_add_co_u32_e32 v19, vcc, s12, v19
	v_addc_co_u32_e32 v20, vcc, v34, v20, vcc
	s_waitcnt vmcnt(0)
	v_fma_f64 v[17:18], v[40:41], v[11:12], v[49:50]
	v_fma_f64 v[21:22], v[42:43], v[11:12], v[51:52]
	v_fma_f64 v[49:50], -v[42:43], v[13:14], v[17:18]
	global_load_dwordx4 v[15:18], v[15:16], off
	v_fma_f64 v[51:52], v[40:41], v[13:14], v[21:22]
	global_load_dwordx4 v[19:22], v[19:20], off
	s_waitcnt vmcnt(1)
	v_fma_f64 v[42:43], v[17:18], v[11:12], v[55:56]
	v_fma_f64 v[40:41], v[15:16], v[11:12], v[53:54]
	s_waitcnt vmcnt(0)
	v_fma_f64 v[44:45], v[21:22], v[11:12], v[59:60]
	v_fma_f64 v[55:56], v[15:16], v[13:14], v[42:43]
	v_lshlrev_b64 v[15:16], 4, v[28:29]
	v_fma_f64 v[53:54], -v[17:18], v[13:14], v[40:41]
	v_add_co_u32_e32 v15, vcc, s12, v15
	v_addc_co_u32_e32 v16, vcc, v34, v16, vcc
	global_load_dwordx4 v[40:43], v[15:16], off
	v_fma_f64 v[15:16], v[19:20], v[11:12], v[57:58]
	v_lshlrev_b64 v[17:18], 4, v[30:31]
	v_add_u32_e32 v30, 2, v48
	v_fma_f64 v[19:20], v[19:20], v[13:14], v[44:45]
	v_lshlrev_b64 v[44:45], 4, v[30:31]
	v_add_u32_e32 v30, -6, v28
	v_fma_f64 v[21:22], -v[21:22], v[13:14], v[15:16]
	v_add_co_u32_e32 v15, vcc, s12, v17
	v_addc_co_u32_e32 v16, vcc, v34, v18, vcc
	global_load_dwordx4 v[15:18], v[15:16], off
	s_waitcnt vmcnt(0)
	v_fma_f64 v[25:26], v[15:16], v[11:12], v[26:27]
	v_fma_f64 v[11:12], v[17:18], v[11:12], v[23:24]
	v_fma_f64 v[57:58], -v[17:18], v[13:14], v[25:26]
	v_fma_f64 v[59:60], v[15:16], v[13:14], v[11:12]
	v_add_co_u32_e32 v13, vcc, s14, v44
	v_addc_co_u32_e32 v14, vcc, v35, v45, vcc
	global_load_dwordx4 v[44:47], v[13:14], off
	v_lshlrev_b64 v[11:12], 4, v[30:31]
	v_add_u32_e32 v30, -3, v28
	v_lshlrev_b64 v[15:16], 4, v[30:31]
	v_add_co_u32_e32 v11, vcc, s12, v11
	v_addc_co_u32_e32 v12, vcc, v34, v12, vcc
	v_add_co_u32_e32 v15, vcc, s12, v15
	v_addc_co_u32_e32 v16, vcc, v34, v16, vcc
	global_load_dwordx4 v[11:14], v[11:12], off
	v_cmp_ge_i32_e32 vcc, v10, v32
	s_or_b64 s[0:1], vcc, s[0:1]
	v_add_u32_e32 v28, 0x300, v28
	s_waitcnt vmcnt(1)
	v_fma_f64 v[17:18], v[36:37], v[44:45], v[49:50]
	v_fma_f64 v[23:24], v[38:39], v[44:45], v[51:52]
	;; [unrolled: 1-line block ×3, first 2 shown]
	v_fma_f64 v[26:27], -v[38:39], v[46:47], v[17:18]
	global_load_dwordx4 v[15:18], v[15:16], off
	v_fma_f64 v[24:25], v[36:37], v[46:47], v[23:24]
	s_waitcnt vmcnt(1)
	v_fma_f64 v[29:30], v[11:12], v[44:45], v[53:54]
	v_fma_f64 v[36:37], v[13:14], v[44:45], v[55:56]
	s_waitcnt vmcnt(0)
	v_fma_f64 v[38:39], v[15:16], v[44:45], v[21:22]
	v_fma_f64 v[48:49], v[17:18], v[44:45], v[19:20]
	;; [unrolled: 1-line block ×3, first 2 shown]
	v_fma_f64 v[22:23], -v[13:14], v[46:47], v[29:30]
	v_fma_f64 v[20:21], v[11:12], v[46:47], v[36:37]
	v_fma_f64 v[18:19], -v[17:18], v[46:47], v[38:39]
	v_fma_f64 v[16:17], v[15:16], v[46:47], v[48:49]
	v_fma_f64 v[14:15], -v[42:43], v[46:47], v[50:51]
	v_fma_f64 v[12:13], v[40:41], v[46:47], v[44:45]
	s_andn2_b64 exec, exec, s[0:1]
	s_cbranch_execnz .LBB125_13
; %bb.14:
	s_or_b64 exec, exec, s[0:1]
.LBB125_15:
	s_or_b64 exec, exec, s[2:3]
.LBB125_16:
	v_mov_b32_dpp v10, v26 row_shr:1 row_mask:0xf bank_mask:0xf
	v_mov_b32_dpp v11, v27 row_shr:1 row_mask:0xf bank_mask:0xf
	v_add_f64 v[10:11], v[26:27], v[10:11]
	v_mov_b32_dpp v26, v24 row_shr:1 row_mask:0xf bank_mask:0xf
	v_mov_b32_dpp v27, v25 row_shr:1 row_mask:0xf bank_mask:0xf
	v_add_f64 v[24:25], v[24:25], v[26:27]
	v_mov_b32_dpp v28, v20 row_shr:1 row_mask:0xf bank_mask:0xf
	v_mov_b32_dpp v29, v21 row_shr:1 row_mask:0xf bank_mask:0xf
	v_add_f64 v[20:21], v[20:21], v[28:29]
	v_mov_b32_dpp v36, v16 row_shr:1 row_mask:0xf bank_mask:0xf
	v_mov_b32_dpp v26, v10 row_shr:2 row_mask:0xf bank_mask:0xf
	v_mov_b32_dpp v27, v11 row_shr:2 row_mask:0xf bank_mask:0xf
	v_add_f64 v[10:11], v[10:11], v[26:27]
	v_mov_b32_dpp v26, v24 row_shr:2 row_mask:0xf bank_mask:0xf
	v_mov_b32_dpp v27, v25 row_shr:2 row_mask:0xf bank_mask:0xf
	v_add_f64 v[24:25], v[24:25], v[26:27]
	v_mov_b32_dpp v26, v22 row_shr:1 row_mask:0xf bank_mask:0xf
	v_mov_b32_dpp v27, v23 row_shr:1 row_mask:0xf bank_mask:0xf
	v_add_f64 v[22:23], v[22:23], v[26:27]
	v_mov_b32_dpp v37, v17 row_shr:1 row_mask:0xf bank_mask:0xf
	;; [unrolled: 10-line block ×3, first 2 shown]
	v_mov_b32_dpp v28, v10 row_shr:8 row_mask:0xf bank_mask:0xc
	v_mov_b32_dpp v29, v11 row_shr:8 row_mask:0xf bank_mask:0xc
	v_add_f64 v[10:11], v[10:11], v[28:29]
	v_mov_b32_dpp v27, v21 row_shr:2 row_mask:0xf bank_mask:0xf
	v_add_f64 v[20:21], v[20:21], v[26:27]
	v_mov_b32_dpp v28, v24 row_shr:8 row_mask:0xf bank_mask:0xc
	v_mov_b32_dpp v29, v25 row_shr:8 row_mask:0xf bank_mask:0xc
	v_add_f64 v[24:25], v[24:25], v[28:29]
	v_mov_b32_dpp v28, v23 row_shr:4 row_mask:0xf bank_mask:0xe
	v_add_f64 v[16:17], v[16:17], v[36:37]
	v_mov_b32_dpp v26, v10 row_bcast:15 row_mask:0xa bank_mask:0xf
	v_mov_b32_dpp v27, v11 row_bcast:15 row_mask:0xa bank_mask:0xf
	v_add_f64 v[10:11], v[10:11], v[26:27]
	v_mov_b32_dpp v36, v14 row_shr:1 row_mask:0xf bank_mask:0xf
	v_mov_b32_dpp v27, v22 row_shr:4 row_mask:0xf bank_mask:0xe
	v_add_f64 v[22:23], v[22:23], v[27:28]
	v_mov_b32_dpp v28, v21 row_shr:4 row_mask:0xf bank_mask:0xe
	v_mov_b32_dpp v27, v20 row_shr:4 row_mask:0xf bank_mask:0xe
	;; [unrolled: 3-line block ×3, first 2 shown]
	v_add_f64 v[18:19], v[18:19], v[27:28]
	v_mov_b32_dpp v26, v24 row_bcast:15 row_mask:0xa bank_mask:0xf
	v_mov_b32_dpp v28, v22 row_shr:8 row_mask:0xf bank_mask:0xc
	v_mov_b32_dpp v29, v23 row_shr:8 row_mask:0xf bank_mask:0xc
	v_add_f64 v[22:23], v[22:23], v[28:29]
	v_mov_b32_dpp v28, v20 row_shr:8 row_mask:0xf bank_mask:0xc
	v_mov_b32_dpp v29, v21 row_shr:8 row_mask:0xf bank_mask:0xc
	v_add_f64 v[28:29], v[20:21], v[28:29]
	;; [unrolled: 3-line block ×3, first 2 shown]
	v_mov_b32_dpp v27, v25 row_bcast:15 row_mask:0xa bank_mask:0xf
	v_add_f64 v[18:19], v[24:25], v[26:27]
	v_mov_b32_dpp v37, v15 row_shr:1 row_mask:0xf bank_mask:0xf
	v_add_f64 v[14:15], v[14:15], v[36:37]
	v_mov_b32_dpp v36, v12 row_shr:1 row_mask:0xf bank_mask:0xf
	v_mov_b32_dpp v37, v13 row_shr:1 row_mask:0xf bank_mask:0xf
	v_add_f64 v[12:13], v[12:13], v[36:37]
	v_mov_b32_dpp v24, v30 row_shr:4 row_mask:0xf bank_mask:0xe
	v_mov_b32_dpp v25, v31 row_shr:4 row_mask:0xf bank_mask:0xe
	v_add_f64 v[32:33], v[30:31], v[24:25]
	v_mov_b32_dpp v20, v22 row_bcast:15 row_mask:0xa bank_mask:0xf
	v_mov_b32_dpp v21, v23 row_bcast:15 row_mask:0xa bank_mask:0xf
	v_add_f64 v[20:21], v[22:23], v[20:21]
	v_mov_b32_dpp v22, v28 row_bcast:15 row_mask:0xa bank_mask:0xf
	v_mov_b32_dpp v23, v29 row_bcast:15 row_mask:0xa bank_mask:0xf
	v_add_f64 v[22:23], v[28:29], v[22:23]
	v_mov_b32_dpp v30, v10 row_bcast:31 row_mask:0xc bank_mask:0xf
	v_mov_b32_dpp v34, v32 row_shr:8 row_mask:0xf bank_mask:0xc
	v_mov_b32_dpp v35, v33 row_shr:8 row_mask:0xf bank_mask:0xc
	v_add_f64 v[32:33], v[32:33], v[34:35]
	v_mov_b32_dpp v34, v16 row_shr:2 row_mask:0xf bank_mask:0xf
	v_mov_b32_dpp v35, v17 row_shr:2 row_mask:0xf bank_mask:0xf
	v_add_f64 v[16:17], v[16:17], v[34:35]
	;; [unrolled: 3-line block ×4, first 2 shown]
	v_mov_b32_dpp v34, v32 row_bcast:15 row_mask:0xa bank_mask:0xf
	v_mov_b32_dpp v35, v16 row_shr:4 row_mask:0xf bank_mask:0xe
	v_mov_b32_dpp v36, v17 row_shr:4 row_mask:0xf bank_mask:0xe
	v_add_f64 v[16:17], v[16:17], v[35:36]
	v_mov_b32_dpp v35, v14 row_shr:4 row_mask:0xf bank_mask:0xe
	v_mov_b32_dpp v36, v15 row_shr:4 row_mask:0xf bank_mask:0xe
	v_add_f64 v[14:15], v[14:15], v[35:36]
	;; [unrolled: 3-line block ×3, first 2 shown]
	v_mov_b32_dpp v35, v33 row_bcast:15 row_mask:0xa bank_mask:0xf
	v_mov_b32_dpp v36, v16 row_shr:8 row_mask:0xf bank_mask:0xc
	v_mov_b32_dpp v37, v17 row_shr:8 row_mask:0xf bank_mask:0xc
	v_add_f64 v[16:17], v[16:17], v[36:37]
	v_mov_b32_dpp v36, v14 row_shr:8 row_mask:0xf bank_mask:0xc
	v_mov_b32_dpp v37, v15 row_shr:8 row_mask:0xf bank_mask:0xc
	v_add_f64 v[36:37], v[14:15], v[36:37]
	;; [unrolled: 3-line block ×3, first 2 shown]
	v_add_f64 v[12:13], v[32:33], v[34:35]
	v_mov_b32_dpp v14, v16 row_bcast:15 row_mask:0xa bank_mask:0xf
	v_mov_b32_dpp v15, v17 row_bcast:15 row_mask:0xa bank_mask:0xf
	v_add_f64 v[14:15], v[16:17], v[14:15]
	v_mov_b32_dpp v16, v36 row_bcast:15 row_mask:0xa bank_mask:0xf
	v_mov_b32_dpp v17, v37 row_bcast:15 row_mask:0xa bank_mask:0xf
	;; [unrolled: 3-line block ×4, first 2 shown]
	v_mov_b32_dpp v25, v19 row_bcast:31 row_mask:0xc bank_mask:0xf
	v_mov_b32_dpp v28, v20 row_bcast:31 row_mask:0xc bank_mask:0xf
	v_mov_b32_dpp v29, v21 row_bcast:31 row_mask:0xc bank_mask:0xf
	v_mov_b32_dpp v26, v22 row_bcast:31 row_mask:0xc bank_mask:0xf
	v_mov_b32_dpp v27, v23 row_bcast:31 row_mask:0xc bank_mask:0xf
	v_mov_b32_dpp v42, v12 row_bcast:31 row_mask:0xc bank_mask:0xf
	v_mov_b32_dpp v43, v13 row_bcast:31 row_mask:0xc bank_mask:0xf
	v_mov_b32_dpp v40, v14 row_bcast:31 row_mask:0xc bank_mask:0xf
	v_mov_b32_dpp v41, v15 row_bcast:31 row_mask:0xc bank_mask:0xf
	v_mov_b32_dpp v38, v34 row_bcast:31 row_mask:0xc bank_mask:0xf
	v_mov_b32_dpp v39, v35 row_bcast:31 row_mask:0xc bank_mask:0xf
	v_mov_b32_dpp v36, v32 row_bcast:31 row_mask:0xc bank_mask:0xf
	v_mov_b32_dpp v37, v33 row_bcast:31 row_mask:0xc bank_mask:0xf
	v_cmp_eq_u32_e32 vcc, 63, v0
	s_and_b64 exec, exec, vcc
	s_cbranch_execz .LBB125_21
; %bb.17:
	v_cmp_eq_f64_e32 vcc, 0, v[5:6]
	v_cmp_eq_f64_e64 s[0:1], 0, v[7:8]
	v_add_f64 v[16:17], v[10:11], v[30:31]
	v_add_f64 v[24:25], v[18:19], v[24:25]
	;; [unrolled: 1-line block ×8, first 2 shown]
	s_load_dwordx2 s[2:3], s[4:5], 0x48
	s_and_b64 s[0:1], vcc, s[0:1]
	s_and_saveexec_b64 s[4:5], s[0:1]
	s_xor_b64 s[0:1], exec, s[4:5]
	s_cbranch_execz .LBB125_19
; %bb.18:
	v_mul_f64 v[5:6], v[24:25], -v[3:4]
	v_mul_f64 v[7:8], v[1:2], v[24:25]
	v_mul_f64 v[26:27], v[22:23], -v[3:4]
	v_mul_f64 v[22:23], v[1:2], v[22:23]
	v_mul_f64 v[28:29], v[18:19], -v[3:4]
	v_mul_f64 v[30:31], v[1:2], v[18:19]
	v_mul_f64 v[32:33], v[20:21], -v[3:4]
	v_mul_f64 v[20:21], v[1:2], v[20:21]
	v_fma_f64 v[5:6], v[1:2], v[16:17], v[5:6]
	v_fma_f64 v[7:8], v[3:4], v[16:17], v[7:8]
	;; [unrolled: 1-line block ×4, first 2 shown]
	v_lshlrev_b32_e32 v24, 2, v9
	v_fma_f64 v[9:10], v[1:2], v[12:13], v[28:29]
	v_fma_f64 v[11:12], v[3:4], v[12:13], v[30:31]
	v_ashrrev_i32_e32 v25, 31, v24
	v_fma_f64 v[0:1], v[1:2], v[14:15], v[32:33]
	v_fma_f64 v[2:3], v[3:4], v[14:15], v[20:21]
	v_lshlrev_b64 v[24:25], 4, v[24:25]
	s_waitcnt lgkmcnt(0)
	v_mov_b32_e32 v34, s3
	v_add_co_u32_e32 v13, vcc, s2, v24
	v_addc_co_u32_e32 v14, vcc, v34, v25, vcc
	global_store_dwordx4 v[13:14], v[5:8], off
	global_store_dwordx4 v[13:14], v[16:19], off offset:16
	global_store_dwordx4 v[13:14], v[9:12], off offset:32
	;; [unrolled: 1-line block ×3, first 2 shown]
                                        ; implicit-def: $vgpr9
                                        ; implicit-def: $vgpr16_vgpr17
                                        ; implicit-def: $vgpr24_vgpr25
                                        ; implicit-def: $vgpr10_vgpr11
                                        ; implicit-def: $vgpr22_vgpr23
                                        ; implicit-def: $vgpr12_vgpr13
                                        ; implicit-def: $vgpr18_vgpr19
                                        ; implicit-def: $vgpr14_vgpr15
                                        ; implicit-def: $vgpr20_vgpr21
                                        ; implicit-def: $vgpr7_vgpr8
                                        ; implicit-def: $vgpr3_vgpr4
.LBB125_19:
	s_andn2_saveexec_b64 s[0:1], s[0:1]
	s_cbranch_execz .LBB125_21
; %bb.20:
	v_lshlrev_b32_e32 v26, 2, v9
	v_ashrrev_i32_e32 v27, 31, v26
	v_lshlrev_b64 v[26:27], 4, v[26:27]
	s_waitcnt lgkmcnt(0)
	v_mov_b32_e32 v0, s3
	v_add_co_u32_e32 v42, vcc, s2, v26
	v_addc_co_u32_e32 v43, vcc, v0, v27, vcc
	global_load_dwordx4 v[26:29], v[42:43], off
	global_load_dwordx4 v[30:33], v[42:43], off offset:16
	global_load_dwordx4 v[34:37], v[42:43], off offset:32
	;; [unrolled: 1-line block ×3, first 2 shown]
	v_mul_f64 v[44:45], v[24:25], -v[3:4]
	v_mul_f64 v[24:25], v[1:2], v[24:25]
	v_mul_f64 v[46:47], v[22:23], -v[3:4]
	v_mul_f64 v[22:23], v[1:2], v[22:23]
	;; [unrolled: 2-line block ×4, first 2 shown]
	v_fma_f64 v[44:45], v[1:2], v[16:17], v[44:45]
	v_fma_f64 v[16:17], v[3:4], v[16:17], v[24:25]
	;; [unrolled: 1-line block ×8, first 2 shown]
	s_waitcnt vmcnt(3)
	v_fma_f64 v[13:14], v[5:6], v[26:27], v[44:45]
	v_fma_f64 v[15:16], v[7:8], v[26:27], v[16:17]
	s_waitcnt vmcnt(2)
	v_fma_f64 v[17:18], v[5:6], v[30:31], v[24:25]
	v_fma_f64 v[19:20], v[7:8], v[30:31], v[9:10]
	;; [unrolled: 3-line block ×4, first 2 shown]
	v_fma_f64 v[0:1], -v[7:8], v[28:29], v[13:14]
	v_fma_f64 v[2:3], v[5:6], v[28:29], v[15:16]
	v_fma_f64 v[9:10], -v[7:8], v[32:33], v[17:18]
	v_fma_f64 v[11:12], v[5:6], v[32:33], v[19:20]
	;; [unrolled: 2-line block ×4, first 2 shown]
	global_store_dwordx4 v[42:43], v[0:3], off
	global_store_dwordx4 v[42:43], v[9:12], off offset:16
	global_store_dwordx4 v[42:43], v[13:16], off offset:32
	;; [unrolled: 1-line block ×3, first 2 shown]
.LBB125_21:
	s_endpgm
	.section	.rodata,"a",@progbits
	.p2align	6, 0x0
	.amdhsa_kernel _ZN9rocsparseL19gebsrmvn_4xn_kernelILj128ELj3ELj64E21rocsparse_complex_numIdEEEvi20rocsparse_direction_NS_24const_host_device_scalarIT2_EEPKiS8_PKS5_SA_S6_PS5_21rocsparse_index_base_b
		.amdhsa_group_segment_fixed_size 0
		.amdhsa_private_segment_fixed_size 0
		.amdhsa_kernarg_size 88
		.amdhsa_user_sgpr_count 6
		.amdhsa_user_sgpr_private_segment_buffer 1
		.amdhsa_user_sgpr_dispatch_ptr 0
		.amdhsa_user_sgpr_queue_ptr 0
		.amdhsa_user_sgpr_kernarg_segment_ptr 1
		.amdhsa_user_sgpr_dispatch_id 0
		.amdhsa_user_sgpr_flat_scratch_init 0
		.amdhsa_user_sgpr_private_segment_size 0
		.amdhsa_uses_dynamic_stack 0
		.amdhsa_system_sgpr_private_segment_wavefront_offset 0
		.amdhsa_system_sgpr_workgroup_id_x 1
		.amdhsa_system_sgpr_workgroup_id_y 0
		.amdhsa_system_sgpr_workgroup_id_z 0
		.amdhsa_system_sgpr_workgroup_info 0
		.amdhsa_system_vgpr_workitem_id 0
		.amdhsa_next_free_vgpr 61
		.amdhsa_next_free_sgpr 18
		.amdhsa_reserve_vcc 1
		.amdhsa_reserve_flat_scratch 0
		.amdhsa_float_round_mode_32 0
		.amdhsa_float_round_mode_16_64 0
		.amdhsa_float_denorm_mode_32 3
		.amdhsa_float_denorm_mode_16_64 3
		.amdhsa_dx10_clamp 1
		.amdhsa_ieee_mode 1
		.amdhsa_fp16_overflow 0
		.amdhsa_exception_fp_ieee_invalid_op 0
		.amdhsa_exception_fp_denorm_src 0
		.amdhsa_exception_fp_ieee_div_zero 0
		.amdhsa_exception_fp_ieee_overflow 0
		.amdhsa_exception_fp_ieee_underflow 0
		.amdhsa_exception_fp_ieee_inexact 0
		.amdhsa_exception_int_div_zero 0
	.end_amdhsa_kernel
	.section	.text._ZN9rocsparseL19gebsrmvn_4xn_kernelILj128ELj3ELj64E21rocsparse_complex_numIdEEEvi20rocsparse_direction_NS_24const_host_device_scalarIT2_EEPKiS8_PKS5_SA_S6_PS5_21rocsparse_index_base_b,"axG",@progbits,_ZN9rocsparseL19gebsrmvn_4xn_kernelILj128ELj3ELj64E21rocsparse_complex_numIdEEEvi20rocsparse_direction_NS_24const_host_device_scalarIT2_EEPKiS8_PKS5_SA_S6_PS5_21rocsparse_index_base_b,comdat
.Lfunc_end125:
	.size	_ZN9rocsparseL19gebsrmvn_4xn_kernelILj128ELj3ELj64E21rocsparse_complex_numIdEEEvi20rocsparse_direction_NS_24const_host_device_scalarIT2_EEPKiS8_PKS5_SA_S6_PS5_21rocsparse_index_base_b, .Lfunc_end125-_ZN9rocsparseL19gebsrmvn_4xn_kernelILj128ELj3ELj64E21rocsparse_complex_numIdEEEvi20rocsparse_direction_NS_24const_host_device_scalarIT2_EEPKiS8_PKS5_SA_S6_PS5_21rocsparse_index_base_b
                                        ; -- End function
	.set _ZN9rocsparseL19gebsrmvn_4xn_kernelILj128ELj3ELj64E21rocsparse_complex_numIdEEEvi20rocsparse_direction_NS_24const_host_device_scalarIT2_EEPKiS8_PKS5_SA_S6_PS5_21rocsparse_index_base_b.num_vgpr, 61
	.set _ZN9rocsparseL19gebsrmvn_4xn_kernelILj128ELj3ELj64E21rocsparse_complex_numIdEEEvi20rocsparse_direction_NS_24const_host_device_scalarIT2_EEPKiS8_PKS5_SA_S6_PS5_21rocsparse_index_base_b.num_agpr, 0
	.set _ZN9rocsparseL19gebsrmvn_4xn_kernelILj128ELj3ELj64E21rocsparse_complex_numIdEEEvi20rocsparse_direction_NS_24const_host_device_scalarIT2_EEPKiS8_PKS5_SA_S6_PS5_21rocsparse_index_base_b.numbered_sgpr, 18
	.set _ZN9rocsparseL19gebsrmvn_4xn_kernelILj128ELj3ELj64E21rocsparse_complex_numIdEEEvi20rocsparse_direction_NS_24const_host_device_scalarIT2_EEPKiS8_PKS5_SA_S6_PS5_21rocsparse_index_base_b.num_named_barrier, 0
	.set _ZN9rocsparseL19gebsrmvn_4xn_kernelILj128ELj3ELj64E21rocsparse_complex_numIdEEEvi20rocsparse_direction_NS_24const_host_device_scalarIT2_EEPKiS8_PKS5_SA_S6_PS5_21rocsparse_index_base_b.private_seg_size, 0
	.set _ZN9rocsparseL19gebsrmvn_4xn_kernelILj128ELj3ELj64E21rocsparse_complex_numIdEEEvi20rocsparse_direction_NS_24const_host_device_scalarIT2_EEPKiS8_PKS5_SA_S6_PS5_21rocsparse_index_base_b.uses_vcc, 1
	.set _ZN9rocsparseL19gebsrmvn_4xn_kernelILj128ELj3ELj64E21rocsparse_complex_numIdEEEvi20rocsparse_direction_NS_24const_host_device_scalarIT2_EEPKiS8_PKS5_SA_S6_PS5_21rocsparse_index_base_b.uses_flat_scratch, 0
	.set _ZN9rocsparseL19gebsrmvn_4xn_kernelILj128ELj3ELj64E21rocsparse_complex_numIdEEEvi20rocsparse_direction_NS_24const_host_device_scalarIT2_EEPKiS8_PKS5_SA_S6_PS5_21rocsparse_index_base_b.has_dyn_sized_stack, 0
	.set _ZN9rocsparseL19gebsrmvn_4xn_kernelILj128ELj3ELj64E21rocsparse_complex_numIdEEEvi20rocsparse_direction_NS_24const_host_device_scalarIT2_EEPKiS8_PKS5_SA_S6_PS5_21rocsparse_index_base_b.has_recursion, 0
	.set _ZN9rocsparseL19gebsrmvn_4xn_kernelILj128ELj3ELj64E21rocsparse_complex_numIdEEEvi20rocsparse_direction_NS_24const_host_device_scalarIT2_EEPKiS8_PKS5_SA_S6_PS5_21rocsparse_index_base_b.has_indirect_call, 0
	.section	.AMDGPU.csdata,"",@progbits
; Kernel info:
; codeLenInByte = 4040
; TotalNumSgprs: 22
; NumVgprs: 61
; ScratchSize: 0
; MemoryBound: 0
; FloatMode: 240
; IeeeMode: 1
; LDSByteSize: 0 bytes/workgroup (compile time only)
; SGPRBlocks: 2
; VGPRBlocks: 15
; NumSGPRsForWavesPerEU: 22
; NumVGPRsForWavesPerEU: 61
; Occupancy: 4
; WaveLimiterHint : 1
; COMPUTE_PGM_RSRC2:SCRATCH_EN: 0
; COMPUTE_PGM_RSRC2:USER_SGPR: 6
; COMPUTE_PGM_RSRC2:TRAP_HANDLER: 0
; COMPUTE_PGM_RSRC2:TGID_X_EN: 1
; COMPUTE_PGM_RSRC2:TGID_Y_EN: 0
; COMPUTE_PGM_RSRC2:TGID_Z_EN: 0
; COMPUTE_PGM_RSRC2:TIDIG_COMP_CNT: 0
	.section	.text._ZN9rocsparseL19gebsrmvn_4xn_kernelILj128ELj5ELj4E21rocsparse_complex_numIdEEEvi20rocsparse_direction_NS_24const_host_device_scalarIT2_EEPKiS8_PKS5_SA_S6_PS5_21rocsparse_index_base_b,"axG",@progbits,_ZN9rocsparseL19gebsrmvn_4xn_kernelILj128ELj5ELj4E21rocsparse_complex_numIdEEEvi20rocsparse_direction_NS_24const_host_device_scalarIT2_EEPKiS8_PKS5_SA_S6_PS5_21rocsparse_index_base_b,comdat
	.globl	_ZN9rocsparseL19gebsrmvn_4xn_kernelILj128ELj5ELj4E21rocsparse_complex_numIdEEEvi20rocsparse_direction_NS_24const_host_device_scalarIT2_EEPKiS8_PKS5_SA_S6_PS5_21rocsparse_index_base_b ; -- Begin function _ZN9rocsparseL19gebsrmvn_4xn_kernelILj128ELj5ELj4E21rocsparse_complex_numIdEEEvi20rocsparse_direction_NS_24const_host_device_scalarIT2_EEPKiS8_PKS5_SA_S6_PS5_21rocsparse_index_base_b
	.p2align	8
	.type	_ZN9rocsparseL19gebsrmvn_4xn_kernelILj128ELj5ELj4E21rocsparse_complex_numIdEEEvi20rocsparse_direction_NS_24const_host_device_scalarIT2_EEPKiS8_PKS5_SA_S6_PS5_21rocsparse_index_base_b,@function
_ZN9rocsparseL19gebsrmvn_4xn_kernelILj128ELj5ELj4E21rocsparse_complex_numIdEEEvi20rocsparse_direction_NS_24const_host_device_scalarIT2_EEPKiS8_PKS5_SA_S6_PS5_21rocsparse_index_base_b: ; @_ZN9rocsparseL19gebsrmvn_4xn_kernelILj128ELj5ELj4E21rocsparse_complex_numIdEEEvi20rocsparse_direction_NS_24const_host_device_scalarIT2_EEPKiS8_PKS5_SA_S6_PS5_21rocsparse_index_base_b
; %bb.0:
	s_load_dwordx2 s[0:1], s[4:5], 0x8
	s_load_dwordx2 s[2:3], s[4:5], 0x38
	;; [unrolled: 1-line block ×3, first 2 shown]
	s_add_u32 s7, s4, 8
	s_addc_u32 s8, s5, 0
	s_add_u32 s9, s4, 56
	s_addc_u32 s10, s5, 0
	s_waitcnt lgkmcnt(0)
	s_bitcmp1_b32 s17, 0
	s_cselect_b32 s1, s8, s1
	s_cselect_b32 s0, s7, s0
	v_mov_b32_e32 v1, s0
	v_mov_b32_e32 v2, s1
	flat_load_dwordx4 v[1:4], v[1:2]
	s_cselect_b32 s0, s10, s3
	s_cselect_b32 s1, s9, s2
	v_mov_b32_e32 v5, s1
	v_mov_b32_e32 v6, s0
	flat_load_dwordx4 v[5:8], v[5:6]
	s_waitcnt vmcnt(0) lgkmcnt(0)
	v_cmp_eq_f64_e32 vcc, 0, v[1:2]
	v_cmp_eq_f64_e64 s[0:1], 0, v[3:4]
	s_and_b64 s[8:9], vcc, s[0:1]
	s_mov_b64 s[0:1], -1
	s_and_saveexec_b64 s[2:3], s[8:9]
	s_cbranch_execz .LBB126_2
; %bb.1:
	v_cmp_neq_f64_e32 vcc, 1.0, v[5:6]
	v_cmp_neq_f64_e64 s[0:1], 0, v[7:8]
	s_or_b64 s[0:1], vcc, s[0:1]
	s_orn2_b64 s[0:1], s[0:1], exec
.LBB126_2:
	s_or_b64 exec, exec, s[2:3]
	s_and_saveexec_b64 s[2:3], s[0:1]
	s_cbranch_execz .LBB126_21
; %bb.3:
	s_load_dwordx2 s[0:1], s[4:5], 0x0
	v_lshrrev_b32_e32 v9, 2, v0
	v_lshl_or_b32 v9, s6, 5, v9
	s_waitcnt lgkmcnt(0)
	v_cmp_gt_i32_e32 vcc, s0, v9
	s_and_b64 exec, exec, vcc
	s_cbranch_execz .LBB126_21
; %bb.4:
	s_load_dwordx8 s[8:15], s[4:5], 0x18
	v_ashrrev_i32_e32 v10, 31, v9
	v_lshlrev_b64 v[10:11], 2, v[9:10]
	v_and_b32_e32 v0, 3, v0
	s_cmp_lg_u32 s1, 0
	s_waitcnt lgkmcnt(0)
	v_mov_b32_e32 v12, s9
	v_add_co_u32_e32 v10, vcc, s8, v10
	v_addc_co_u32_e32 v11, vcc, v12, v11, vcc
	global_load_dwordx2 v[10:11], v[10:11], off
	s_waitcnt vmcnt(0)
	v_subrev_u32_e32 v10, s16, v10
	v_subrev_u32_e32 v36, s16, v11
	v_add_u32_e32 v10, v10, v0
	v_cmp_lt_i32_e64 s[0:1], v10, v36
	s_cbranch_scc0 .LBB126_10
; %bb.5:
	v_mov_b32_e32 v24, 0
	v_mov_b32_e32 v26, 0
	;; [unrolled: 1-line block ×16, first 2 shown]
	s_and_saveexec_b64 s[6:7], s[0:1]
	s_cbranch_execz .LBB126_9
; %bb.6:
	v_mad_u64_u32 v[11:12], s[2:3], v10, 20, 16
	v_mov_b32_e32 v24, 0
	v_mov_b32_e32 v26, 0
	;; [unrolled: 1-line block ×9, first 2 shown]
	s_mov_b64 s[8:9], 0
	v_mov_b32_e32 v37, s11
	v_mov_b32_e32 v17, 0
	v_mov_b32_e32 v38, s13
	v_mov_b32_e32 v39, s15
	v_mov_b32_e32 v27, 0
	v_mov_b32_e32 v21, 0
	v_mov_b32_e32 v23, 0
	v_mov_b32_e32 v15, 0
	v_mov_b32_e32 v13, 0
	v_mov_b32_e32 v33, 0
	v_mov_b32_e32 v31, 0
	v_mov_b32_e32 v18, v10
.LBB126_7:                              ; =>This Inner Loop Header: Depth=1
	v_ashrrev_i32_e32 v19, 31, v18
	v_lshlrev_b64 v[28:29], 2, v[18:19]
	v_add_u32_e32 v16, -16, v11
	v_add_co_u32_e32 v28, vcc, s10, v28
	v_addc_co_u32_e32 v29, vcc, v37, v29, vcc
	v_lshlrev_b64 v[40:41], 4, v[16:17]
	global_load_dword v16, v[28:29], off
	v_mov_b32_e32 v35, v17
	v_add_co_u32_e64 v48, s[2:3], s12, v40
	v_addc_co_u32_e64 v49, vcc, v38, v41, s[2:3]
	v_add_u32_e32 v18, 4, v18
	s_waitcnt vmcnt(0)
	v_subrev_u32_e32 v16, s16, v16
	v_lshl_add_u32 v34, v16, 2, v16
	v_lshlrev_b64 v[28:29], 4, v[34:35]
	v_add_u32_e32 v16, -12, v11
	v_add_co_u32_e32 v28, vcc, s14, v28
	v_addc_co_u32_e32 v29, vcc, v39, v29, vcc
	global_load_dwordx4 v[40:43], v[48:49], off
	global_load_dwordx4 v[44:47], v[28:29], off
	s_waitcnt vmcnt(0)
	v_fma_f64 v[26:27], v[40:41], v[44:45], v[26:27]
	v_fma_f64 v[24:25], v[42:43], v[44:45], v[24:25]
	v_fma_f64 v[28:29], -v[42:43], v[46:47], v[26:27]
	v_fma_f64 v[40:41], v[40:41], v[46:47], v[24:25]
	global_load_dwordx4 v[24:27], v[48:49], off offset:16
	s_waitcnt vmcnt(0)
	v_fma_f64 v[32:33], v[24:25], v[44:45], v[32:33]
	v_fma_f64 v[30:31], v[26:27], v[44:45], v[30:31]
	v_fma_f64 v[32:33], -v[26:27], v[46:47], v[32:33]
	v_fma_f64 v[30:31], v[24:25], v[46:47], v[30:31]
	global_load_dwordx4 v[24:27], v[48:49], off offset:32
	;; [unrolled: 6-line block ×3, first 2 shown]
	s_waitcnt vmcnt(0)
	v_fma_f64 v[19:20], v[12:13], v[44:45], v[20:21]
	v_fma_f64 v[21:22], v[14:15], v[44:45], v[22:23]
	v_fma_f64 v[42:43], -v[14:15], v[46:47], v[19:20]
	v_fma_f64 v[44:45], v[12:13], v[46:47], v[21:22]
	v_lshlrev_b64 v[12:13], 4, v[16:17]
	v_add_u32_e32 v16, 1, v34
	v_add_co_u32_e32 v46, vcc, s12, v12
	v_addc_co_u32_e32 v47, vcc, v38, v13, vcc
	v_lshlrev_b64 v[12:13], 4, v[16:17]
	v_add_u32_e32 v16, -8, v11
	v_add_co_u32_e32 v48, vcc, s14, v12
	v_addc_co_u32_e32 v49, vcc, v39, v13, vcc
	global_load_dwordx4 v[12:15], v[46:47], off
	global_load_dwordx4 v[19:22], v[48:49], off
	s_waitcnt vmcnt(0)
	v_fma_f64 v[28:29], v[12:13], v[19:20], v[28:29]
	v_fma_f64 v[40:41], v[14:15], v[19:20], v[40:41]
	v_fma_f64 v[28:29], -v[14:15], v[21:22], v[28:29]
	v_fma_f64 v[40:41], v[12:13], v[21:22], v[40:41]
	global_load_dwordx4 v[12:15], v[46:47], off offset:16
	s_waitcnt vmcnt(0)
	v_fma_f64 v[32:33], v[12:13], v[19:20], v[32:33]
	v_fma_f64 v[30:31], v[14:15], v[19:20], v[30:31]
	v_fma_f64 v[32:33], -v[14:15], v[21:22], v[32:33]
	v_fma_f64 v[30:31], v[12:13], v[21:22], v[30:31]
	global_load_dwordx4 v[12:15], v[46:47], off offset:32
	;; [unrolled: 6-line block ×3, first 2 shown]
	s_waitcnt vmcnt(0)
	v_fma_f64 v[42:43], v[12:13], v[19:20], v[42:43]
	v_fma_f64 v[19:20], v[14:15], v[19:20], v[44:45]
	v_fma_f64 v[42:43], -v[14:15], v[21:22], v[42:43]
	v_fma_f64 v[44:45], v[12:13], v[21:22], v[19:20]
	v_lshlrev_b64 v[12:13], 4, v[16:17]
	v_add_u32_e32 v16, 2, v34
	v_lshlrev_b64 v[14:15], 4, v[16:17]
	v_add_co_u32_e32 v46, vcc, s12, v12
	v_addc_co_u32_e32 v47, vcc, v38, v13, vcc
	v_add_co_u32_e32 v48, vcc, s14, v14
	v_addc_co_u32_e32 v49, vcc, v39, v15, vcc
	global_load_dwordx4 v[12:15], v[46:47], off
	global_load_dwordx4 v[19:22], v[48:49], off
	v_add_u32_e32 v16, -4, v11
	s_waitcnt vmcnt(0)
	v_fma_f64 v[27:28], v[12:13], v[19:20], v[28:29]
	v_fma_f64 v[40:41], v[14:15], v[19:20], v[40:41]
	v_fma_f64 v[27:28], -v[14:15], v[21:22], v[27:28]
	v_fma_f64 v[40:41], v[12:13], v[21:22], v[40:41]
	global_load_dwordx4 v[12:15], v[46:47], off offset:16
	s_waitcnt vmcnt(0)
	v_fma_f64 v[32:33], v[12:13], v[19:20], v[32:33]
	v_fma_f64 v[29:30], v[14:15], v[19:20], v[30:31]
	v_fma_f64 v[31:32], -v[14:15], v[21:22], v[32:33]
	v_fma_f64 v[29:30], v[12:13], v[21:22], v[29:30]
	global_load_dwordx4 v[12:15], v[46:47], off offset:32
	;; [unrolled: 6-line block ×3, first 2 shown]
	s_waitcnt vmcnt(0)
	v_fma_f64 v[23:24], v[12:13], v[19:20], v[42:43]
	v_fma_f64 v[19:20], v[14:15], v[19:20], v[44:45]
	v_fma_f64 v[42:43], -v[14:15], v[21:22], v[23:24]
	v_fma_f64 v[44:45], v[12:13], v[21:22], v[19:20]
	v_lshlrev_b64 v[12:13], 4, v[16:17]
	v_add_u32_e32 v16, 3, v34
	v_lshlrev_b64 v[14:15], 4, v[16:17]
	v_add_co_u32_e32 v46, vcc, s12, v12
	v_addc_co_u32_e32 v47, vcc, v38, v13, vcc
	v_add_co_u32_e32 v19, vcc, s14, v14
	v_addc_co_u32_e32 v20, vcc, v39, v15, vcc
	global_load_dwordx4 v[12:15], v[46:47], off
	global_load_dwordx4 v[23:26], v[19:20], off
	s_waitcnt vmcnt(0)
	v_fma_f64 v[19:20], v[12:13], v[23:24], v[27:28]
	v_fma_f64 v[21:22], v[14:15], v[23:24], v[40:41]
	v_fma_f64 v[52:53], -v[14:15], v[25:26], v[19:20]
	v_fma_f64 v[54:55], v[12:13], v[25:26], v[21:22]
	global_load_dwordx4 v[12:15], v[46:47], off offset:16
	s_waitcnt vmcnt(0)
	v_fma_f64 v[19:20], v[12:13], v[23:24], v[31:32]
	v_fma_f64 v[27:28], v[14:15], v[23:24], v[29:30]
	global_load_dwordx4 v[30:33], v[46:47], off offset:32
	v_fma_f64 v[21:22], -v[14:15], v[25:26], v[19:20]
	v_fma_f64 v[28:29], v[12:13], v[25:26], v[27:28]
	s_waitcnt vmcnt(0)
	v_fma_f64 v[12:13], v[30:31], v[23:24], v[48:49]
	v_fma_f64 v[15:16], v[32:33], v[23:24], v[50:51]
	v_fma_f64 v[13:14], -v[32:33], v[25:26], v[12:13]
	v_fma_f64 v[19:20], v[30:31], v[25:26], v[15:16]
	global_load_dwordx4 v[30:33], v[46:47], off offset:48
	v_mov_b32_e32 v12, v17
	s_waitcnt vmcnt(0)
	v_fma_f64 v[15:16], v[30:31], v[23:24], v[42:43]
	v_fma_f64 v[23:24], v[32:33], v[23:24], v[44:45]
	v_fma_f64 v[48:49], -v[32:33], v[25:26], v[15:16]
	v_lshlrev_b64 v[15:16], 4, v[11:12]
	v_fma_f64 v[50:51], v[30:31], v[25:26], v[23:24]
	v_add_co_u32_e32 v56, vcc, s12, v15
	v_addc_co_u32_e32 v57, vcc, v38, v16, vcc
	v_add_u32_e32 v16, 4, v34
	v_lshlrev_b64 v[15:16], 4, v[16:17]
	global_load_dwordx4 v[23:26], v[56:57], off
	global_load_dwordx4 v[44:47], v[56:57], off offset:32
	v_add_co_u32_e32 v15, vcc, s14, v15
	v_addc_co_u32_e32 v16, vcc, v39, v16, vcc
	global_load_dwordx4 v[40:43], v[15:16], off
	v_cmp_ge_i32_e32 vcc, v18, v36
	s_or_b64 s[8:9], vcc, s[8:9]
	v_add_u32_e32 v11, 0x50, v11
	s_waitcnt vmcnt(0)
	v_fma_f64 v[15:16], v[23:24], v[40:41], v[52:53]
	v_fma_f64 v[30:31], v[25:26], v[40:41], v[54:55]
	;; [unrolled: 1-line block ×4, first 2 shown]
	v_fma_f64 v[26:27], -v[25:26], v[42:43], v[15:16]
	v_fma_f64 v[24:25], v[23:24], v[42:43], v[30:31]
	global_load_dwordx4 v[30:33], v[56:57], off offset:16
	s_waitcnt vmcnt(0)
	v_fma_f64 v[15:16], v[30:31], v[40:41], v[21:22]
	v_fma_f64 v[21:22], v[32:33], v[40:41], v[28:29]
	v_fma_f64 v[32:33], -v[32:33], v[42:43], v[15:16]
	v_fma_f64 v[14:15], -v[46:47], v[42:43], v[12:13]
	v_fma_f64 v[12:13], v[44:45], v[42:43], v[19:20]
	global_load_dwordx4 v[44:47], v[56:57], off offset:48
	v_fma_f64 v[30:31], v[30:31], v[42:43], v[21:22]
	s_waitcnt vmcnt(0)
	v_fma_f64 v[19:20], v[44:45], v[40:41], v[48:49]
	v_fma_f64 v[22:23], v[46:47], v[40:41], v[50:51]
	v_fma_f64 v[20:21], -v[46:47], v[42:43], v[19:20]
	v_fma_f64 v[22:23], v[44:45], v[42:43], v[22:23]
	s_andn2_b64 exec, exec, s[8:9]
	s_cbranch_execnz .LBB126_7
; %bb.8:
	s_or_b64 exec, exec, s[8:9]
.LBB126_9:
	s_or_b64 exec, exec, s[6:7]
	s_cbranch_execz .LBB126_11
	s_branch .LBB126_16
.LBB126_10:
                                        ; implicit-def: $vgpr24_vgpr25
                                        ; implicit-def: $vgpr26_vgpr27
                                        ; implicit-def: $vgpr20_vgpr21
                                        ; implicit-def: $vgpr22_vgpr23
                                        ; implicit-def: $vgpr14_vgpr15
                                        ; implicit-def: $vgpr12_vgpr13
                                        ; implicit-def: $vgpr32_vgpr33
                                        ; implicit-def: $vgpr30_vgpr31
.LBB126_11:
	v_mov_b32_e32 v24, 0
	v_mov_b32_e32 v26, 0
	;; [unrolled: 1-line block ×16, first 2 shown]
	s_and_saveexec_b64 s[2:3], s[0:1]
	s_cbranch_execz .LBB126_15
; %bb.12:
	v_mad_u64_u32 v[16:17], s[0:1], v10, 20, 19
	v_mov_b32_e32 v24, 0
	v_mov_b32_e32 v26, 0
	;; [unrolled: 1-line block ×9, first 2 shown]
	s_mov_b64 s[0:1], 0
	v_mov_b32_e32 v34, s11
	v_mov_b32_e32 v19, 0
	;; [unrolled: 1-line block ×11, first 2 shown]
.LBB126_13:                             ; =>This Inner Loop Header: Depth=1
	v_ashrrev_i32_e32 v11, 31, v10
	v_lshlrev_b64 v[38:39], 2, v[10:11]
	v_subrev_u32_e32 v18, 19, v16
	v_lshlrev_b64 v[17:18], 4, v[18:19]
	v_add_co_u32_e32 v46, vcc, s10, v38
	v_addc_co_u32_e32 v47, vcc, v34, v39, vcc
	v_add_co_u32_e32 v52, vcc, s12, v17
	v_addc_co_u32_e32 v53, vcc, v35, v18, vcc
	global_load_dword v11, v[46:47], off
	global_load_dwordx4 v[38:41], v[52:53], off
	global_load_dwordx4 v[42:45], v[52:53], off offset:16
	v_mov_b32_e32 v29, v19
	v_add_u32_e32 v50, -14, v16
	v_mov_b32_e32 v51, v19
	v_add_u32_e32 v10, 4, v10
	s_waitcnt vmcnt(2)
	v_subrev_u32_e32 v11, s16, v11
	v_lshl_add_u32 v28, v11, 2, v11
	v_lshlrev_b64 v[17:18], 4, v[28:29]
	v_add_co_u32_e32 v17, vcc, s14, v17
	v_addc_co_u32_e32 v18, vcc, v37, v18, vcc
	global_load_dwordx4 v[46:49], v[17:18], off
	s_waitcnt vmcnt(0)
	v_fma_f64 v[24:25], v[40:41], v[46:47], v[24:25]
	v_fma_f64 v[17:18], v[38:39], v[46:47], v[26:27]
	;; [unrolled: 1-line block ×3, first 2 shown]
	v_lshlrev_b64 v[24:25], 4, v[50:51]
	v_fma_f64 v[54:55], -v[40:41], v[48:49], v[17:18]
	v_add_u32_e32 v17, -9, v16
	v_mov_b32_e32 v18, v19
	v_lshlrev_b64 v[17:18], 4, v[17:18]
	v_add_co_u32_e32 v50, vcc, s12, v24
	v_addc_co_u32_e32 v51, vcc, v35, v25, vcc
	v_add_co_u32_e32 v17, vcc, s12, v17
	v_addc_co_u32_e32 v18, vcc, v35, v18, vcc
	global_load_dwordx4 v[24:27], v[50:51], off
	global_load_dwordx4 v[38:41], v[17:18], off
	s_waitcnt vmcnt(1)
	v_fma_f64 v[17:18], v[24:25], v[46:47], v[32:33]
	v_fma_f64 v[29:30], v[26:27], v[46:47], v[30:31]
	s_waitcnt vmcnt(0)
	v_fma_f64 v[14:15], v[38:39], v[46:47], v[14:15]
	v_fma_f64 v[11:12], v[40:41], v[46:47], v[12:13]
	v_fma_f64 v[31:32], -v[26:27], v[48:49], v[17:18]
	v_add_u32_e32 v17, -4, v16
	v_mov_b32_e32 v18, v19
	v_lshlrev_b64 v[17:18], 4, v[17:18]
	v_fma_f64 v[29:30], v[24:25], v[48:49], v[29:30]
	v_add_co_u32_e32 v24, vcc, s12, v17
	v_addc_co_u32_e32 v25, vcc, v35, v18, vcc
	v_fma_f64 v[40:41], -v[40:41], v[48:49], v[14:15]
	v_fma_f64 v[38:39], v[38:39], v[48:49], v[11:12]
	global_load_dwordx4 v[11:14], v[24:25], off
	v_add_u32_e32 v18, 1, v28
	v_lshlrev_b64 v[24:25], 4, v[18:19]
	v_add_u32_e32 v18, -13, v16
	v_mov_b32_e32 v17, v19
	s_waitcnt vmcnt(0)
	v_fma_f64 v[20:21], v[11:12], v[46:47], v[20:21]
	v_fma_f64 v[22:23], v[13:14], v[46:47], v[22:23]
	v_fma_f64 v[46:47], -v[13:14], v[48:49], v[20:21]
	v_fma_f64 v[48:49], v[11:12], v[48:49], v[22:23]
	v_add_co_u32_e32 v11, vcc, s14, v24
	v_addc_co_u32_e32 v12, vcc, v37, v25, vcc
	global_load_dwordx4 v[11:14], v[11:12], off
	v_lshlrev_b64 v[20:21], 4, v[18:19]
	v_add_u32_e32 v18, -8, v16
	v_lshlrev_b64 v[22:23], 4, v[18:19]
	v_add_co_u32_e32 v20, vcc, s12, v20
	v_addc_co_u32_e32 v21, vcc, v35, v21, vcc
	v_add_co_u32_e32 v24, vcc, s12, v22
	v_addc_co_u32_e32 v25, vcc, v35, v23, vcc
	global_load_dwordx4 v[20:23], v[20:21], off
	v_add_u32_e32 v18, -3, v16
	s_waitcnt vmcnt(1)
	v_fma_f64 v[26:27], v[42:43], v[11:12], v[54:55]
	v_fma_f64 v[50:51], v[44:45], v[11:12], v[56:57]
	v_fma_f64 v[44:45], -v[44:45], v[13:14], v[26:27]
	global_load_dwordx4 v[24:27], v[24:25], off
	v_fma_f64 v[42:43], v[42:43], v[13:14], v[50:51]
	s_waitcnt vmcnt(1)
	v_fma_f64 v[31:32], v[20:21], v[11:12], v[31:32]
	v_fma_f64 v[29:30], v[22:23], v[11:12], v[29:30]
	v_fma_f64 v[50:51], -v[22:23], v[13:14], v[31:32]
	v_fma_f64 v[54:55], v[20:21], v[13:14], v[29:30]
	global_load_dwordx4 v[20:23], v[52:53], off offset:32
	global_load_dwordx4 v[29:32], v[52:53], off offset:48
	s_waitcnt vmcnt(2)
	v_fma_f64 v[38:39], v[26:27], v[11:12], v[38:39]
	v_fma_f64 v[40:41], v[24:25], v[11:12], v[40:41]
	;; [unrolled: 1-line block ×3, first 2 shown]
	v_lshlrev_b64 v[24:25], 4, v[18:19]
	v_fma_f64 v[52:53], -v[26:27], v[13:14], v[40:41]
	v_add_co_u32_e32 v24, vcc, s12, v24
	v_addc_co_u32_e32 v25, vcc, v35, v25, vcc
	global_load_dwordx4 v[24:27], v[24:25], off
	v_add_u32_e32 v18, 2, v28
	s_waitcnt vmcnt(0)
	v_fma_f64 v[38:39], v[24:25], v[11:12], v[46:47]
	v_fma_f64 v[11:12], v[26:27], v[11:12], v[48:49]
	v_fma_f64 v[46:47], -v[26:27], v[13:14], v[38:39]
	v_fma_f64 v[48:49], v[24:25], v[13:14], v[11:12]
	v_lshlrev_b64 v[11:12], 4, v[18:19]
	v_add_u32_e32 v18, -12, v16
	v_lshlrev_b64 v[13:14], 4, v[18:19]
	v_add_co_u32_e32 v11, vcc, s14, v11
	v_addc_co_u32_e32 v12, vcc, v37, v12, vcc
	v_add_co_u32_e32 v26, vcc, s12, v13
	v_addc_co_u32_e32 v27, vcc, v35, v14, vcc
	global_load_dwordx4 v[11:14], v[11:12], off
	v_add_u32_e32 v18, -7, v16
	v_lshlrev_b64 v[24:25], 4, v[18:19]
	v_lshlrev_b64 v[17:18], 4, v[16:17]
	v_add_co_u32_e32 v24, vcc, s12, v24
	v_addc_co_u32_e32 v25, vcc, v35, v25, vcc
	v_add_co_u32_e32 v17, vcc, s12, v17
	v_addc_co_u32_e32 v18, vcc, v35, v18, vcc
	s_waitcnt vmcnt(0)
	v_fma_f64 v[38:39], v[20:21], v[11:12], v[44:45]
	v_fma_f64 v[40:41], v[22:23], v[11:12], v[42:43]
	v_fma_f64 v[42:43], -v[22:23], v[13:14], v[38:39]
	v_fma_f64 v[44:45], v[20:21], v[13:14], v[40:41]
	global_load_dwordx4 v[20:23], v[26:27], off
	s_waitcnt vmcnt(0)
	v_fma_f64 v[38:39], v[20:21], v[11:12], v[50:51]
	global_load_dwordx4 v[24:27], v[24:25], off
	v_fma_f64 v[40:41], v[22:23], v[11:12], v[54:55]
	v_fma_f64 v[50:51], -v[22:23], v[13:14], v[38:39]
	v_fma_f64 v[54:55], v[20:21], v[13:14], v[40:41]
	global_load_dwordx4 v[38:41], v[17:18], off
	v_add_u32_e32 v18, -2, v16
	s_waitcnt vmcnt(1)
	v_fma_f64 v[20:21], v[24:25], v[11:12], v[52:53]
	v_fma_f64 v[22:23], v[26:27], v[11:12], v[56:57]
	v_fma_f64 v[52:53], -v[26:27], v[13:14], v[20:21]
	v_lshlrev_b64 v[20:21], 4, v[18:19]
	v_fma_f64 v[56:57], v[24:25], v[13:14], v[22:23]
	v_add_co_u32_e32 v20, vcc, s12, v20
	v_addc_co_u32_e32 v21, vcc, v35, v21, vcc
	global_load_dwordx4 v[20:23], v[20:21], off
	v_add_u32_e32 v18, 3, v28
	s_waitcnt vmcnt(0)
	v_fma_f64 v[24:25], v[20:21], v[11:12], v[46:47]
	v_fma_f64 v[11:12], v[22:23], v[11:12], v[48:49]
	v_fma_f64 v[46:47], -v[22:23], v[13:14], v[24:25]
	v_fma_f64 v[48:49], v[20:21], v[13:14], v[11:12]
	v_lshlrev_b64 v[11:12], 4, v[18:19]
	v_add_u32_e32 v18, -11, v16
	v_lshlrev_b64 v[13:14], 4, v[18:19]
	v_add_co_u32_e32 v11, vcc, s14, v11
	v_addc_co_u32_e32 v12, vcc, v37, v12, vcc
	v_add_co_u32_e32 v20, vcc, s12, v13
	v_addc_co_u32_e32 v21, vcc, v35, v14, vcc
	global_load_dwordx4 v[11:14], v[11:12], off
	v_add_u32_e32 v18, -6, v16
	v_lshlrev_b64 v[24:25], 4, v[18:19]
	v_add_u32_e32 v18, -1, v16
	v_add_co_u32_e32 v24, vcc, s12, v24
	v_addc_co_u32_e32 v25, vcc, v35, v25, vcc
	s_waitcnt vmcnt(0)
	v_fma_f64 v[22:23], v[29:30], v[11:12], v[42:43]
	v_fma_f64 v[26:27], v[31:32], v[11:12], v[44:45]
	v_fma_f64 v[31:32], -v[31:32], v[13:14], v[22:23]
	global_load_dwordx4 v[20:23], v[20:21], off
	v_fma_f64 v[29:30], v[29:30], v[13:14], v[26:27]
	global_load_dwordx4 v[24:27], v[24:25], off
	s_waitcnt vmcnt(1)
	v_fma_f64 v[42:43], v[20:21], v[11:12], v[50:51]
	v_fma_f64 v[44:45], v[22:23], v[11:12], v[54:55]
	v_fma_f64 v[50:51], -v[22:23], v[13:14], v[42:43]
	s_waitcnt vmcnt(0)
	v_fma_f64 v[22:23], v[24:25], v[11:12], v[52:53]
	v_fma_f64 v[54:55], v[20:21], v[13:14], v[44:45]
	v_lshlrev_b64 v[20:21], 4, v[18:19]
	v_fma_f64 v[52:53], v[26:27], v[11:12], v[56:57]
	v_add_co_u32_e32 v20, vcc, s12, v20
	v_addc_co_u32_e32 v21, vcc, v35, v21, vcc
	v_fma_f64 v[56:57], -v[26:27], v[13:14], v[22:23]
	global_load_dwordx4 v[20:23], v[20:21], off
	v_add_u32_e32 v18, -15, v16
	v_lshlrev_b64 v[42:43], 4, v[18:19]
	v_fma_f64 v[52:53], v[24:25], v[13:14], v[52:53]
	v_add_co_u32_e32 v24, vcc, s12, v42
	v_addc_co_u32_e32 v25, vcc, v35, v43, vcc
	global_load_dwordx4 v[24:27], v[24:25], off
	v_add_u32_e32 v18, 4, v28
	v_lshlrev_b64 v[44:45], 4, v[18:19]
	v_add_u32_e32 v18, -10, v16
	s_waitcnt vmcnt(1)
	v_fma_f64 v[42:43], v[20:21], v[11:12], v[46:47]
	v_fma_f64 v[11:12], v[22:23], v[11:12], v[48:49]
	v_fma_f64 v[46:47], -v[22:23], v[13:14], v[42:43]
	v_fma_f64 v[48:49], v[20:21], v[13:14], v[11:12]
	v_add_co_u32_e32 v13, vcc, s14, v44
	v_addc_co_u32_e32 v14, vcc, v37, v45, vcc
	global_load_dwordx4 v[20:23], v[13:14], off
	v_lshlrev_b64 v[11:12], 4, v[18:19]
	v_add_u32_e32 v18, -5, v16
	v_lshlrev_b64 v[17:18], 4, v[18:19]
	v_add_co_u32_e32 v11, vcc, s12, v11
	v_addc_co_u32_e32 v12, vcc, v35, v12, vcc
	v_add_co_u32_e32 v17, vcc, s12, v17
	v_addc_co_u32_e32 v18, vcc, v35, v18, vcc
	global_load_dwordx4 v[11:14], v[11:12], off
	v_cmp_ge_i32_e32 vcc, v10, v36
	global_load_dwordx4 v[42:45], v[17:18], off
	s_or_b64 s[0:1], vcc, s[0:1]
	v_add_u32_e32 v16, 0x50, v16
	s_waitcnt vmcnt(2)
	v_fma_f64 v[28:29], v[26:27], v[20:21], v[29:30]
	v_fma_f64 v[31:32], v[24:25], v[20:21], v[31:32]
	;; [unrolled: 1-line block ×5, first 2 shown]
	v_fma_f64 v[26:27], -v[26:27], v[22:23], v[31:32]
	s_waitcnt vmcnt(1)
	v_fma_f64 v[17:18], v[11:12], v[20:21], v[50:51]
	v_fma_f64 v[28:29], v[13:14], v[20:21], v[54:55]
	s_waitcnt vmcnt(0)
	v_fma_f64 v[50:51], v[42:43], v[20:21], v[56:57]
	v_fma_f64 v[52:53], v[44:45], v[20:21], v[52:53]
	v_fma_f64 v[20:21], -v[40:41], v[22:23], v[46:47]
	v_fma_f64 v[32:33], -v[13:14], v[22:23], v[17:18]
	v_fma_f64 v[30:31], v[11:12], v[22:23], v[28:29]
	v_fma_f64 v[14:15], -v[44:45], v[22:23], v[50:51]
	v_fma_f64 v[12:13], v[42:43], v[22:23], v[52:53]
	v_fma_f64 v[22:23], v[38:39], v[22:23], v[48:49]
	s_andn2_b64 exec, exec, s[0:1]
	s_cbranch_execnz .LBB126_13
; %bb.14:
	s_or_b64 exec, exec, s[0:1]
.LBB126_15:
	s_or_b64 exec, exec, s[2:3]
.LBB126_16:
	v_mov_b32_dpp v34, v14 row_shr:1 row_mask:0xf bank_mask:0xf
	v_mov_b32_dpp v35, v15 row_shr:1 row_mask:0xf bank_mask:0xf
	;; [unrolled: 1-line block ×4, first 2 shown]
	v_add_f64 v[14:15], v[14:15], v[34:35]
	v_mov_b32_dpp v34, v12 row_shr:1 row_mask:0xf bank_mask:0xf
	v_mov_b32_dpp v35, v13 row_shr:1 row_mask:0xf bank_mask:0xf
	;; [unrolled: 1-line block ×4, first 2 shown]
	v_add_f64 v[18:19], v[24:25], v[16:17]
	v_mov_b32_dpp v16, v32 row_shr:1 row_mask:0xf bank_mask:0xf
	v_mov_b32_dpp v17, v33 row_shr:1 row_mask:0xf bank_mask:0xf
	v_add_f64 v[34:35], v[12:13], v[34:35]
	v_mov_b32_dpp v12, v20 row_shr:1 row_mask:0xf bank_mask:0xf
	v_mov_b32_dpp v13, v21 row_shr:1 row_mask:0xf bank_mask:0xf
	v_add_f64 v[10:11], v[26:27], v[10:11]
	v_add_f64 v[26:27], v[32:33], v[16:17]
	v_mov_b32_dpp v16, v30 row_shr:1 row_mask:0xf bank_mask:0xf
	v_mov_b32_dpp v17, v31 row_shr:1 row_mask:0xf bank_mask:0xf
	v_add_f64 v[20:21], v[20:21], v[12:13]
	v_mov_b32_dpp v12, v22 row_shr:1 row_mask:0xf bank_mask:0xf
	v_mov_b32_dpp v13, v23 row_shr:1 row_mask:0xf bank_mask:0xf
	v_add_f64 v[28:29], v[30:31], v[16:17]
	v_add_f64 v[36:37], v[22:23], v[12:13]
	v_mov_b32_dpp v16, v10 row_shr:2 row_mask:0xf bank_mask:0xf
	v_mov_b32_dpp v17, v11 row_shr:2 row_mask:0xf bank_mask:0xf
	;; [unrolled: 1-line block ×16, first 2 shown]
	v_cmp_eq_u32_e32 vcc, 3, v0
	s_and_b64 exec, exec, vcc
	s_cbranch_execz .LBB126_21
; %bb.17:
	v_cmp_eq_f64_e32 vcc, 0, v[5:6]
	v_cmp_eq_f64_e64 s[0:1], 0, v[7:8]
	v_add_f64 v[16:17], v[10:11], v[16:17]
	v_add_f64 v[24:25], v[18:19], v[24:25]
	;; [unrolled: 1-line block ×8, first 2 shown]
	s_load_dwordx2 s[2:3], s[4:5], 0x48
	s_and_b64 s[0:1], vcc, s[0:1]
	s_and_saveexec_b64 s[4:5], s[0:1]
	s_xor_b64 s[0:1], exec, s[4:5]
	s_cbranch_execz .LBB126_19
; %bb.18:
	v_mul_f64 v[5:6], v[24:25], -v[3:4]
	v_mul_f64 v[7:8], v[1:2], v[24:25]
	v_mul_f64 v[26:27], v[22:23], -v[3:4]
	v_mul_f64 v[22:23], v[1:2], v[22:23]
	;; [unrolled: 2-line block ×4, first 2 shown]
	v_fma_f64 v[5:6], v[1:2], v[16:17], v[5:6]
	v_fma_f64 v[7:8], v[3:4], v[16:17], v[7:8]
	;; [unrolled: 1-line block ×4, first 2 shown]
	v_lshlrev_b32_e32 v24, 2, v9
	v_fma_f64 v[9:10], v[1:2], v[12:13], v[28:29]
	v_fma_f64 v[11:12], v[3:4], v[12:13], v[30:31]
	v_ashrrev_i32_e32 v25, 31, v24
	v_fma_f64 v[0:1], v[1:2], v[14:15], v[32:33]
	v_fma_f64 v[2:3], v[3:4], v[14:15], v[20:21]
	v_lshlrev_b64 v[24:25], 4, v[24:25]
	s_waitcnt lgkmcnt(0)
	v_mov_b32_e32 v34, s3
	v_add_co_u32_e32 v13, vcc, s2, v24
	v_addc_co_u32_e32 v14, vcc, v34, v25, vcc
	global_store_dwordx4 v[13:14], v[5:8], off
	global_store_dwordx4 v[13:14], v[16:19], off offset:16
	global_store_dwordx4 v[13:14], v[9:12], off offset:32
	;; [unrolled: 1-line block ×3, first 2 shown]
                                        ; implicit-def: $vgpr9
                                        ; implicit-def: $vgpr16_vgpr17
                                        ; implicit-def: $vgpr24_vgpr25
                                        ; implicit-def: $vgpr10_vgpr11
                                        ; implicit-def: $vgpr22_vgpr23
                                        ; implicit-def: $vgpr12_vgpr13
                                        ; implicit-def: $vgpr18_vgpr19
                                        ; implicit-def: $vgpr14_vgpr15
                                        ; implicit-def: $vgpr20_vgpr21
                                        ; implicit-def: $vgpr7_vgpr8
                                        ; implicit-def: $vgpr3_vgpr4
.LBB126_19:
	s_andn2_saveexec_b64 s[0:1], s[0:1]
	s_cbranch_execz .LBB126_21
; %bb.20:
	v_lshlrev_b32_e32 v26, 2, v9
	v_ashrrev_i32_e32 v27, 31, v26
	v_lshlrev_b64 v[26:27], 4, v[26:27]
	s_waitcnt lgkmcnt(0)
	v_mov_b32_e32 v0, s3
	v_add_co_u32_e32 v42, vcc, s2, v26
	v_addc_co_u32_e32 v43, vcc, v0, v27, vcc
	global_load_dwordx4 v[26:29], v[42:43], off
	global_load_dwordx4 v[30:33], v[42:43], off offset:16
	global_load_dwordx4 v[34:37], v[42:43], off offset:32
	;; [unrolled: 1-line block ×3, first 2 shown]
	v_mul_f64 v[44:45], v[24:25], -v[3:4]
	v_mul_f64 v[24:25], v[1:2], v[24:25]
	v_mul_f64 v[46:47], v[22:23], -v[3:4]
	v_mul_f64 v[22:23], v[1:2], v[22:23]
	;; [unrolled: 2-line block ×4, first 2 shown]
	v_fma_f64 v[44:45], v[1:2], v[16:17], v[44:45]
	v_fma_f64 v[16:17], v[3:4], v[16:17], v[24:25]
	;; [unrolled: 1-line block ×8, first 2 shown]
	s_waitcnt vmcnt(3)
	v_fma_f64 v[13:14], v[5:6], v[26:27], v[44:45]
	v_fma_f64 v[15:16], v[7:8], v[26:27], v[16:17]
	s_waitcnt vmcnt(2)
	v_fma_f64 v[17:18], v[5:6], v[30:31], v[24:25]
	v_fma_f64 v[19:20], v[7:8], v[30:31], v[9:10]
	;; [unrolled: 3-line block ×4, first 2 shown]
	v_fma_f64 v[0:1], -v[7:8], v[28:29], v[13:14]
	v_fma_f64 v[2:3], v[5:6], v[28:29], v[15:16]
	v_fma_f64 v[9:10], -v[7:8], v[32:33], v[17:18]
	v_fma_f64 v[11:12], v[5:6], v[32:33], v[19:20]
	v_fma_f64 v[13:14], -v[7:8], v[36:37], v[21:22]
	v_fma_f64 v[15:16], v[5:6], v[36:37], v[23:24]
	v_fma_f64 v[17:18], -v[7:8], v[40:41], v[25:26]
	v_fma_f64 v[19:20], v[5:6], v[40:41], v[30:31]
	global_store_dwordx4 v[42:43], v[0:3], off
	global_store_dwordx4 v[42:43], v[9:12], off offset:16
	global_store_dwordx4 v[42:43], v[13:16], off offset:32
	;; [unrolled: 1-line block ×3, first 2 shown]
.LBB126_21:
	s_endpgm
	.section	.rodata,"a",@progbits
	.p2align	6, 0x0
	.amdhsa_kernel _ZN9rocsparseL19gebsrmvn_4xn_kernelILj128ELj5ELj4E21rocsparse_complex_numIdEEEvi20rocsparse_direction_NS_24const_host_device_scalarIT2_EEPKiS8_PKS5_SA_S6_PS5_21rocsparse_index_base_b
		.amdhsa_group_segment_fixed_size 0
		.amdhsa_private_segment_fixed_size 0
		.amdhsa_kernarg_size 88
		.amdhsa_user_sgpr_count 6
		.amdhsa_user_sgpr_private_segment_buffer 1
		.amdhsa_user_sgpr_dispatch_ptr 0
		.amdhsa_user_sgpr_queue_ptr 0
		.amdhsa_user_sgpr_kernarg_segment_ptr 1
		.amdhsa_user_sgpr_dispatch_id 0
		.amdhsa_user_sgpr_flat_scratch_init 0
		.amdhsa_user_sgpr_private_segment_size 0
		.amdhsa_uses_dynamic_stack 0
		.amdhsa_system_sgpr_private_segment_wavefront_offset 0
		.amdhsa_system_sgpr_workgroup_id_x 1
		.amdhsa_system_sgpr_workgroup_id_y 0
		.amdhsa_system_sgpr_workgroup_id_z 0
		.amdhsa_system_sgpr_workgroup_info 0
		.amdhsa_system_vgpr_workitem_id 0
		.amdhsa_next_free_vgpr 58
		.amdhsa_next_free_sgpr 18
		.amdhsa_reserve_vcc 1
		.amdhsa_reserve_flat_scratch 0
		.amdhsa_float_round_mode_32 0
		.amdhsa_float_round_mode_16_64 0
		.amdhsa_float_denorm_mode_32 3
		.amdhsa_float_denorm_mode_16_64 3
		.amdhsa_dx10_clamp 1
		.amdhsa_ieee_mode 1
		.amdhsa_fp16_overflow 0
		.amdhsa_exception_fp_ieee_invalid_op 0
		.amdhsa_exception_fp_denorm_src 0
		.amdhsa_exception_fp_ieee_div_zero 0
		.amdhsa_exception_fp_ieee_overflow 0
		.amdhsa_exception_fp_ieee_underflow 0
		.amdhsa_exception_fp_ieee_inexact 0
		.amdhsa_exception_int_div_zero 0
	.end_amdhsa_kernel
	.section	.text._ZN9rocsparseL19gebsrmvn_4xn_kernelILj128ELj5ELj4E21rocsparse_complex_numIdEEEvi20rocsparse_direction_NS_24const_host_device_scalarIT2_EEPKiS8_PKS5_SA_S6_PS5_21rocsparse_index_base_b,"axG",@progbits,_ZN9rocsparseL19gebsrmvn_4xn_kernelILj128ELj5ELj4E21rocsparse_complex_numIdEEEvi20rocsparse_direction_NS_24const_host_device_scalarIT2_EEPKiS8_PKS5_SA_S6_PS5_21rocsparse_index_base_b,comdat
.Lfunc_end126:
	.size	_ZN9rocsparseL19gebsrmvn_4xn_kernelILj128ELj5ELj4E21rocsparse_complex_numIdEEEvi20rocsparse_direction_NS_24const_host_device_scalarIT2_EEPKiS8_PKS5_SA_S6_PS5_21rocsparse_index_base_b, .Lfunc_end126-_ZN9rocsparseL19gebsrmvn_4xn_kernelILj128ELj5ELj4E21rocsparse_complex_numIdEEEvi20rocsparse_direction_NS_24const_host_device_scalarIT2_EEPKiS8_PKS5_SA_S6_PS5_21rocsparse_index_base_b
                                        ; -- End function
	.set _ZN9rocsparseL19gebsrmvn_4xn_kernelILj128ELj5ELj4E21rocsparse_complex_numIdEEEvi20rocsparse_direction_NS_24const_host_device_scalarIT2_EEPKiS8_PKS5_SA_S6_PS5_21rocsparse_index_base_b.num_vgpr, 58
	.set _ZN9rocsparseL19gebsrmvn_4xn_kernelILj128ELj5ELj4E21rocsparse_complex_numIdEEEvi20rocsparse_direction_NS_24const_host_device_scalarIT2_EEPKiS8_PKS5_SA_S6_PS5_21rocsparse_index_base_b.num_agpr, 0
	.set _ZN9rocsparseL19gebsrmvn_4xn_kernelILj128ELj5ELj4E21rocsparse_complex_numIdEEEvi20rocsparse_direction_NS_24const_host_device_scalarIT2_EEPKiS8_PKS5_SA_S6_PS5_21rocsparse_index_base_b.numbered_sgpr, 18
	.set _ZN9rocsparseL19gebsrmvn_4xn_kernelILj128ELj5ELj4E21rocsparse_complex_numIdEEEvi20rocsparse_direction_NS_24const_host_device_scalarIT2_EEPKiS8_PKS5_SA_S6_PS5_21rocsparse_index_base_b.num_named_barrier, 0
	.set _ZN9rocsparseL19gebsrmvn_4xn_kernelILj128ELj5ELj4E21rocsparse_complex_numIdEEEvi20rocsparse_direction_NS_24const_host_device_scalarIT2_EEPKiS8_PKS5_SA_S6_PS5_21rocsparse_index_base_b.private_seg_size, 0
	.set _ZN9rocsparseL19gebsrmvn_4xn_kernelILj128ELj5ELj4E21rocsparse_complex_numIdEEEvi20rocsparse_direction_NS_24const_host_device_scalarIT2_EEPKiS8_PKS5_SA_S6_PS5_21rocsparse_index_base_b.uses_vcc, 1
	.set _ZN9rocsparseL19gebsrmvn_4xn_kernelILj128ELj5ELj4E21rocsparse_complex_numIdEEEvi20rocsparse_direction_NS_24const_host_device_scalarIT2_EEPKiS8_PKS5_SA_S6_PS5_21rocsparse_index_base_b.uses_flat_scratch, 0
	.set _ZN9rocsparseL19gebsrmvn_4xn_kernelILj128ELj5ELj4E21rocsparse_complex_numIdEEEvi20rocsparse_direction_NS_24const_host_device_scalarIT2_EEPKiS8_PKS5_SA_S6_PS5_21rocsparse_index_base_b.has_dyn_sized_stack, 0
	.set _ZN9rocsparseL19gebsrmvn_4xn_kernelILj128ELj5ELj4E21rocsparse_complex_numIdEEEvi20rocsparse_direction_NS_24const_host_device_scalarIT2_EEPKiS8_PKS5_SA_S6_PS5_21rocsparse_index_base_b.has_recursion, 0
	.set _ZN9rocsparseL19gebsrmvn_4xn_kernelILj128ELj5ELj4E21rocsparse_complex_numIdEEEvi20rocsparse_direction_NS_24const_host_device_scalarIT2_EEPKiS8_PKS5_SA_S6_PS5_21rocsparse_index_base_b.has_indirect_call, 0
	.section	.AMDGPU.csdata,"",@progbits
; Kernel info:
; codeLenInByte = 4272
; TotalNumSgprs: 22
; NumVgprs: 58
; ScratchSize: 0
; MemoryBound: 0
; FloatMode: 240
; IeeeMode: 1
; LDSByteSize: 0 bytes/workgroup (compile time only)
; SGPRBlocks: 2
; VGPRBlocks: 14
; NumSGPRsForWavesPerEU: 22
; NumVGPRsForWavesPerEU: 58
; Occupancy: 4
; WaveLimiterHint : 1
; COMPUTE_PGM_RSRC2:SCRATCH_EN: 0
; COMPUTE_PGM_RSRC2:USER_SGPR: 6
; COMPUTE_PGM_RSRC2:TRAP_HANDLER: 0
; COMPUTE_PGM_RSRC2:TGID_X_EN: 1
; COMPUTE_PGM_RSRC2:TGID_Y_EN: 0
; COMPUTE_PGM_RSRC2:TGID_Z_EN: 0
; COMPUTE_PGM_RSRC2:TIDIG_COMP_CNT: 0
	.section	.text._ZN9rocsparseL19gebsrmvn_4xn_kernelILj128ELj5ELj8E21rocsparse_complex_numIdEEEvi20rocsparse_direction_NS_24const_host_device_scalarIT2_EEPKiS8_PKS5_SA_S6_PS5_21rocsparse_index_base_b,"axG",@progbits,_ZN9rocsparseL19gebsrmvn_4xn_kernelILj128ELj5ELj8E21rocsparse_complex_numIdEEEvi20rocsparse_direction_NS_24const_host_device_scalarIT2_EEPKiS8_PKS5_SA_S6_PS5_21rocsparse_index_base_b,comdat
	.globl	_ZN9rocsparseL19gebsrmvn_4xn_kernelILj128ELj5ELj8E21rocsparse_complex_numIdEEEvi20rocsparse_direction_NS_24const_host_device_scalarIT2_EEPKiS8_PKS5_SA_S6_PS5_21rocsparse_index_base_b ; -- Begin function _ZN9rocsparseL19gebsrmvn_4xn_kernelILj128ELj5ELj8E21rocsparse_complex_numIdEEEvi20rocsparse_direction_NS_24const_host_device_scalarIT2_EEPKiS8_PKS5_SA_S6_PS5_21rocsparse_index_base_b
	.p2align	8
	.type	_ZN9rocsparseL19gebsrmvn_4xn_kernelILj128ELj5ELj8E21rocsparse_complex_numIdEEEvi20rocsparse_direction_NS_24const_host_device_scalarIT2_EEPKiS8_PKS5_SA_S6_PS5_21rocsparse_index_base_b,@function
_ZN9rocsparseL19gebsrmvn_4xn_kernelILj128ELj5ELj8E21rocsparse_complex_numIdEEEvi20rocsparse_direction_NS_24const_host_device_scalarIT2_EEPKiS8_PKS5_SA_S6_PS5_21rocsparse_index_base_b: ; @_ZN9rocsparseL19gebsrmvn_4xn_kernelILj128ELj5ELj8E21rocsparse_complex_numIdEEEvi20rocsparse_direction_NS_24const_host_device_scalarIT2_EEPKiS8_PKS5_SA_S6_PS5_21rocsparse_index_base_b
; %bb.0:
	s_load_dwordx2 s[0:1], s[4:5], 0x8
	s_load_dwordx2 s[2:3], s[4:5], 0x38
	;; [unrolled: 1-line block ×3, first 2 shown]
	s_add_u32 s7, s4, 8
	s_addc_u32 s8, s5, 0
	s_add_u32 s9, s4, 56
	s_addc_u32 s10, s5, 0
	s_waitcnt lgkmcnt(0)
	s_bitcmp1_b32 s17, 0
	s_cselect_b32 s1, s8, s1
	s_cselect_b32 s0, s7, s0
	v_mov_b32_e32 v1, s0
	v_mov_b32_e32 v2, s1
	flat_load_dwordx4 v[1:4], v[1:2]
	s_cselect_b32 s0, s10, s3
	s_cselect_b32 s1, s9, s2
	v_mov_b32_e32 v5, s1
	v_mov_b32_e32 v6, s0
	flat_load_dwordx4 v[5:8], v[5:6]
	s_waitcnt vmcnt(0) lgkmcnt(0)
	v_cmp_eq_f64_e32 vcc, 0, v[1:2]
	v_cmp_eq_f64_e64 s[0:1], 0, v[3:4]
	s_and_b64 s[8:9], vcc, s[0:1]
	s_mov_b64 s[0:1], -1
	s_and_saveexec_b64 s[2:3], s[8:9]
	s_cbranch_execz .LBB127_2
; %bb.1:
	v_cmp_neq_f64_e32 vcc, 1.0, v[5:6]
	v_cmp_neq_f64_e64 s[0:1], 0, v[7:8]
	s_or_b64 s[0:1], vcc, s[0:1]
	s_orn2_b64 s[0:1], s[0:1], exec
.LBB127_2:
	s_or_b64 exec, exec, s[2:3]
	s_and_saveexec_b64 s[2:3], s[0:1]
	s_cbranch_execz .LBB127_21
; %bb.3:
	s_load_dwordx2 s[0:1], s[4:5], 0x0
	v_lshrrev_b32_e32 v9, 3, v0
	v_lshl_or_b32 v9, s6, 4, v9
	s_waitcnt lgkmcnt(0)
	v_cmp_gt_i32_e32 vcc, s0, v9
	s_and_b64 exec, exec, vcc
	s_cbranch_execz .LBB127_21
; %bb.4:
	s_load_dwordx8 s[8:15], s[4:5], 0x18
	v_ashrrev_i32_e32 v10, 31, v9
	v_lshlrev_b64 v[10:11], 2, v[9:10]
	v_and_b32_e32 v0, 7, v0
	s_cmp_lg_u32 s1, 0
	s_waitcnt lgkmcnt(0)
	v_mov_b32_e32 v12, s9
	v_add_co_u32_e32 v10, vcc, s8, v10
	v_addc_co_u32_e32 v11, vcc, v12, v11, vcc
	global_load_dwordx2 v[10:11], v[10:11], off
	s_waitcnt vmcnt(0)
	v_subrev_u32_e32 v10, s16, v10
	v_subrev_u32_e32 v36, s16, v11
	v_add_u32_e32 v10, v10, v0
	v_cmp_lt_i32_e64 s[0:1], v10, v36
	s_cbranch_scc0 .LBB127_10
; %bb.5:
	v_mov_b32_e32 v24, 0
	v_mov_b32_e32 v26, 0
	v_mov_b32_e32 v20, 0
	v_mov_b32_e32 v22, 0
	v_mov_b32_e32 v14, 0
	v_mov_b32_e32 v12, 0
	v_mov_b32_e32 v32, 0
	v_mov_b32_e32 v30, 0
	v_mov_b32_e32 v25, 0
	v_mov_b32_e32 v27, 0
	v_mov_b32_e32 v21, 0
	v_mov_b32_e32 v23, 0
	v_mov_b32_e32 v15, 0
	v_mov_b32_e32 v13, 0
	v_mov_b32_e32 v33, 0
	v_mov_b32_e32 v31, 0
	s_and_saveexec_b64 s[6:7], s[0:1]
	s_cbranch_execz .LBB127_9
; %bb.6:
	v_mad_u64_u32 v[11:12], s[2:3], v10, 20, 16
	v_mov_b32_e32 v24, 0
	v_mov_b32_e32 v26, 0
	;; [unrolled: 1-line block ×9, first 2 shown]
	s_mov_b64 s[8:9], 0
	v_mov_b32_e32 v37, s11
	v_mov_b32_e32 v17, 0
	;; [unrolled: 1-line block ×12, first 2 shown]
.LBB127_7:                              ; =>This Inner Loop Header: Depth=1
	v_ashrrev_i32_e32 v19, 31, v18
	v_lshlrev_b64 v[28:29], 2, v[18:19]
	v_add_u32_e32 v16, -16, v11
	v_add_co_u32_e32 v28, vcc, s10, v28
	v_addc_co_u32_e32 v29, vcc, v37, v29, vcc
	v_lshlrev_b64 v[40:41], 4, v[16:17]
	global_load_dword v16, v[28:29], off
	v_mov_b32_e32 v35, v17
	v_add_co_u32_e64 v48, s[2:3], s12, v40
	v_addc_co_u32_e64 v49, vcc, v38, v41, s[2:3]
	v_add_u32_e32 v18, 8, v18
	s_waitcnt vmcnt(0)
	v_subrev_u32_e32 v16, s16, v16
	v_lshl_add_u32 v34, v16, 2, v16
	v_lshlrev_b64 v[28:29], 4, v[34:35]
	v_add_u32_e32 v16, -12, v11
	v_add_co_u32_e32 v28, vcc, s14, v28
	v_addc_co_u32_e32 v29, vcc, v39, v29, vcc
	global_load_dwordx4 v[40:43], v[48:49], off
	global_load_dwordx4 v[44:47], v[28:29], off
	s_waitcnt vmcnt(0)
	v_fma_f64 v[26:27], v[40:41], v[44:45], v[26:27]
	v_fma_f64 v[24:25], v[42:43], v[44:45], v[24:25]
	v_fma_f64 v[28:29], -v[42:43], v[46:47], v[26:27]
	v_fma_f64 v[40:41], v[40:41], v[46:47], v[24:25]
	global_load_dwordx4 v[24:27], v[48:49], off offset:16
	s_waitcnt vmcnt(0)
	v_fma_f64 v[32:33], v[24:25], v[44:45], v[32:33]
	v_fma_f64 v[30:31], v[26:27], v[44:45], v[30:31]
	v_fma_f64 v[32:33], -v[26:27], v[46:47], v[32:33]
	v_fma_f64 v[30:31], v[24:25], v[46:47], v[30:31]
	global_load_dwordx4 v[24:27], v[48:49], off offset:32
	;; [unrolled: 6-line block ×3, first 2 shown]
	s_waitcnt vmcnt(0)
	v_fma_f64 v[19:20], v[12:13], v[44:45], v[20:21]
	v_fma_f64 v[21:22], v[14:15], v[44:45], v[22:23]
	v_fma_f64 v[42:43], -v[14:15], v[46:47], v[19:20]
	v_fma_f64 v[44:45], v[12:13], v[46:47], v[21:22]
	v_lshlrev_b64 v[12:13], 4, v[16:17]
	v_add_u32_e32 v16, 1, v34
	v_add_co_u32_e32 v46, vcc, s12, v12
	v_addc_co_u32_e32 v47, vcc, v38, v13, vcc
	v_lshlrev_b64 v[12:13], 4, v[16:17]
	v_add_u32_e32 v16, -8, v11
	v_add_co_u32_e32 v48, vcc, s14, v12
	v_addc_co_u32_e32 v49, vcc, v39, v13, vcc
	global_load_dwordx4 v[12:15], v[46:47], off
	global_load_dwordx4 v[19:22], v[48:49], off
	s_waitcnt vmcnt(0)
	v_fma_f64 v[28:29], v[12:13], v[19:20], v[28:29]
	v_fma_f64 v[40:41], v[14:15], v[19:20], v[40:41]
	v_fma_f64 v[28:29], -v[14:15], v[21:22], v[28:29]
	v_fma_f64 v[40:41], v[12:13], v[21:22], v[40:41]
	global_load_dwordx4 v[12:15], v[46:47], off offset:16
	s_waitcnt vmcnt(0)
	v_fma_f64 v[32:33], v[12:13], v[19:20], v[32:33]
	v_fma_f64 v[30:31], v[14:15], v[19:20], v[30:31]
	v_fma_f64 v[32:33], -v[14:15], v[21:22], v[32:33]
	v_fma_f64 v[30:31], v[12:13], v[21:22], v[30:31]
	global_load_dwordx4 v[12:15], v[46:47], off offset:32
	;; [unrolled: 6-line block ×3, first 2 shown]
	s_waitcnt vmcnt(0)
	v_fma_f64 v[42:43], v[12:13], v[19:20], v[42:43]
	v_fma_f64 v[19:20], v[14:15], v[19:20], v[44:45]
	v_fma_f64 v[42:43], -v[14:15], v[21:22], v[42:43]
	v_fma_f64 v[44:45], v[12:13], v[21:22], v[19:20]
	v_lshlrev_b64 v[12:13], 4, v[16:17]
	v_add_u32_e32 v16, 2, v34
	v_lshlrev_b64 v[14:15], 4, v[16:17]
	v_add_co_u32_e32 v46, vcc, s12, v12
	v_addc_co_u32_e32 v47, vcc, v38, v13, vcc
	v_add_co_u32_e32 v48, vcc, s14, v14
	v_addc_co_u32_e32 v49, vcc, v39, v15, vcc
	global_load_dwordx4 v[12:15], v[46:47], off
	global_load_dwordx4 v[19:22], v[48:49], off
	v_add_u32_e32 v16, -4, v11
	s_waitcnt vmcnt(0)
	v_fma_f64 v[27:28], v[12:13], v[19:20], v[28:29]
	v_fma_f64 v[40:41], v[14:15], v[19:20], v[40:41]
	v_fma_f64 v[27:28], -v[14:15], v[21:22], v[27:28]
	v_fma_f64 v[40:41], v[12:13], v[21:22], v[40:41]
	global_load_dwordx4 v[12:15], v[46:47], off offset:16
	s_waitcnt vmcnt(0)
	v_fma_f64 v[32:33], v[12:13], v[19:20], v[32:33]
	v_fma_f64 v[29:30], v[14:15], v[19:20], v[30:31]
	v_fma_f64 v[31:32], -v[14:15], v[21:22], v[32:33]
	v_fma_f64 v[29:30], v[12:13], v[21:22], v[29:30]
	global_load_dwordx4 v[12:15], v[46:47], off offset:32
	;; [unrolled: 6-line block ×3, first 2 shown]
	s_waitcnt vmcnt(0)
	v_fma_f64 v[23:24], v[12:13], v[19:20], v[42:43]
	v_fma_f64 v[19:20], v[14:15], v[19:20], v[44:45]
	v_fma_f64 v[42:43], -v[14:15], v[21:22], v[23:24]
	v_fma_f64 v[44:45], v[12:13], v[21:22], v[19:20]
	v_lshlrev_b64 v[12:13], 4, v[16:17]
	v_add_u32_e32 v16, 3, v34
	v_lshlrev_b64 v[14:15], 4, v[16:17]
	v_add_co_u32_e32 v46, vcc, s12, v12
	v_addc_co_u32_e32 v47, vcc, v38, v13, vcc
	v_add_co_u32_e32 v19, vcc, s14, v14
	v_addc_co_u32_e32 v20, vcc, v39, v15, vcc
	global_load_dwordx4 v[12:15], v[46:47], off
	global_load_dwordx4 v[23:26], v[19:20], off
	s_waitcnt vmcnt(0)
	v_fma_f64 v[19:20], v[12:13], v[23:24], v[27:28]
	v_fma_f64 v[21:22], v[14:15], v[23:24], v[40:41]
	v_fma_f64 v[52:53], -v[14:15], v[25:26], v[19:20]
	v_fma_f64 v[54:55], v[12:13], v[25:26], v[21:22]
	global_load_dwordx4 v[12:15], v[46:47], off offset:16
	s_waitcnt vmcnt(0)
	v_fma_f64 v[19:20], v[12:13], v[23:24], v[31:32]
	v_fma_f64 v[27:28], v[14:15], v[23:24], v[29:30]
	global_load_dwordx4 v[30:33], v[46:47], off offset:32
	v_fma_f64 v[21:22], -v[14:15], v[25:26], v[19:20]
	v_fma_f64 v[28:29], v[12:13], v[25:26], v[27:28]
	s_waitcnt vmcnt(0)
	v_fma_f64 v[12:13], v[30:31], v[23:24], v[48:49]
	v_fma_f64 v[15:16], v[32:33], v[23:24], v[50:51]
	v_fma_f64 v[13:14], -v[32:33], v[25:26], v[12:13]
	v_fma_f64 v[19:20], v[30:31], v[25:26], v[15:16]
	global_load_dwordx4 v[30:33], v[46:47], off offset:48
	v_mov_b32_e32 v12, v17
	s_waitcnt vmcnt(0)
	v_fma_f64 v[15:16], v[30:31], v[23:24], v[42:43]
	v_fma_f64 v[23:24], v[32:33], v[23:24], v[44:45]
	v_fma_f64 v[48:49], -v[32:33], v[25:26], v[15:16]
	v_lshlrev_b64 v[15:16], 4, v[11:12]
	v_fma_f64 v[50:51], v[30:31], v[25:26], v[23:24]
	v_add_co_u32_e32 v56, vcc, s12, v15
	v_addc_co_u32_e32 v57, vcc, v38, v16, vcc
	v_add_u32_e32 v16, 4, v34
	v_lshlrev_b64 v[15:16], 4, v[16:17]
	global_load_dwordx4 v[23:26], v[56:57], off
	global_load_dwordx4 v[44:47], v[56:57], off offset:32
	v_add_co_u32_e32 v15, vcc, s14, v15
	v_addc_co_u32_e32 v16, vcc, v39, v16, vcc
	global_load_dwordx4 v[40:43], v[15:16], off
	v_cmp_ge_i32_e32 vcc, v18, v36
	s_or_b64 s[8:9], vcc, s[8:9]
	v_add_u32_e32 v11, 0xa0, v11
	s_waitcnt vmcnt(0)
	v_fma_f64 v[15:16], v[23:24], v[40:41], v[52:53]
	v_fma_f64 v[30:31], v[25:26], v[40:41], v[54:55]
	;; [unrolled: 1-line block ×4, first 2 shown]
	v_fma_f64 v[26:27], -v[25:26], v[42:43], v[15:16]
	v_fma_f64 v[24:25], v[23:24], v[42:43], v[30:31]
	global_load_dwordx4 v[30:33], v[56:57], off offset:16
	s_waitcnt vmcnt(0)
	v_fma_f64 v[15:16], v[30:31], v[40:41], v[21:22]
	v_fma_f64 v[21:22], v[32:33], v[40:41], v[28:29]
	v_fma_f64 v[32:33], -v[32:33], v[42:43], v[15:16]
	v_fma_f64 v[14:15], -v[46:47], v[42:43], v[12:13]
	v_fma_f64 v[12:13], v[44:45], v[42:43], v[19:20]
	global_load_dwordx4 v[44:47], v[56:57], off offset:48
	v_fma_f64 v[30:31], v[30:31], v[42:43], v[21:22]
	s_waitcnt vmcnt(0)
	v_fma_f64 v[19:20], v[44:45], v[40:41], v[48:49]
	v_fma_f64 v[22:23], v[46:47], v[40:41], v[50:51]
	v_fma_f64 v[20:21], -v[46:47], v[42:43], v[19:20]
	v_fma_f64 v[22:23], v[44:45], v[42:43], v[22:23]
	s_andn2_b64 exec, exec, s[8:9]
	s_cbranch_execnz .LBB127_7
; %bb.8:
	s_or_b64 exec, exec, s[8:9]
.LBB127_9:
	s_or_b64 exec, exec, s[6:7]
	s_cbranch_execz .LBB127_11
	s_branch .LBB127_16
.LBB127_10:
                                        ; implicit-def: $vgpr24_vgpr25
                                        ; implicit-def: $vgpr26_vgpr27
                                        ; implicit-def: $vgpr20_vgpr21
                                        ; implicit-def: $vgpr22_vgpr23
                                        ; implicit-def: $vgpr14_vgpr15
                                        ; implicit-def: $vgpr12_vgpr13
                                        ; implicit-def: $vgpr32_vgpr33
                                        ; implicit-def: $vgpr30_vgpr31
.LBB127_11:
	v_mov_b32_e32 v24, 0
	v_mov_b32_e32 v26, 0
	;; [unrolled: 1-line block ×16, first 2 shown]
	s_and_saveexec_b64 s[2:3], s[0:1]
	s_cbranch_execz .LBB127_15
; %bb.12:
	v_mad_u64_u32 v[16:17], s[0:1], v10, 20, 19
	v_mov_b32_e32 v24, 0
	v_mov_b32_e32 v26, 0
	;; [unrolled: 1-line block ×9, first 2 shown]
	s_mov_b64 s[0:1], 0
	v_mov_b32_e32 v34, s11
	v_mov_b32_e32 v19, 0
	;; [unrolled: 1-line block ×11, first 2 shown]
.LBB127_13:                             ; =>This Inner Loop Header: Depth=1
	v_ashrrev_i32_e32 v11, 31, v10
	v_lshlrev_b64 v[38:39], 2, v[10:11]
	v_subrev_u32_e32 v18, 19, v16
	v_lshlrev_b64 v[17:18], 4, v[18:19]
	v_add_co_u32_e32 v46, vcc, s10, v38
	v_addc_co_u32_e32 v47, vcc, v34, v39, vcc
	v_add_co_u32_e32 v52, vcc, s12, v17
	v_addc_co_u32_e32 v53, vcc, v35, v18, vcc
	global_load_dword v11, v[46:47], off
	global_load_dwordx4 v[38:41], v[52:53], off
	global_load_dwordx4 v[42:45], v[52:53], off offset:16
	v_mov_b32_e32 v29, v19
	v_add_u32_e32 v50, -14, v16
	v_mov_b32_e32 v51, v19
	v_add_u32_e32 v10, 8, v10
	s_waitcnt vmcnt(2)
	v_subrev_u32_e32 v11, s16, v11
	v_lshl_add_u32 v28, v11, 2, v11
	v_lshlrev_b64 v[17:18], 4, v[28:29]
	v_add_co_u32_e32 v17, vcc, s14, v17
	v_addc_co_u32_e32 v18, vcc, v37, v18, vcc
	global_load_dwordx4 v[46:49], v[17:18], off
	s_waitcnt vmcnt(0)
	v_fma_f64 v[24:25], v[40:41], v[46:47], v[24:25]
	v_fma_f64 v[17:18], v[38:39], v[46:47], v[26:27]
	;; [unrolled: 1-line block ×3, first 2 shown]
	v_lshlrev_b64 v[24:25], 4, v[50:51]
	v_fma_f64 v[54:55], -v[40:41], v[48:49], v[17:18]
	v_add_u32_e32 v17, -9, v16
	v_mov_b32_e32 v18, v19
	v_lshlrev_b64 v[17:18], 4, v[17:18]
	v_add_co_u32_e32 v50, vcc, s12, v24
	v_addc_co_u32_e32 v51, vcc, v35, v25, vcc
	v_add_co_u32_e32 v17, vcc, s12, v17
	v_addc_co_u32_e32 v18, vcc, v35, v18, vcc
	global_load_dwordx4 v[24:27], v[50:51], off
	global_load_dwordx4 v[38:41], v[17:18], off
	s_waitcnt vmcnt(1)
	v_fma_f64 v[17:18], v[24:25], v[46:47], v[32:33]
	v_fma_f64 v[29:30], v[26:27], v[46:47], v[30:31]
	s_waitcnt vmcnt(0)
	v_fma_f64 v[14:15], v[38:39], v[46:47], v[14:15]
	v_fma_f64 v[11:12], v[40:41], v[46:47], v[12:13]
	v_fma_f64 v[31:32], -v[26:27], v[48:49], v[17:18]
	v_add_u32_e32 v17, -4, v16
	v_mov_b32_e32 v18, v19
	v_lshlrev_b64 v[17:18], 4, v[17:18]
	v_fma_f64 v[29:30], v[24:25], v[48:49], v[29:30]
	v_add_co_u32_e32 v24, vcc, s12, v17
	v_addc_co_u32_e32 v25, vcc, v35, v18, vcc
	v_fma_f64 v[40:41], -v[40:41], v[48:49], v[14:15]
	v_fma_f64 v[38:39], v[38:39], v[48:49], v[11:12]
	global_load_dwordx4 v[11:14], v[24:25], off
	v_add_u32_e32 v18, 1, v28
	v_lshlrev_b64 v[24:25], 4, v[18:19]
	v_add_u32_e32 v18, -13, v16
	v_mov_b32_e32 v17, v19
	s_waitcnt vmcnt(0)
	v_fma_f64 v[20:21], v[11:12], v[46:47], v[20:21]
	v_fma_f64 v[22:23], v[13:14], v[46:47], v[22:23]
	v_fma_f64 v[46:47], -v[13:14], v[48:49], v[20:21]
	v_fma_f64 v[48:49], v[11:12], v[48:49], v[22:23]
	v_add_co_u32_e32 v11, vcc, s14, v24
	v_addc_co_u32_e32 v12, vcc, v37, v25, vcc
	global_load_dwordx4 v[11:14], v[11:12], off
	v_lshlrev_b64 v[20:21], 4, v[18:19]
	v_add_u32_e32 v18, -8, v16
	v_lshlrev_b64 v[22:23], 4, v[18:19]
	v_add_co_u32_e32 v20, vcc, s12, v20
	v_addc_co_u32_e32 v21, vcc, v35, v21, vcc
	v_add_co_u32_e32 v24, vcc, s12, v22
	v_addc_co_u32_e32 v25, vcc, v35, v23, vcc
	global_load_dwordx4 v[20:23], v[20:21], off
	v_add_u32_e32 v18, -3, v16
	s_waitcnt vmcnt(1)
	v_fma_f64 v[26:27], v[42:43], v[11:12], v[54:55]
	v_fma_f64 v[50:51], v[44:45], v[11:12], v[56:57]
	v_fma_f64 v[44:45], -v[44:45], v[13:14], v[26:27]
	global_load_dwordx4 v[24:27], v[24:25], off
	v_fma_f64 v[42:43], v[42:43], v[13:14], v[50:51]
	s_waitcnt vmcnt(1)
	v_fma_f64 v[31:32], v[20:21], v[11:12], v[31:32]
	v_fma_f64 v[29:30], v[22:23], v[11:12], v[29:30]
	v_fma_f64 v[50:51], -v[22:23], v[13:14], v[31:32]
	v_fma_f64 v[54:55], v[20:21], v[13:14], v[29:30]
	global_load_dwordx4 v[20:23], v[52:53], off offset:32
	global_load_dwordx4 v[29:32], v[52:53], off offset:48
	s_waitcnt vmcnt(2)
	v_fma_f64 v[38:39], v[26:27], v[11:12], v[38:39]
	v_fma_f64 v[40:41], v[24:25], v[11:12], v[40:41]
	;; [unrolled: 1-line block ×3, first 2 shown]
	v_lshlrev_b64 v[24:25], 4, v[18:19]
	v_fma_f64 v[52:53], -v[26:27], v[13:14], v[40:41]
	v_add_co_u32_e32 v24, vcc, s12, v24
	v_addc_co_u32_e32 v25, vcc, v35, v25, vcc
	global_load_dwordx4 v[24:27], v[24:25], off
	v_add_u32_e32 v18, 2, v28
	s_waitcnt vmcnt(0)
	v_fma_f64 v[38:39], v[24:25], v[11:12], v[46:47]
	v_fma_f64 v[11:12], v[26:27], v[11:12], v[48:49]
	v_fma_f64 v[46:47], -v[26:27], v[13:14], v[38:39]
	v_fma_f64 v[48:49], v[24:25], v[13:14], v[11:12]
	v_lshlrev_b64 v[11:12], 4, v[18:19]
	v_add_u32_e32 v18, -12, v16
	v_lshlrev_b64 v[13:14], 4, v[18:19]
	v_add_co_u32_e32 v11, vcc, s14, v11
	v_addc_co_u32_e32 v12, vcc, v37, v12, vcc
	v_add_co_u32_e32 v26, vcc, s12, v13
	v_addc_co_u32_e32 v27, vcc, v35, v14, vcc
	global_load_dwordx4 v[11:14], v[11:12], off
	v_add_u32_e32 v18, -7, v16
	v_lshlrev_b64 v[24:25], 4, v[18:19]
	v_lshlrev_b64 v[17:18], 4, v[16:17]
	v_add_co_u32_e32 v24, vcc, s12, v24
	v_addc_co_u32_e32 v25, vcc, v35, v25, vcc
	v_add_co_u32_e32 v17, vcc, s12, v17
	v_addc_co_u32_e32 v18, vcc, v35, v18, vcc
	s_waitcnt vmcnt(0)
	v_fma_f64 v[38:39], v[20:21], v[11:12], v[44:45]
	v_fma_f64 v[40:41], v[22:23], v[11:12], v[42:43]
	v_fma_f64 v[42:43], -v[22:23], v[13:14], v[38:39]
	v_fma_f64 v[44:45], v[20:21], v[13:14], v[40:41]
	global_load_dwordx4 v[20:23], v[26:27], off
	s_waitcnt vmcnt(0)
	v_fma_f64 v[38:39], v[20:21], v[11:12], v[50:51]
	global_load_dwordx4 v[24:27], v[24:25], off
	v_fma_f64 v[40:41], v[22:23], v[11:12], v[54:55]
	v_fma_f64 v[50:51], -v[22:23], v[13:14], v[38:39]
	v_fma_f64 v[54:55], v[20:21], v[13:14], v[40:41]
	global_load_dwordx4 v[38:41], v[17:18], off
	v_add_u32_e32 v18, -2, v16
	s_waitcnt vmcnt(1)
	v_fma_f64 v[20:21], v[24:25], v[11:12], v[52:53]
	v_fma_f64 v[22:23], v[26:27], v[11:12], v[56:57]
	v_fma_f64 v[52:53], -v[26:27], v[13:14], v[20:21]
	v_lshlrev_b64 v[20:21], 4, v[18:19]
	v_fma_f64 v[56:57], v[24:25], v[13:14], v[22:23]
	v_add_co_u32_e32 v20, vcc, s12, v20
	v_addc_co_u32_e32 v21, vcc, v35, v21, vcc
	global_load_dwordx4 v[20:23], v[20:21], off
	v_add_u32_e32 v18, 3, v28
	s_waitcnt vmcnt(0)
	v_fma_f64 v[24:25], v[20:21], v[11:12], v[46:47]
	v_fma_f64 v[11:12], v[22:23], v[11:12], v[48:49]
	v_fma_f64 v[46:47], -v[22:23], v[13:14], v[24:25]
	v_fma_f64 v[48:49], v[20:21], v[13:14], v[11:12]
	v_lshlrev_b64 v[11:12], 4, v[18:19]
	v_add_u32_e32 v18, -11, v16
	v_lshlrev_b64 v[13:14], 4, v[18:19]
	v_add_co_u32_e32 v11, vcc, s14, v11
	v_addc_co_u32_e32 v12, vcc, v37, v12, vcc
	v_add_co_u32_e32 v20, vcc, s12, v13
	v_addc_co_u32_e32 v21, vcc, v35, v14, vcc
	global_load_dwordx4 v[11:14], v[11:12], off
	v_add_u32_e32 v18, -6, v16
	v_lshlrev_b64 v[24:25], 4, v[18:19]
	v_add_u32_e32 v18, -1, v16
	v_add_co_u32_e32 v24, vcc, s12, v24
	v_addc_co_u32_e32 v25, vcc, v35, v25, vcc
	s_waitcnt vmcnt(0)
	v_fma_f64 v[22:23], v[29:30], v[11:12], v[42:43]
	v_fma_f64 v[26:27], v[31:32], v[11:12], v[44:45]
	v_fma_f64 v[31:32], -v[31:32], v[13:14], v[22:23]
	global_load_dwordx4 v[20:23], v[20:21], off
	v_fma_f64 v[29:30], v[29:30], v[13:14], v[26:27]
	global_load_dwordx4 v[24:27], v[24:25], off
	s_waitcnt vmcnt(1)
	v_fma_f64 v[42:43], v[20:21], v[11:12], v[50:51]
	v_fma_f64 v[44:45], v[22:23], v[11:12], v[54:55]
	v_fma_f64 v[50:51], -v[22:23], v[13:14], v[42:43]
	s_waitcnt vmcnt(0)
	v_fma_f64 v[22:23], v[24:25], v[11:12], v[52:53]
	v_fma_f64 v[54:55], v[20:21], v[13:14], v[44:45]
	v_lshlrev_b64 v[20:21], 4, v[18:19]
	v_fma_f64 v[52:53], v[26:27], v[11:12], v[56:57]
	v_add_co_u32_e32 v20, vcc, s12, v20
	v_addc_co_u32_e32 v21, vcc, v35, v21, vcc
	v_fma_f64 v[56:57], -v[26:27], v[13:14], v[22:23]
	global_load_dwordx4 v[20:23], v[20:21], off
	v_add_u32_e32 v18, -15, v16
	v_lshlrev_b64 v[42:43], 4, v[18:19]
	v_fma_f64 v[52:53], v[24:25], v[13:14], v[52:53]
	v_add_co_u32_e32 v24, vcc, s12, v42
	v_addc_co_u32_e32 v25, vcc, v35, v43, vcc
	global_load_dwordx4 v[24:27], v[24:25], off
	v_add_u32_e32 v18, 4, v28
	v_lshlrev_b64 v[44:45], 4, v[18:19]
	v_add_u32_e32 v18, -10, v16
	s_waitcnt vmcnt(1)
	v_fma_f64 v[42:43], v[20:21], v[11:12], v[46:47]
	v_fma_f64 v[11:12], v[22:23], v[11:12], v[48:49]
	v_fma_f64 v[46:47], -v[22:23], v[13:14], v[42:43]
	v_fma_f64 v[48:49], v[20:21], v[13:14], v[11:12]
	v_add_co_u32_e32 v13, vcc, s14, v44
	v_addc_co_u32_e32 v14, vcc, v37, v45, vcc
	global_load_dwordx4 v[20:23], v[13:14], off
	v_lshlrev_b64 v[11:12], 4, v[18:19]
	v_add_u32_e32 v18, -5, v16
	v_lshlrev_b64 v[17:18], 4, v[18:19]
	v_add_co_u32_e32 v11, vcc, s12, v11
	v_addc_co_u32_e32 v12, vcc, v35, v12, vcc
	v_add_co_u32_e32 v17, vcc, s12, v17
	v_addc_co_u32_e32 v18, vcc, v35, v18, vcc
	global_load_dwordx4 v[11:14], v[11:12], off
	v_cmp_ge_i32_e32 vcc, v10, v36
	global_load_dwordx4 v[42:45], v[17:18], off
	s_or_b64 s[0:1], vcc, s[0:1]
	v_add_u32_e32 v16, 0xa0, v16
	s_waitcnt vmcnt(2)
	v_fma_f64 v[28:29], v[26:27], v[20:21], v[29:30]
	v_fma_f64 v[31:32], v[24:25], v[20:21], v[31:32]
	v_fma_f64 v[46:47], v[38:39], v[20:21], v[46:47]
	v_fma_f64 v[48:49], v[40:41], v[20:21], v[48:49]
	v_fma_f64 v[24:25], v[24:25], v[22:23], v[28:29]
	v_fma_f64 v[26:27], -v[26:27], v[22:23], v[31:32]
	s_waitcnt vmcnt(1)
	v_fma_f64 v[17:18], v[11:12], v[20:21], v[50:51]
	v_fma_f64 v[28:29], v[13:14], v[20:21], v[54:55]
	s_waitcnt vmcnt(0)
	v_fma_f64 v[50:51], v[42:43], v[20:21], v[56:57]
	v_fma_f64 v[52:53], v[44:45], v[20:21], v[52:53]
	v_fma_f64 v[20:21], -v[40:41], v[22:23], v[46:47]
	v_fma_f64 v[32:33], -v[13:14], v[22:23], v[17:18]
	v_fma_f64 v[30:31], v[11:12], v[22:23], v[28:29]
	v_fma_f64 v[14:15], -v[44:45], v[22:23], v[50:51]
	v_fma_f64 v[12:13], v[42:43], v[22:23], v[52:53]
	v_fma_f64 v[22:23], v[38:39], v[22:23], v[48:49]
	s_andn2_b64 exec, exec, s[0:1]
	s_cbranch_execnz .LBB127_13
; %bb.14:
	s_or_b64 exec, exec, s[0:1]
.LBB127_15:
	s_or_b64 exec, exec, s[2:3]
.LBB127_16:
	v_mov_b32_dpp v16, v24 row_shr:1 row_mask:0xf bank_mask:0xf
	v_mov_b32_dpp v17, v25 row_shr:1 row_mask:0xf bank_mask:0xf
	;; [unrolled: 1-line block ×6, first 2 shown]
	v_add_f64 v[16:17], v[24:25], v[16:17]
	v_add_f64 v[10:11], v[26:27], v[10:11]
	;; [unrolled: 1-line block ×3, first 2 shown]
	v_mov_b32_dpp v18, v30 row_shr:1 row_mask:0xf bank_mask:0xf
	v_mov_b32_dpp v19, v31 row_shr:1 row_mask:0xf bank_mask:0xf
	v_add_f64 v[28:29], v[30:31], v[18:19]
	v_mov_b32_dpp v36, v12 row_shr:1 row_mask:0xf bank_mask:0xf
	v_mov_b32_dpp v37, v13 row_shr:1 row_mask:0xf bank_mask:0xf
	;; [unrolled: 1-line block ×4, first 2 shown]
	v_add_f64 v[18:19], v[16:17], v[18:19]
	v_mov_b32_dpp v16, v26 row_shr:2 row_mask:0xf bank_mask:0xf
	v_mov_b32_dpp v17, v27 row_shr:2 row_mask:0xf bank_mask:0xf
	v_add_f64 v[26:27], v[26:27], v[16:17]
	v_mov_b32_dpp v16, v28 row_shr:2 row_mask:0xf bank_mask:0xf
	v_mov_b32_dpp v17, v29 row_shr:2 row_mask:0xf bank_mask:0xf
	;; [unrolled: 3-line block ×3, first 2 shown]
	v_add_f64 v[32:33], v[14:15], v[16:17]
	v_add_f64 v[36:37], v[12:13], v[36:37]
	v_mov_b32_dpp v12, v20 row_shr:1 row_mask:0xf bank_mask:0xf
	v_mov_b32_dpp v13, v21 row_shr:1 row_mask:0xf bank_mask:0xf
	v_add_f64 v[20:21], v[20:21], v[12:13]
	v_mov_b32_dpp v12, v22 row_shr:1 row_mask:0xf bank_mask:0xf
	v_mov_b32_dpp v13, v23 row_shr:1 row_mask:0xf bank_mask:0xf
	v_add_f64 v[22:23], v[22:23], v[12:13]
	v_mov_b32_dpp v34, v32 row_shr:2 row_mask:0xf bank_mask:0xf
	v_mov_b32_dpp v35, v33 row_shr:2 row_mask:0xf bank_mask:0xf
	v_add_f64 v[12:13], v[32:33], v[34:35]
	v_mov_b32_dpp v24, v10 row_shr:2 row_mask:0xf bank_mask:0xf
	v_mov_b32_dpp v34, v20 row_shr:2 row_mask:0xf bank_mask:0xf
	v_mov_b32_dpp v35, v21 row_shr:2 row_mask:0xf bank_mask:0xf
	v_mov_b32_dpp v25, v11 row_shr:2 row_mask:0xf bank_mask:0xf
	;; [unrolled: 1-line block ×4, first 2 shown]
	v_add_f64 v[34:35], v[20:21], v[34:35]
	v_mov_b32_dpp v20, v22 row_shr:2 row_mask:0xf bank_mask:0xf
	v_mov_b32_dpp v21, v23 row_shr:2 row_mask:0xf bank_mask:0xf
	v_add_f64 v[10:11], v[10:11], v[24:25]
	v_add_f64 v[32:33], v[36:37], v[32:33]
	;; [unrolled: 1-line block ×3, first 2 shown]
	v_mov_b32_dpp v24, v18 row_shr:4 row_mask:0xf bank_mask:0xe
	v_mov_b32_dpp v25, v19 row_shr:4 row_mask:0xf bank_mask:0xe
	;; [unrolled: 1-line block ×16, first 2 shown]
	v_cmp_eq_u32_e32 vcc, 7, v0
	s_and_b64 exec, exec, vcc
	s_cbranch_execz .LBB127_21
; %bb.17:
	v_cmp_eq_f64_e32 vcc, 0, v[5:6]
	v_cmp_eq_f64_e64 s[0:1], 0, v[7:8]
	v_add_f64 v[16:17], v[10:11], v[16:17]
	v_add_f64 v[24:25], v[18:19], v[24:25]
	;; [unrolled: 1-line block ×8, first 2 shown]
	s_load_dwordx2 s[2:3], s[4:5], 0x48
	s_and_b64 s[0:1], vcc, s[0:1]
	s_and_saveexec_b64 s[4:5], s[0:1]
	s_xor_b64 s[0:1], exec, s[4:5]
	s_cbranch_execz .LBB127_19
; %bb.18:
	v_mul_f64 v[5:6], v[24:25], -v[3:4]
	v_mul_f64 v[7:8], v[1:2], v[24:25]
	v_mul_f64 v[26:27], v[22:23], -v[3:4]
	v_mul_f64 v[22:23], v[1:2], v[22:23]
	;; [unrolled: 2-line block ×4, first 2 shown]
	v_fma_f64 v[5:6], v[1:2], v[16:17], v[5:6]
	v_fma_f64 v[7:8], v[3:4], v[16:17], v[7:8]
	;; [unrolled: 1-line block ×4, first 2 shown]
	v_lshlrev_b32_e32 v24, 2, v9
	v_fma_f64 v[9:10], v[1:2], v[12:13], v[28:29]
	v_fma_f64 v[11:12], v[3:4], v[12:13], v[30:31]
	v_ashrrev_i32_e32 v25, 31, v24
	v_fma_f64 v[0:1], v[1:2], v[14:15], v[32:33]
	v_fma_f64 v[2:3], v[3:4], v[14:15], v[20:21]
	v_lshlrev_b64 v[24:25], 4, v[24:25]
	s_waitcnt lgkmcnt(0)
	v_mov_b32_e32 v34, s3
	v_add_co_u32_e32 v13, vcc, s2, v24
	v_addc_co_u32_e32 v14, vcc, v34, v25, vcc
	global_store_dwordx4 v[13:14], v[5:8], off
	global_store_dwordx4 v[13:14], v[16:19], off offset:16
	global_store_dwordx4 v[13:14], v[9:12], off offset:32
	global_store_dwordx4 v[13:14], v[0:3], off offset:48
                                        ; implicit-def: $vgpr9
                                        ; implicit-def: $vgpr16_vgpr17
                                        ; implicit-def: $vgpr24_vgpr25
                                        ; implicit-def: $vgpr10_vgpr11
                                        ; implicit-def: $vgpr22_vgpr23
                                        ; implicit-def: $vgpr12_vgpr13
                                        ; implicit-def: $vgpr18_vgpr19
                                        ; implicit-def: $vgpr14_vgpr15
                                        ; implicit-def: $vgpr20_vgpr21
                                        ; implicit-def: $vgpr7_vgpr8
                                        ; implicit-def: $vgpr3_vgpr4
.LBB127_19:
	s_andn2_saveexec_b64 s[0:1], s[0:1]
	s_cbranch_execz .LBB127_21
; %bb.20:
	v_lshlrev_b32_e32 v26, 2, v9
	v_ashrrev_i32_e32 v27, 31, v26
	v_lshlrev_b64 v[26:27], 4, v[26:27]
	s_waitcnt lgkmcnt(0)
	v_mov_b32_e32 v0, s3
	v_add_co_u32_e32 v42, vcc, s2, v26
	v_addc_co_u32_e32 v43, vcc, v0, v27, vcc
	global_load_dwordx4 v[26:29], v[42:43], off
	global_load_dwordx4 v[30:33], v[42:43], off offset:16
	global_load_dwordx4 v[34:37], v[42:43], off offset:32
	;; [unrolled: 1-line block ×3, first 2 shown]
	v_mul_f64 v[44:45], v[24:25], -v[3:4]
	v_mul_f64 v[24:25], v[1:2], v[24:25]
	v_mul_f64 v[46:47], v[22:23], -v[3:4]
	v_mul_f64 v[22:23], v[1:2], v[22:23]
	v_mul_f64 v[48:49], v[18:19], -v[3:4]
	v_mul_f64 v[18:19], v[1:2], v[18:19]
	v_mul_f64 v[50:51], v[20:21], -v[3:4]
	v_mul_f64 v[20:21], v[1:2], v[20:21]
	v_fma_f64 v[44:45], v[1:2], v[16:17], v[44:45]
	v_fma_f64 v[16:17], v[3:4], v[16:17], v[24:25]
	;; [unrolled: 1-line block ×8, first 2 shown]
	s_waitcnt vmcnt(3)
	v_fma_f64 v[13:14], v[5:6], v[26:27], v[44:45]
	v_fma_f64 v[15:16], v[7:8], v[26:27], v[16:17]
	s_waitcnt vmcnt(2)
	v_fma_f64 v[17:18], v[5:6], v[30:31], v[24:25]
	v_fma_f64 v[19:20], v[7:8], v[30:31], v[9:10]
	;; [unrolled: 3-line block ×4, first 2 shown]
	v_fma_f64 v[0:1], -v[7:8], v[28:29], v[13:14]
	v_fma_f64 v[2:3], v[5:6], v[28:29], v[15:16]
	v_fma_f64 v[9:10], -v[7:8], v[32:33], v[17:18]
	v_fma_f64 v[11:12], v[5:6], v[32:33], v[19:20]
	;; [unrolled: 2-line block ×4, first 2 shown]
	global_store_dwordx4 v[42:43], v[0:3], off
	global_store_dwordx4 v[42:43], v[9:12], off offset:16
	global_store_dwordx4 v[42:43], v[13:16], off offset:32
	;; [unrolled: 1-line block ×3, first 2 shown]
.LBB127_21:
	s_endpgm
	.section	.rodata,"a",@progbits
	.p2align	6, 0x0
	.amdhsa_kernel _ZN9rocsparseL19gebsrmvn_4xn_kernelILj128ELj5ELj8E21rocsparse_complex_numIdEEEvi20rocsparse_direction_NS_24const_host_device_scalarIT2_EEPKiS8_PKS5_SA_S6_PS5_21rocsparse_index_base_b
		.amdhsa_group_segment_fixed_size 0
		.amdhsa_private_segment_fixed_size 0
		.amdhsa_kernarg_size 88
		.amdhsa_user_sgpr_count 6
		.amdhsa_user_sgpr_private_segment_buffer 1
		.amdhsa_user_sgpr_dispatch_ptr 0
		.amdhsa_user_sgpr_queue_ptr 0
		.amdhsa_user_sgpr_kernarg_segment_ptr 1
		.amdhsa_user_sgpr_dispatch_id 0
		.amdhsa_user_sgpr_flat_scratch_init 0
		.amdhsa_user_sgpr_private_segment_size 0
		.amdhsa_uses_dynamic_stack 0
		.amdhsa_system_sgpr_private_segment_wavefront_offset 0
		.amdhsa_system_sgpr_workgroup_id_x 1
		.amdhsa_system_sgpr_workgroup_id_y 0
		.amdhsa_system_sgpr_workgroup_id_z 0
		.amdhsa_system_sgpr_workgroup_info 0
		.amdhsa_system_vgpr_workitem_id 0
		.amdhsa_next_free_vgpr 58
		.amdhsa_next_free_sgpr 18
		.amdhsa_reserve_vcc 1
		.amdhsa_reserve_flat_scratch 0
		.amdhsa_float_round_mode_32 0
		.amdhsa_float_round_mode_16_64 0
		.amdhsa_float_denorm_mode_32 3
		.amdhsa_float_denorm_mode_16_64 3
		.amdhsa_dx10_clamp 1
		.amdhsa_ieee_mode 1
		.amdhsa_fp16_overflow 0
		.amdhsa_exception_fp_ieee_invalid_op 0
		.amdhsa_exception_fp_denorm_src 0
		.amdhsa_exception_fp_ieee_div_zero 0
		.amdhsa_exception_fp_ieee_overflow 0
		.amdhsa_exception_fp_ieee_underflow 0
		.amdhsa_exception_fp_ieee_inexact 0
		.amdhsa_exception_int_div_zero 0
	.end_amdhsa_kernel
	.section	.text._ZN9rocsparseL19gebsrmvn_4xn_kernelILj128ELj5ELj8E21rocsparse_complex_numIdEEEvi20rocsparse_direction_NS_24const_host_device_scalarIT2_EEPKiS8_PKS5_SA_S6_PS5_21rocsparse_index_base_b,"axG",@progbits,_ZN9rocsparseL19gebsrmvn_4xn_kernelILj128ELj5ELj8E21rocsparse_complex_numIdEEEvi20rocsparse_direction_NS_24const_host_device_scalarIT2_EEPKiS8_PKS5_SA_S6_PS5_21rocsparse_index_base_b,comdat
.Lfunc_end127:
	.size	_ZN9rocsparseL19gebsrmvn_4xn_kernelILj128ELj5ELj8E21rocsparse_complex_numIdEEEvi20rocsparse_direction_NS_24const_host_device_scalarIT2_EEPKiS8_PKS5_SA_S6_PS5_21rocsparse_index_base_b, .Lfunc_end127-_ZN9rocsparseL19gebsrmvn_4xn_kernelILj128ELj5ELj8E21rocsparse_complex_numIdEEEvi20rocsparse_direction_NS_24const_host_device_scalarIT2_EEPKiS8_PKS5_SA_S6_PS5_21rocsparse_index_base_b
                                        ; -- End function
	.set _ZN9rocsparseL19gebsrmvn_4xn_kernelILj128ELj5ELj8E21rocsparse_complex_numIdEEEvi20rocsparse_direction_NS_24const_host_device_scalarIT2_EEPKiS8_PKS5_SA_S6_PS5_21rocsparse_index_base_b.num_vgpr, 58
	.set _ZN9rocsparseL19gebsrmvn_4xn_kernelILj128ELj5ELj8E21rocsparse_complex_numIdEEEvi20rocsparse_direction_NS_24const_host_device_scalarIT2_EEPKiS8_PKS5_SA_S6_PS5_21rocsparse_index_base_b.num_agpr, 0
	.set _ZN9rocsparseL19gebsrmvn_4xn_kernelILj128ELj5ELj8E21rocsparse_complex_numIdEEEvi20rocsparse_direction_NS_24const_host_device_scalarIT2_EEPKiS8_PKS5_SA_S6_PS5_21rocsparse_index_base_b.numbered_sgpr, 18
	.set _ZN9rocsparseL19gebsrmvn_4xn_kernelILj128ELj5ELj8E21rocsparse_complex_numIdEEEvi20rocsparse_direction_NS_24const_host_device_scalarIT2_EEPKiS8_PKS5_SA_S6_PS5_21rocsparse_index_base_b.num_named_barrier, 0
	.set _ZN9rocsparseL19gebsrmvn_4xn_kernelILj128ELj5ELj8E21rocsparse_complex_numIdEEEvi20rocsparse_direction_NS_24const_host_device_scalarIT2_EEPKiS8_PKS5_SA_S6_PS5_21rocsparse_index_base_b.private_seg_size, 0
	.set _ZN9rocsparseL19gebsrmvn_4xn_kernelILj128ELj5ELj8E21rocsparse_complex_numIdEEEvi20rocsparse_direction_NS_24const_host_device_scalarIT2_EEPKiS8_PKS5_SA_S6_PS5_21rocsparse_index_base_b.uses_vcc, 1
	.set _ZN9rocsparseL19gebsrmvn_4xn_kernelILj128ELj5ELj8E21rocsparse_complex_numIdEEEvi20rocsparse_direction_NS_24const_host_device_scalarIT2_EEPKiS8_PKS5_SA_S6_PS5_21rocsparse_index_base_b.uses_flat_scratch, 0
	.set _ZN9rocsparseL19gebsrmvn_4xn_kernelILj128ELj5ELj8E21rocsparse_complex_numIdEEEvi20rocsparse_direction_NS_24const_host_device_scalarIT2_EEPKiS8_PKS5_SA_S6_PS5_21rocsparse_index_base_b.has_dyn_sized_stack, 0
	.set _ZN9rocsparseL19gebsrmvn_4xn_kernelILj128ELj5ELj8E21rocsparse_complex_numIdEEEvi20rocsparse_direction_NS_24const_host_device_scalarIT2_EEPKiS8_PKS5_SA_S6_PS5_21rocsparse_index_base_b.has_recursion, 0
	.set _ZN9rocsparseL19gebsrmvn_4xn_kernelILj128ELj5ELj8E21rocsparse_complex_numIdEEEvi20rocsparse_direction_NS_24const_host_device_scalarIT2_EEPKiS8_PKS5_SA_S6_PS5_21rocsparse_index_base_b.has_indirect_call, 0
	.section	.AMDGPU.csdata,"",@progbits
; Kernel info:
; codeLenInByte = 4464
; TotalNumSgprs: 22
; NumVgprs: 58
; ScratchSize: 0
; MemoryBound: 0
; FloatMode: 240
; IeeeMode: 1
; LDSByteSize: 0 bytes/workgroup (compile time only)
; SGPRBlocks: 2
; VGPRBlocks: 14
; NumSGPRsForWavesPerEU: 22
; NumVGPRsForWavesPerEU: 58
; Occupancy: 4
; WaveLimiterHint : 1
; COMPUTE_PGM_RSRC2:SCRATCH_EN: 0
; COMPUTE_PGM_RSRC2:USER_SGPR: 6
; COMPUTE_PGM_RSRC2:TRAP_HANDLER: 0
; COMPUTE_PGM_RSRC2:TGID_X_EN: 1
; COMPUTE_PGM_RSRC2:TGID_Y_EN: 0
; COMPUTE_PGM_RSRC2:TGID_Z_EN: 0
; COMPUTE_PGM_RSRC2:TIDIG_COMP_CNT: 0
	.section	.text._ZN9rocsparseL19gebsrmvn_4xn_kernelILj128ELj5ELj16E21rocsparse_complex_numIdEEEvi20rocsparse_direction_NS_24const_host_device_scalarIT2_EEPKiS8_PKS5_SA_S6_PS5_21rocsparse_index_base_b,"axG",@progbits,_ZN9rocsparseL19gebsrmvn_4xn_kernelILj128ELj5ELj16E21rocsparse_complex_numIdEEEvi20rocsparse_direction_NS_24const_host_device_scalarIT2_EEPKiS8_PKS5_SA_S6_PS5_21rocsparse_index_base_b,comdat
	.globl	_ZN9rocsparseL19gebsrmvn_4xn_kernelILj128ELj5ELj16E21rocsparse_complex_numIdEEEvi20rocsparse_direction_NS_24const_host_device_scalarIT2_EEPKiS8_PKS5_SA_S6_PS5_21rocsparse_index_base_b ; -- Begin function _ZN9rocsparseL19gebsrmvn_4xn_kernelILj128ELj5ELj16E21rocsparse_complex_numIdEEEvi20rocsparse_direction_NS_24const_host_device_scalarIT2_EEPKiS8_PKS5_SA_S6_PS5_21rocsparse_index_base_b
	.p2align	8
	.type	_ZN9rocsparseL19gebsrmvn_4xn_kernelILj128ELj5ELj16E21rocsparse_complex_numIdEEEvi20rocsparse_direction_NS_24const_host_device_scalarIT2_EEPKiS8_PKS5_SA_S6_PS5_21rocsparse_index_base_b,@function
_ZN9rocsparseL19gebsrmvn_4xn_kernelILj128ELj5ELj16E21rocsparse_complex_numIdEEEvi20rocsparse_direction_NS_24const_host_device_scalarIT2_EEPKiS8_PKS5_SA_S6_PS5_21rocsparse_index_base_b: ; @_ZN9rocsparseL19gebsrmvn_4xn_kernelILj128ELj5ELj16E21rocsparse_complex_numIdEEEvi20rocsparse_direction_NS_24const_host_device_scalarIT2_EEPKiS8_PKS5_SA_S6_PS5_21rocsparse_index_base_b
; %bb.0:
	s_load_dwordx2 s[0:1], s[4:5], 0x8
	s_load_dwordx2 s[2:3], s[4:5], 0x38
	;; [unrolled: 1-line block ×3, first 2 shown]
	s_add_u32 s7, s4, 8
	s_addc_u32 s8, s5, 0
	s_add_u32 s9, s4, 56
	s_addc_u32 s10, s5, 0
	s_waitcnt lgkmcnt(0)
	s_bitcmp1_b32 s17, 0
	s_cselect_b32 s1, s8, s1
	s_cselect_b32 s0, s7, s0
	v_mov_b32_e32 v1, s0
	v_mov_b32_e32 v2, s1
	flat_load_dwordx4 v[1:4], v[1:2]
	s_cselect_b32 s0, s10, s3
	s_cselect_b32 s1, s9, s2
	v_mov_b32_e32 v5, s1
	v_mov_b32_e32 v6, s0
	flat_load_dwordx4 v[5:8], v[5:6]
	s_waitcnt vmcnt(0) lgkmcnt(0)
	v_cmp_eq_f64_e32 vcc, 0, v[1:2]
	v_cmp_eq_f64_e64 s[0:1], 0, v[3:4]
	s_and_b64 s[8:9], vcc, s[0:1]
	s_mov_b64 s[0:1], -1
	s_and_saveexec_b64 s[2:3], s[8:9]
	s_cbranch_execz .LBB128_2
; %bb.1:
	v_cmp_neq_f64_e32 vcc, 1.0, v[5:6]
	v_cmp_neq_f64_e64 s[0:1], 0, v[7:8]
	s_or_b64 s[0:1], vcc, s[0:1]
	s_orn2_b64 s[0:1], s[0:1], exec
.LBB128_2:
	s_or_b64 exec, exec, s[2:3]
	s_and_saveexec_b64 s[2:3], s[0:1]
	s_cbranch_execz .LBB128_21
; %bb.3:
	s_load_dwordx2 s[0:1], s[4:5], 0x0
	v_lshrrev_b32_e32 v9, 4, v0
	v_lshl_or_b32 v9, s6, 3, v9
	s_waitcnt lgkmcnt(0)
	v_cmp_gt_i32_e32 vcc, s0, v9
	s_and_b64 exec, exec, vcc
	s_cbranch_execz .LBB128_21
; %bb.4:
	s_load_dwordx8 s[8:15], s[4:5], 0x18
	v_ashrrev_i32_e32 v10, 31, v9
	v_lshlrev_b64 v[10:11], 2, v[9:10]
	v_and_b32_e32 v0, 15, v0
	s_cmp_lg_u32 s1, 0
	s_waitcnt lgkmcnt(0)
	v_mov_b32_e32 v12, s9
	v_add_co_u32_e32 v10, vcc, s8, v10
	v_addc_co_u32_e32 v11, vcc, v12, v11, vcc
	global_load_dwordx2 v[10:11], v[10:11], off
	s_waitcnt vmcnt(0)
	v_subrev_u32_e32 v10, s16, v10
	v_subrev_u32_e32 v34, s16, v11
	v_add_u32_e32 v10, v10, v0
	v_cmp_lt_i32_e64 s[0:1], v10, v34
	s_cbranch_scc0 .LBB128_10
; %bb.5:
	v_mov_b32_e32 v24, 0
	v_mov_b32_e32 v26, 0
	;; [unrolled: 1-line block ×16, first 2 shown]
	s_and_saveexec_b64 s[6:7], s[0:1]
	s_cbranch_execz .LBB128_9
; %bb.6:
	v_mad_u64_u32 v[11:12], s[2:3], v10, 20, 16
	v_mov_b32_e32 v24, 0
	v_mov_b32_e32 v26, 0
	;; [unrolled: 1-line block ×9, first 2 shown]
	s_mov_b64 s[8:9], 0
	v_mov_b32_e32 v35, s11
	v_mov_b32_e32 v19, 0
	;; [unrolled: 1-line block ×12, first 2 shown]
.LBB128_7:                              ; =>This Inner Loop Header: Depth=1
	v_ashrrev_i32_e32 v23, 31, v22
	v_lshlrev_b64 v[38:39], 2, v[22:23]
	v_add_u32_e32 v18, -16, v11
	v_add_co_u32_e32 v38, vcc, s10, v38
	v_addc_co_u32_e32 v39, vcc, v35, v39, vcc
	v_lshlrev_b64 v[40:41], 4, v[18:19]
	global_load_dword v18, v[38:39], off
	v_mov_b32_e32 v33, v19
	v_add_co_u32_e64 v46, s[2:3], s12, v40
	v_addc_co_u32_e64 v47, vcc, v36, v41, s[2:3]
	v_add_u32_e32 v22, 16, v22
	s_waitcnt vmcnt(0)
	v_subrev_u32_e32 v18, s16, v18
	v_lshl_add_u32 v32, v18, 2, v18
	v_lshlrev_b64 v[38:39], 4, v[32:33]
	v_add_u32_e32 v18, -12, v11
	v_add_co_u32_e32 v48, vcc, s14, v38
	v_addc_co_u32_e32 v49, vcc, v37, v39, vcc
	global_load_dwordx4 v[38:41], v[46:47], off
	global_load_dwordx4 v[42:45], v[48:49], off
	s_waitcnt vmcnt(0)
	v_fma_f64 v[26:27], v[38:39], v[42:43], v[26:27]
	v_fma_f64 v[23:24], v[40:41], v[42:43], v[24:25]
	v_fma_f64 v[40:41], -v[40:41], v[44:45], v[26:27]
	v_fma_f64 v[38:39], v[38:39], v[44:45], v[23:24]
	global_load_dwordx4 v[23:26], v[46:47], off offset:16
	s_waitcnt vmcnt(0)
	v_fma_f64 v[27:28], v[23:24], v[42:43], v[28:29]
	v_fma_f64 v[29:30], v[25:26], v[42:43], v[30:31]
	v_fma_f64 v[27:28], -v[25:26], v[44:45], v[27:28]
	v_fma_f64 v[29:30], v[23:24], v[44:45], v[29:30]
	global_load_dwordx4 v[23:26], v[46:47], off offset:32
	;; [unrolled: 6-line block ×3, first 2 shown]
	s_waitcnt vmcnt(0)
	v_fma_f64 v[16:17], v[14:15], v[42:43], v[16:17]
	v_fma_f64 v[20:21], v[12:13], v[42:43], v[20:21]
	;; [unrolled: 1-line block ×3, first 2 shown]
	v_lshlrev_b64 v[12:13], 4, v[18:19]
	v_add_u32_e32 v18, 1, v32
	v_add_co_u32_e32 v42, vcc, s12, v12
	v_addc_co_u32_e32 v43, vcc, v36, v13, vcc
	v_lshlrev_b64 v[12:13], 4, v[18:19]
	v_fma_f64 v[20:21], -v[14:15], v[44:45], v[20:21]
	v_add_co_u32_e32 v44, vcc, s14, v12
	v_addc_co_u32_e32 v45, vcc, v37, v13, vcc
	global_load_dwordx4 v[12:15], v[42:43], off
	global_load_dwordx4 v[23:26], v[44:45], off
	v_add_u32_e32 v18, -8, v11
	s_waitcnt vmcnt(0)
	v_fma_f64 v[40:41], v[12:13], v[23:24], v[40:41]
	v_fma_f64 v[38:39], v[14:15], v[23:24], v[38:39]
	v_fma_f64 v[40:41], -v[14:15], v[25:26], v[40:41]
	v_fma_f64 v[38:39], v[12:13], v[25:26], v[38:39]
	global_load_dwordx4 v[12:15], v[42:43], off offset:16
	s_waitcnt vmcnt(0)
	v_fma_f64 v[27:28], v[12:13], v[23:24], v[27:28]
	v_fma_f64 v[29:30], v[14:15], v[23:24], v[29:30]
	v_fma_f64 v[27:28], -v[14:15], v[25:26], v[27:28]
	v_fma_f64 v[29:30], v[12:13], v[25:26], v[29:30]
	global_load_dwordx4 v[12:15], v[42:43], off offset:32
	;; [unrolled: 6-line block ×3, first 2 shown]
	s_waitcnt vmcnt(0)
	v_fma_f64 v[16:17], v[14:15], v[23:24], v[16:17]
	v_fma_f64 v[20:21], v[12:13], v[23:24], v[20:21]
	;; [unrolled: 1-line block ×3, first 2 shown]
	v_lshlrev_b64 v[12:13], 4, v[18:19]
	v_add_u32_e32 v18, 2, v32
	v_fma_f64 v[20:21], -v[14:15], v[25:26], v[20:21]
	v_lshlrev_b64 v[14:15], 4, v[18:19]
	v_add_co_u32_e32 v42, vcc, s12, v12
	v_addc_co_u32_e32 v43, vcc, v36, v13, vcc
	v_add_co_u32_e32 v48, vcc, s14, v14
	v_addc_co_u32_e32 v49, vcc, v37, v15, vcc
	global_load_dwordx4 v[12:15], v[42:43], off
	global_load_dwordx4 v[23:26], v[48:49], off
	v_add_u32_e32 v18, -4, v11
	s_waitcnt vmcnt(0)
	v_fma_f64 v[40:41], v[12:13], v[23:24], v[40:41]
	v_fma_f64 v[38:39], v[14:15], v[23:24], v[38:39]
	v_fma_f64 v[40:41], -v[14:15], v[25:26], v[40:41]
	v_fma_f64 v[38:39], v[12:13], v[25:26], v[38:39]
	global_load_dwordx4 v[12:15], v[42:43], off offset:16
	s_waitcnt vmcnt(0)
	v_fma_f64 v[27:28], v[12:13], v[23:24], v[27:28]
	v_fma_f64 v[29:30], v[14:15], v[23:24], v[29:30]
	v_fma_f64 v[27:28], -v[14:15], v[25:26], v[27:28]
	v_fma_f64 v[29:30], v[12:13], v[25:26], v[29:30]
	global_load_dwordx4 v[12:15], v[42:43], off offset:32
	;; [unrolled: 6-line block ×3, first 2 shown]
	s_waitcnt vmcnt(0)
	v_fma_f64 v[16:17], v[14:15], v[23:24], v[16:17]
	v_fma_f64 v[20:21], v[12:13], v[23:24], v[20:21]
	;; [unrolled: 1-line block ×3, first 2 shown]
	v_lshlrev_b64 v[12:13], 4, v[18:19]
	v_add_u32_e32 v18, 3, v32
	v_fma_f64 v[42:43], -v[14:15], v[25:26], v[20:21]
	v_lshlrev_b64 v[14:15], 4, v[18:19]
	v_add_co_u32_e32 v50, vcc, s12, v12
	v_addc_co_u32_e32 v51, vcc, v36, v13, vcc
	v_add_co_u32_e32 v16, vcc, s14, v14
	v_addc_co_u32_e32 v17, vcc, v37, v15, vcc
	global_load_dwordx4 v[12:15], v[50:51], off
	global_load_dwordx4 v[23:26], v[16:17], off
	s_waitcnt vmcnt(0)
	v_fma_f64 v[16:17], v[12:13], v[23:24], v[40:41]
	v_fma_f64 v[20:21], v[14:15], v[23:24], v[38:39]
	global_load_dwordx4 v[38:41], v[50:51], off offset:48
	v_fma_f64 v[52:53], -v[14:15], v[25:26], v[16:17]
	v_fma_f64 v[54:55], v[12:13], v[25:26], v[20:21]
	global_load_dwordx4 v[12:15], v[50:51], off offset:16
	s_waitcnt vmcnt(0)
	v_fma_f64 v[16:17], v[12:13], v[23:24], v[27:28]
	v_fma_f64 v[27:28], v[14:15], v[23:24], v[29:30]
	v_fma_f64 v[20:21], -v[14:15], v[25:26], v[16:17]
	global_load_dwordx4 v[15:18], v[50:51], off offset:32
	v_fma_f64 v[28:29], v[12:13], v[25:26], v[27:28]
	s_waitcnt vmcnt(0)
	v_fma_f64 v[12:13], v[15:16], v[23:24], v[44:45]
	v_fma_f64 v[30:31], v[17:18], v[23:24], v[46:47]
	v_fma_f64 v[13:14], -v[17:18], v[25:26], v[12:13]
	v_fma_f64 v[17:18], v[38:39], v[23:24], v[42:43]
	v_mov_b32_e32 v12, v19
	v_fma_f64 v[23:24], v[40:41], v[23:24], v[48:49]
	v_fma_f64 v[15:16], v[15:16], v[25:26], v[30:31]
	v_fma_f64 v[46:47], -v[40:41], v[25:26], v[17:18]
	v_lshlrev_b64 v[17:18], 4, v[11:12]
	v_fma_f64 v[48:49], v[38:39], v[25:26], v[23:24]
	v_add_co_u32_e32 v50, vcc, s12, v17
	v_addc_co_u32_e32 v51, vcc, v36, v18, vcc
	v_add_u32_e32 v18, 4, v32
	v_lshlrev_b64 v[17:18], 4, v[18:19]
	global_load_dwordx4 v[23:26], v[50:51], off
	global_load_dwordx4 v[42:45], v[50:51], off offset:32
	v_add_co_u32_e32 v17, vcc, s14, v17
	v_addc_co_u32_e32 v18, vcc, v37, v18, vcc
	global_load_dwordx4 v[38:41], v[17:18], off
	v_cmp_ge_i32_e32 vcc, v22, v34
	s_or_b64 s[8:9], vcc, s[8:9]
	v_add_u32_e32 v11, 0x140, v11
	s_waitcnt vmcnt(0)
	v_fma_f64 v[17:18], v[23:24], v[38:39], v[52:53]
	v_fma_f64 v[30:31], v[25:26], v[38:39], v[54:55]
	;; [unrolled: 1-line block ×3, first 2 shown]
	v_fma_f64 v[26:27], -v[25:26], v[40:41], v[17:18]
	v_fma_f64 v[24:25], v[23:24], v[40:41], v[30:31]
	global_load_dwordx4 v[30:33], v[50:51], off offset:16
	s_waitcnt vmcnt(0)
	v_fma_f64 v[17:18], v[30:31], v[38:39], v[20:21]
	v_fma_f64 v[20:21], v[32:33], v[38:39], v[28:29]
	v_fma_f64 v[28:29], -v[32:33], v[40:41], v[17:18]
	v_fma_f64 v[16:17], v[44:45], v[38:39], v[15:16]
	v_fma_f64 v[14:15], -v[44:45], v[40:41], v[12:13]
	v_fma_f64 v[30:31], v[30:31], v[40:41], v[20:21]
	v_fma_f64 v[12:13], v[42:43], v[40:41], v[16:17]
	global_load_dwordx4 v[42:45], v[50:51], off offset:48
	s_waitcnt vmcnt(0)
	v_fma_f64 v[16:17], v[42:43], v[38:39], v[46:47]
	v_fma_f64 v[32:33], v[44:45], v[38:39], v[48:49]
	v_fma_f64 v[20:21], -v[44:45], v[40:41], v[16:17]
	v_fma_f64 v[16:17], v[42:43], v[40:41], v[32:33]
	s_andn2_b64 exec, exec, s[8:9]
	s_cbranch_execnz .LBB128_7
; %bb.8:
	s_or_b64 exec, exec, s[8:9]
.LBB128_9:
	s_or_b64 exec, exec, s[6:7]
	s_cbranch_execz .LBB128_11
	s_branch .LBB128_16
.LBB128_10:
                                        ; implicit-def: $vgpr24_vgpr25
                                        ; implicit-def: $vgpr26_vgpr27
                                        ; implicit-def: $vgpr20_vgpr21
                                        ; implicit-def: $vgpr16_vgpr17
                                        ; implicit-def: $vgpr14_vgpr15
                                        ; implicit-def: $vgpr12_vgpr13
                                        ; implicit-def: $vgpr28_vgpr29
                                        ; implicit-def: $vgpr30_vgpr31
.LBB128_11:
	v_mov_b32_e32 v24, 0
	v_mov_b32_e32 v26, 0
	;; [unrolled: 1-line block ×16, first 2 shown]
	s_and_saveexec_b64 s[2:3], s[0:1]
	s_cbranch_execz .LBB128_15
; %bb.12:
	v_mad_u64_u32 v[18:19], s[0:1], v10, 20, 19
	v_mov_b32_e32 v24, 0
	v_mov_b32_e32 v26, 0
	;; [unrolled: 1-line block ×9, first 2 shown]
	s_mov_b64 s[0:1], 0
	v_mov_b32_e32 v35, s11
	v_mov_b32_e32 v23, 0
	;; [unrolled: 1-line block ×11, first 2 shown]
.LBB128_13:                             ; =>This Inner Loop Header: Depth=1
	v_ashrrev_i32_e32 v11, 31, v10
	v_lshlrev_b64 v[38:39], 2, v[10:11]
	v_subrev_u32_e32 v22, 19, v18
	v_lshlrev_b64 v[40:41], 4, v[22:23]
	v_add_co_u32_e32 v46, vcc, s10, v38
	v_addc_co_u32_e32 v47, vcc, v35, v39, vcc
	v_add_co_u32_e32 v52, vcc, s12, v40
	v_addc_co_u32_e32 v53, vcc, v36, v41, vcc
	global_load_dword v11, v[46:47], off
	global_load_dwordx4 v[38:41], v[52:53], off
	global_load_dwordx4 v[42:45], v[52:53], off offset:16
	v_mov_b32_e32 v33, v23
	v_add_u32_e32 v50, -14, v18
	v_mov_b32_e32 v51, v23
	v_mov_b32_e32 v19, v23
	v_add_u32_e32 v10, 16, v10
	s_waitcnt vmcnt(2)
	v_subrev_u32_e32 v11, s16, v11
	v_lshl_add_u32 v32, v11, 2, v11
	v_lshlrev_b64 v[46:47], 4, v[32:33]
	v_add_u32_e32 v22, 1, v32
	v_add_co_u32_e32 v46, vcc, s14, v46
	v_addc_co_u32_e32 v47, vcc, v37, v47, vcc
	global_load_dwordx4 v[46:49], v[46:47], off
	s_waitcnt vmcnt(0)
	v_fma_f64 v[26:27], v[38:39], v[46:47], v[26:27]
	v_fma_f64 v[24:25], v[40:41], v[46:47], v[24:25]
	v_fma_f64 v[54:55], -v[40:41], v[48:49], v[26:27]
	v_lshlrev_b64 v[26:27], 4, v[50:51]
	v_fma_f64 v[56:57], v[38:39], v[48:49], v[24:25]
	v_add_u32_e32 v24, -9, v18
	v_mov_b32_e32 v25, v23
	v_lshlrev_b64 v[24:25], 4, v[24:25]
	v_add_co_u32_e32 v50, vcc, s12, v26
	v_addc_co_u32_e32 v51, vcc, v36, v27, vcc
	v_add_co_u32_e32 v58, vcc, s12, v24
	v_addc_co_u32_e32 v59, vcc, v36, v25, vcc
	global_load_dwordx4 v[24:27], v[50:51], off
	global_load_dwordx4 v[38:41], v[58:59], off
	s_waitcnt vmcnt(1)
	v_fma_f64 v[30:31], v[26:27], v[46:47], v[30:31]
	s_waitcnt vmcnt(0)
	v_fma_f64 v[14:15], v[38:39], v[46:47], v[14:15]
	v_fma_f64 v[11:12], v[40:41], v[46:47], v[12:13]
	;; [unrolled: 1-line block ×4, first 2 shown]
	v_add_u32_e32 v24, -4, v18
	v_mov_b32_e32 v25, v23
	v_lshlrev_b64 v[24:25], 4, v[24:25]
	v_fma_f64 v[60:61], -v[40:41], v[48:49], v[14:15]
	v_add_co_u32_e32 v24, vcc, s12, v24
	v_addc_co_u32_e32 v25, vcc, v36, v25, vcc
	v_fma_f64 v[62:63], v[38:39], v[48:49], v[11:12]
	global_load_dwordx4 v[11:14], v[24:25], off
	v_lshlrev_b64 v[24:25], 4, v[22:23]
	v_add_u32_e32 v22, -13, v18
	v_fma_f64 v[50:51], -v[26:27], v[48:49], v[28:29]
	v_lshlrev_b64 v[26:27], 4, v[22:23]
	v_add_u32_e32 v22, -8, v18
	s_waitcnt vmcnt(0)
	v_fma_f64 v[15:16], v[13:14], v[46:47], v[16:17]
	v_fma_f64 v[20:21], v[11:12], v[46:47], v[20:21]
	;; [unrolled: 1-line block ×3, first 2 shown]
	v_add_co_u32_e32 v11, vcc, s14, v24
	v_addc_co_u32_e32 v12, vcc, v37, v25, vcc
	v_fma_f64 v[20:21], -v[13:14], v[48:49], v[20:21]
	global_load_dwordx4 v[11:14], v[11:12], off
	v_lshlrev_b64 v[24:25], 4, v[22:23]
	v_add_co_u32_e32 v26, vcc, s12, v26
	v_addc_co_u32_e32 v27, vcc, v36, v27, vcc
	v_add_co_u32_e32 v28, vcc, s12, v24
	v_addc_co_u32_e32 v29, vcc, v36, v25, vcc
	global_load_dwordx4 v[24:27], v[26:27], off
	v_add_u32_e32 v22, -3, v18
	s_waitcnt vmcnt(1)
	v_fma_f64 v[30:31], v[42:43], v[11:12], v[54:55]
	v_fma_f64 v[38:39], v[44:45], v[11:12], v[56:57]
	v_fma_f64 v[44:45], -v[44:45], v[13:14], v[30:31]
	global_load_dwordx4 v[28:31], v[28:29], off
	v_fma_f64 v[42:43], v[42:43], v[13:14], v[38:39]
	s_waitcnt vmcnt(1)
	v_fma_f64 v[38:39], v[24:25], v[11:12], v[50:51]
	v_fma_f64 v[40:41], v[26:27], v[11:12], v[58:59]
	v_fma_f64 v[46:47], -v[26:27], v[13:14], v[38:39]
	v_fma_f64 v[48:49], v[24:25], v[13:14], v[40:41]
	global_load_dwordx4 v[24:27], v[52:53], off offset:32
	global_load_dwordx4 v[38:41], v[52:53], off offset:48
	s_waitcnt vmcnt(2)
	v_fma_f64 v[52:53], v[30:31], v[11:12], v[62:63]
	v_fma_f64 v[50:51], v[28:29], v[11:12], v[60:61]
	;; [unrolled: 1-line block ×3, first 2 shown]
	v_lshlrev_b64 v[28:29], 4, v[22:23]
	v_fma_f64 v[50:51], -v[30:31], v[13:14], v[50:51]
	v_add_co_u32_e32 v28, vcc, s12, v28
	v_addc_co_u32_e32 v29, vcc, v36, v29, vcc
	global_load_dwordx4 v[28:31], v[28:29], off
	v_add_u32_e32 v22, 2, v32
	s_waitcnt vmcnt(0)
	v_fma_f64 v[20:21], v[28:29], v[11:12], v[20:21]
	v_fma_f64 v[11:12], v[30:31], v[11:12], v[15:16]
	v_fma_f64 v[15:16], -v[30:31], v[13:14], v[20:21]
	v_fma_f64 v[20:21], v[28:29], v[13:14], v[11:12]
	v_lshlrev_b64 v[11:12], 4, v[22:23]
	v_add_u32_e32 v22, -12, v18
	v_lshlrev_b64 v[13:14], 4, v[22:23]
	v_add_co_u32_e32 v11, vcc, s14, v11
	v_addc_co_u32_e32 v12, vcc, v37, v12, vcc
	v_add_co_u32_e32 v30, vcc, s12, v13
	v_addc_co_u32_e32 v31, vcc, v36, v14, vcc
	global_load_dwordx4 v[11:14], v[11:12], off
	v_add_u32_e32 v22, -7, v18
	v_lshlrev_b64 v[28:29], 4, v[22:23]
	v_add_u32_e32 v22, -2, v18
	v_add_co_u32_e32 v28, vcc, s12, v28
	v_addc_co_u32_e32 v29, vcc, v36, v29, vcc
	s_waitcnt vmcnt(0)
	v_fma_f64 v[44:45], v[24:25], v[11:12], v[44:45]
	v_fma_f64 v[42:43], v[26:27], v[11:12], v[42:43]
	v_fma_f64 v[54:55], -v[26:27], v[13:14], v[44:45]
	v_fma_f64 v[56:57], v[24:25], v[13:14], v[42:43]
	global_load_dwordx4 v[24:27], v[30:31], off
	s_waitcnt vmcnt(0)
	v_fma_f64 v[44:45], v[26:27], v[11:12], v[48:49]
	global_load_dwordx4 v[28:31], v[28:29], off
	v_fma_f64 v[42:43], v[24:25], v[11:12], v[46:47]
	v_fma_f64 v[48:49], v[24:25], v[13:14], v[44:45]
	v_lshlrev_b64 v[24:25], 4, v[18:19]
	v_fma_f64 v[46:47], -v[26:27], v[13:14], v[42:43]
	v_add_co_u32_e32 v24, vcc, s12, v24
	v_addc_co_u32_e32 v25, vcc, v36, v25, vcc
	global_load_dwordx4 v[42:45], v[24:25], off
	s_waitcnt vmcnt(1)
	v_fma_f64 v[24:25], v[28:29], v[11:12], v[50:51]
	v_fma_f64 v[26:27], v[30:31], v[11:12], v[52:53]
	v_fma_f64 v[50:51], -v[30:31], v[13:14], v[24:25]
	v_lshlrev_b64 v[24:25], 4, v[22:23]
	v_fma_f64 v[52:53], v[28:29], v[13:14], v[26:27]
	v_add_co_u32_e32 v24, vcc, s12, v24
	v_addc_co_u32_e32 v25, vcc, v36, v25, vcc
	global_load_dwordx4 v[24:27], v[24:25], off
	v_add_u32_e32 v22, 3, v32
	s_waitcnt vmcnt(0)
	v_fma_f64 v[15:16], v[24:25], v[11:12], v[15:16]
	v_fma_f64 v[11:12], v[26:27], v[11:12], v[20:21]
	v_fma_f64 v[15:16], -v[26:27], v[13:14], v[15:16]
	v_fma_f64 v[19:20], v[24:25], v[13:14], v[11:12]
	v_lshlrev_b64 v[11:12], 4, v[22:23]
	v_add_u32_e32 v22, -11, v18
	v_lshlrev_b64 v[13:14], 4, v[22:23]
	v_add_co_u32_e32 v11, vcc, s14, v11
	v_addc_co_u32_e32 v12, vcc, v37, v12, vcc
	v_add_co_u32_e32 v24, vcc, s12, v13
	v_addc_co_u32_e32 v25, vcc, v36, v14, vcc
	global_load_dwordx4 v[11:14], v[11:12], off
	v_add_u32_e32 v22, -6, v18
	v_lshlrev_b64 v[28:29], 4, v[22:23]
	v_add_u32_e32 v22, -1, v18
	v_add_co_u32_e32 v28, vcc, s12, v28
	v_addc_co_u32_e32 v29, vcc, v36, v29, vcc
	s_waitcnt vmcnt(0)
	v_fma_f64 v[26:27], v[38:39], v[11:12], v[54:55]
	v_fma_f64 v[30:31], v[40:41], v[11:12], v[56:57]
	v_fma_f64 v[40:41], -v[40:41], v[13:14], v[26:27]
	global_load_dwordx4 v[24:27], v[24:25], off
	v_fma_f64 v[38:39], v[38:39], v[13:14], v[30:31]
	global_load_dwordx4 v[28:31], v[28:29], off
	s_waitcnt vmcnt(1)
	v_fma_f64 v[46:47], v[24:25], v[11:12], v[46:47]
	v_fma_f64 v[48:49], v[26:27], v[11:12], v[48:49]
	v_fma_f64 v[46:47], -v[26:27], v[13:14], v[46:47]
	s_waitcnt vmcnt(0)
	v_fma_f64 v[26:27], v[28:29], v[11:12], v[50:51]
	v_fma_f64 v[48:49], v[24:25], v[13:14], v[48:49]
	v_lshlrev_b64 v[24:25], 4, v[22:23]
	v_fma_f64 v[50:51], v[30:31], v[11:12], v[52:53]
	v_add_co_u32_e32 v24, vcc, s12, v24
	v_addc_co_u32_e32 v25, vcc, v36, v25, vcc
	v_fma_f64 v[52:53], -v[30:31], v[13:14], v[26:27]
	global_load_dwordx4 v[24:27], v[24:25], off
	v_add_u32_e32 v22, -15, v18
	v_lshlrev_b64 v[54:55], 4, v[22:23]
	v_add_u32_e32 v22, 4, v32
	v_lshlrev_b64 v[32:33], 4, v[22:23]
	v_fma_f64 v[50:51], v[28:29], v[13:14], v[50:51]
	v_add_co_u32_e32 v28, vcc, s12, v54
	v_addc_co_u32_e32 v29, vcc, v36, v55, vcc
	global_load_dwordx4 v[28:31], v[28:29], off
	v_add_u32_e32 v22, -10, v18
	s_waitcnt vmcnt(1)
	v_fma_f64 v[15:16], v[24:25], v[11:12], v[15:16]
	v_fma_f64 v[11:12], v[26:27], v[11:12], v[19:20]
	v_lshlrev_b64 v[19:20], 4, v[22:23]
	v_add_u32_e32 v22, -5, v18
	v_lshlrev_b64 v[21:22], 4, v[22:23]
	v_add_u32_e32 v18, 0x140, v18
	v_fma_f64 v[54:55], -v[26:27], v[13:14], v[15:16]
	v_fma_f64 v[11:12], v[24:25], v[13:14], v[11:12]
	v_add_co_u32_e32 v13, vcc, s14, v32
	v_addc_co_u32_e32 v14, vcc, v37, v33, vcc
	global_load_dwordx4 v[14:17], v[13:14], off
	v_add_co_u32_e32 v19, vcc, s12, v19
	v_addc_co_u32_e32 v20, vcc, v36, v20, vcc
	v_add_co_u32_e32 v32, vcc, s12, v21
	v_addc_co_u32_e32 v33, vcc, v36, v22, vcc
	global_load_dwordx4 v[19:22], v[19:20], off
	v_cmp_ge_i32_e32 vcc, v10, v34
	s_or_b64 s[0:1], vcc, s[0:1]
	s_waitcnt vmcnt(1)
	v_fma_f64 v[24:25], v[28:29], v[14:15], v[40:41]
	v_fma_f64 v[38:39], v[30:31], v[14:15], v[38:39]
	v_fma_f64 v[26:27], -v[30:31], v[16:17], v[24:25]
	v_fma_f64 v[24:25], v[28:29], v[16:17], v[38:39]
	global_load_dwordx4 v[38:41], v[32:33], off
	s_waitcnt vmcnt(1)
	v_fma_f64 v[28:29], v[19:20], v[14:15], v[46:47]
	v_fma_f64 v[30:31], v[21:22], v[14:15], v[48:49]
	;; [unrolled: 1-line block ×3, first 2 shown]
	v_fma_f64 v[28:29], -v[21:22], v[16:17], v[28:29]
	v_fma_f64 v[30:31], v[19:20], v[16:17], v[30:31]
	v_fma_f64 v[20:21], -v[44:45], v[16:17], v[48:49]
	s_waitcnt vmcnt(0)
	v_fma_f64 v[32:33], v[38:39], v[14:15], v[52:53]
	v_fma_f64 v[46:47], v[40:41], v[14:15], v[50:51]
	;; [unrolled: 1-line block ×3, first 2 shown]
	v_fma_f64 v[14:15], -v[40:41], v[16:17], v[32:33]
	v_fma_f64 v[12:13], v[38:39], v[16:17], v[46:47]
	v_fma_f64 v[16:17], v[42:43], v[16:17], v[50:51]
	s_andn2_b64 exec, exec, s[0:1]
	s_cbranch_execnz .LBB128_13
; %bb.14:
	s_or_b64 exec, exec, s[0:1]
.LBB128_15:
	s_or_b64 exec, exec, s[2:3]
.LBB128_16:
	v_mov_b32_dpp v10, v26 row_shr:1 row_mask:0xf bank_mask:0xf
	v_mov_b32_dpp v11, v27 row_shr:1 row_mask:0xf bank_mask:0xf
	v_add_f64 v[10:11], v[26:27], v[10:11]
	v_mov_b32_dpp v18, v24 row_shr:1 row_mask:0xf bank_mask:0xf
	v_mov_b32_dpp v19, v25 row_shr:1 row_mask:0xf bank_mask:0xf
	v_add_f64 v[18:19], v[24:25], v[18:19]
	;; [unrolled: 3-line block ×3, first 2 shown]
	v_mov_b32_dpp v35, v12 row_shr:1 row_mask:0xf bank_mask:0xf
	v_mov_b32_dpp v24, v10 row_shr:2 row_mask:0xf bank_mask:0xf
	;; [unrolled: 1-line block ×3, first 2 shown]
	v_add_f64 v[10:11], v[10:11], v[24:25]
	v_mov_b32_dpp v24, v18 row_shr:2 row_mask:0xf bank_mask:0xf
	v_mov_b32_dpp v25, v19 row_shr:2 row_mask:0xf bank_mask:0xf
	v_add_f64 v[18:19], v[18:19], v[24:25]
	v_mov_b32_dpp v24, v30 row_shr:1 row_mask:0xf bank_mask:0xf
	v_mov_b32_dpp v25, v31 row_shr:1 row_mask:0xf bank_mask:0xf
	;; [unrolled: 3-line block ×3, first 2 shown]
	v_add_f64 v[22:23], v[22:23], v[28:29]
	v_mov_b32_dpp v36, v13 row_shr:1 row_mask:0xf bank_mask:0xf
	v_add_f64 v[12:13], v[12:13], v[35:36]
	v_mov_b32_dpp v35, v20 row_shr:1 row_mask:0xf bank_mask:0xf
	v_mov_b32_dpp v36, v21 row_shr:1 row_mask:0xf bank_mask:0xf
	;; [unrolled: 1-line block ×4, first 2 shown]
	v_add_f64 v[24:25], v[24:25], v[28:29]
	v_mov_b32_dpp v28, v14 row_shr:1 row_mask:0xf bank_mask:0xf
	v_mov_b32_dpp v29, v15 row_shr:1 row_mask:0xf bank_mask:0xf
	v_add_f64 v[28:29], v[14:15], v[28:29]
	v_add_f64 v[20:21], v[20:21], v[35:36]
	v_mov_b32_dpp v35, v16 row_shr:1 row_mask:0xf bank_mask:0xf
	v_mov_b32_dpp v36, v17 row_shr:1 row_mask:0xf bank_mask:0xf
	v_add_f64 v[16:17], v[16:17], v[35:36]
	v_mov_b32_dpp v26, v10 row_shr:4 row_mask:0xf bank_mask:0xe
	v_mov_b32_dpp v27, v11 row_shr:4 row_mask:0xf bank_mask:0xe
	;; [unrolled: 3-line block ×6, first 2 shown]
	v_mov_b32_dpp v36, v12 row_shr:2 row_mask:0xf bank_mask:0xf
	v_mov_b32_dpp v37, v13 row_shr:2 row_mask:0xf bank_mask:0xf
	v_add_f64 v[32:33], v[28:29], v[24:25]
	v_add_f64 v[36:37], v[12:13], v[36:37]
	v_mov_b32_dpp v12, v20 row_shr:2 row_mask:0xf bank_mask:0xf
	v_mov_b32_dpp v13, v21 row_shr:2 row_mask:0xf bank_mask:0xf
	v_add_f64 v[20:21], v[20:21], v[12:13]
	v_mov_b32_dpp v12, v16 row_shr:2 row_mask:0xf bank_mask:0xf
	v_mov_b32_dpp v13, v17 row_shr:2 row_mask:0xf bank_mask:0xf
	;; [unrolled: 3-line block ×4, first 2 shown]
	v_mov_b32_dpp v35, v21 row_shr:4 row_mask:0xf bank_mask:0xe
	v_mov_b32_dpp v33, v37 row_shr:4 row_mask:0xf bank_mask:0xe
	v_add_f64 v[34:35], v[20:21], v[34:35]
	v_mov_b32_dpp v20, v16 row_shr:4 row_mask:0xf bank_mask:0xe
	v_mov_b32_dpp v21, v17 row_shr:4 row_mask:0xf bank_mask:0xe
	v_add_f64 v[32:33], v[36:37], v[32:33]
	v_add_f64 v[20:21], v[16:17], v[20:21]
	v_mov_b32_dpp v30, v10 row_shr:8 row_mask:0xf bank_mask:0xc
	v_mov_b32_dpp v31, v11 row_shr:8 row_mask:0xf bank_mask:0xc
	;; [unrolled: 1-line block ×16, first 2 shown]
	v_cmp_eq_u32_e32 vcc, 15, v0
	s_and_b64 exec, exec, vcc
	s_cbranch_execz .LBB128_21
; %bb.17:
	v_cmp_eq_f64_e32 vcc, 0, v[5:6]
	v_cmp_eq_f64_e64 s[0:1], 0, v[7:8]
	v_add_f64 v[16:17], v[10:11], v[30:31]
	v_add_f64 v[24:25], v[14:15], v[24:25]
	;; [unrolled: 1-line block ×8, first 2 shown]
	s_load_dwordx2 s[2:3], s[4:5], 0x48
	s_and_b64 s[0:1], vcc, s[0:1]
	s_and_saveexec_b64 s[4:5], s[0:1]
	s_xor_b64 s[0:1], exec, s[4:5]
	s_cbranch_execz .LBB128_19
; %bb.18:
	v_mul_f64 v[5:6], v[24:25], -v[3:4]
	v_mul_f64 v[7:8], v[1:2], v[24:25]
	v_mul_f64 v[26:27], v[22:23], -v[3:4]
	v_mul_f64 v[22:23], v[1:2], v[22:23]
	;; [unrolled: 2-line block ×4, first 2 shown]
	v_fma_f64 v[5:6], v[1:2], v[16:17], v[5:6]
	v_fma_f64 v[7:8], v[3:4], v[16:17], v[7:8]
	;; [unrolled: 1-line block ×4, first 2 shown]
	v_lshlrev_b32_e32 v24, 2, v9
	v_fma_f64 v[9:10], v[1:2], v[12:13], v[28:29]
	v_fma_f64 v[11:12], v[3:4], v[12:13], v[30:31]
	v_ashrrev_i32_e32 v25, 31, v24
	v_fma_f64 v[0:1], v[1:2], v[14:15], v[32:33]
	v_fma_f64 v[2:3], v[3:4], v[14:15], v[20:21]
	v_lshlrev_b64 v[24:25], 4, v[24:25]
	s_waitcnt lgkmcnt(0)
	v_mov_b32_e32 v34, s3
	v_add_co_u32_e32 v13, vcc, s2, v24
	v_addc_co_u32_e32 v14, vcc, v34, v25, vcc
	global_store_dwordx4 v[13:14], v[5:8], off
	global_store_dwordx4 v[13:14], v[16:19], off offset:16
	global_store_dwordx4 v[13:14], v[9:12], off offset:32
	global_store_dwordx4 v[13:14], v[0:3], off offset:48
                                        ; implicit-def: $vgpr9
                                        ; implicit-def: $vgpr16_vgpr17
                                        ; implicit-def: $vgpr24_vgpr25
                                        ; implicit-def: $vgpr10_vgpr11
                                        ; implicit-def: $vgpr22_vgpr23
                                        ; implicit-def: $vgpr12_vgpr13
                                        ; implicit-def: $vgpr18_vgpr19
                                        ; implicit-def: $vgpr14_vgpr15
                                        ; implicit-def: $vgpr20_vgpr21
                                        ; implicit-def: $vgpr7_vgpr8
                                        ; implicit-def: $vgpr3_vgpr4
.LBB128_19:
	s_andn2_saveexec_b64 s[0:1], s[0:1]
	s_cbranch_execz .LBB128_21
; %bb.20:
	v_lshlrev_b32_e32 v26, 2, v9
	v_ashrrev_i32_e32 v27, 31, v26
	v_lshlrev_b64 v[26:27], 4, v[26:27]
	s_waitcnt lgkmcnt(0)
	v_mov_b32_e32 v0, s3
	v_add_co_u32_e32 v42, vcc, s2, v26
	v_addc_co_u32_e32 v43, vcc, v0, v27, vcc
	global_load_dwordx4 v[26:29], v[42:43], off
	global_load_dwordx4 v[30:33], v[42:43], off offset:16
	global_load_dwordx4 v[34:37], v[42:43], off offset:32
	;; [unrolled: 1-line block ×3, first 2 shown]
	v_mul_f64 v[44:45], v[24:25], -v[3:4]
	v_mul_f64 v[24:25], v[1:2], v[24:25]
	v_mul_f64 v[46:47], v[22:23], -v[3:4]
	v_mul_f64 v[22:23], v[1:2], v[22:23]
	;; [unrolled: 2-line block ×4, first 2 shown]
	v_fma_f64 v[44:45], v[1:2], v[16:17], v[44:45]
	v_fma_f64 v[16:17], v[3:4], v[16:17], v[24:25]
	;; [unrolled: 1-line block ×8, first 2 shown]
	s_waitcnt vmcnt(3)
	v_fma_f64 v[13:14], v[5:6], v[26:27], v[44:45]
	v_fma_f64 v[15:16], v[7:8], v[26:27], v[16:17]
	s_waitcnt vmcnt(2)
	v_fma_f64 v[17:18], v[5:6], v[30:31], v[24:25]
	v_fma_f64 v[19:20], v[7:8], v[30:31], v[9:10]
	;; [unrolled: 3-line block ×4, first 2 shown]
	v_fma_f64 v[0:1], -v[7:8], v[28:29], v[13:14]
	v_fma_f64 v[2:3], v[5:6], v[28:29], v[15:16]
	v_fma_f64 v[9:10], -v[7:8], v[32:33], v[17:18]
	v_fma_f64 v[11:12], v[5:6], v[32:33], v[19:20]
	;; [unrolled: 2-line block ×4, first 2 shown]
	global_store_dwordx4 v[42:43], v[0:3], off
	global_store_dwordx4 v[42:43], v[9:12], off offset:16
	global_store_dwordx4 v[42:43], v[13:16], off offset:32
	global_store_dwordx4 v[42:43], v[17:20], off offset:48
.LBB128_21:
	s_endpgm
	.section	.rodata,"a",@progbits
	.p2align	6, 0x0
	.amdhsa_kernel _ZN9rocsparseL19gebsrmvn_4xn_kernelILj128ELj5ELj16E21rocsparse_complex_numIdEEEvi20rocsparse_direction_NS_24const_host_device_scalarIT2_EEPKiS8_PKS5_SA_S6_PS5_21rocsparse_index_base_b
		.amdhsa_group_segment_fixed_size 0
		.amdhsa_private_segment_fixed_size 0
		.amdhsa_kernarg_size 88
		.amdhsa_user_sgpr_count 6
		.amdhsa_user_sgpr_private_segment_buffer 1
		.amdhsa_user_sgpr_dispatch_ptr 0
		.amdhsa_user_sgpr_queue_ptr 0
		.amdhsa_user_sgpr_kernarg_segment_ptr 1
		.amdhsa_user_sgpr_dispatch_id 0
		.amdhsa_user_sgpr_flat_scratch_init 0
		.amdhsa_user_sgpr_private_segment_size 0
		.amdhsa_uses_dynamic_stack 0
		.amdhsa_system_sgpr_private_segment_wavefront_offset 0
		.amdhsa_system_sgpr_workgroup_id_x 1
		.amdhsa_system_sgpr_workgroup_id_y 0
		.amdhsa_system_sgpr_workgroup_id_z 0
		.amdhsa_system_sgpr_workgroup_info 0
		.amdhsa_system_vgpr_workitem_id 0
		.amdhsa_next_free_vgpr 64
		.amdhsa_next_free_sgpr 18
		.amdhsa_reserve_vcc 1
		.amdhsa_reserve_flat_scratch 0
		.amdhsa_float_round_mode_32 0
		.amdhsa_float_round_mode_16_64 0
		.amdhsa_float_denorm_mode_32 3
		.amdhsa_float_denorm_mode_16_64 3
		.amdhsa_dx10_clamp 1
		.amdhsa_ieee_mode 1
		.amdhsa_fp16_overflow 0
		.amdhsa_exception_fp_ieee_invalid_op 0
		.amdhsa_exception_fp_denorm_src 0
		.amdhsa_exception_fp_ieee_div_zero 0
		.amdhsa_exception_fp_ieee_overflow 0
		.amdhsa_exception_fp_ieee_underflow 0
		.amdhsa_exception_fp_ieee_inexact 0
		.amdhsa_exception_int_div_zero 0
	.end_amdhsa_kernel
	.section	.text._ZN9rocsparseL19gebsrmvn_4xn_kernelILj128ELj5ELj16E21rocsparse_complex_numIdEEEvi20rocsparse_direction_NS_24const_host_device_scalarIT2_EEPKiS8_PKS5_SA_S6_PS5_21rocsparse_index_base_b,"axG",@progbits,_ZN9rocsparseL19gebsrmvn_4xn_kernelILj128ELj5ELj16E21rocsparse_complex_numIdEEEvi20rocsparse_direction_NS_24const_host_device_scalarIT2_EEPKiS8_PKS5_SA_S6_PS5_21rocsparse_index_base_b,comdat
.Lfunc_end128:
	.size	_ZN9rocsparseL19gebsrmvn_4xn_kernelILj128ELj5ELj16E21rocsparse_complex_numIdEEEvi20rocsparse_direction_NS_24const_host_device_scalarIT2_EEPKiS8_PKS5_SA_S6_PS5_21rocsparse_index_base_b, .Lfunc_end128-_ZN9rocsparseL19gebsrmvn_4xn_kernelILj128ELj5ELj16E21rocsparse_complex_numIdEEEvi20rocsparse_direction_NS_24const_host_device_scalarIT2_EEPKiS8_PKS5_SA_S6_PS5_21rocsparse_index_base_b
                                        ; -- End function
	.set _ZN9rocsparseL19gebsrmvn_4xn_kernelILj128ELj5ELj16E21rocsparse_complex_numIdEEEvi20rocsparse_direction_NS_24const_host_device_scalarIT2_EEPKiS8_PKS5_SA_S6_PS5_21rocsparse_index_base_b.num_vgpr, 64
	.set _ZN9rocsparseL19gebsrmvn_4xn_kernelILj128ELj5ELj16E21rocsparse_complex_numIdEEEvi20rocsparse_direction_NS_24const_host_device_scalarIT2_EEPKiS8_PKS5_SA_S6_PS5_21rocsparse_index_base_b.num_agpr, 0
	.set _ZN9rocsparseL19gebsrmvn_4xn_kernelILj128ELj5ELj16E21rocsparse_complex_numIdEEEvi20rocsparse_direction_NS_24const_host_device_scalarIT2_EEPKiS8_PKS5_SA_S6_PS5_21rocsparse_index_base_b.numbered_sgpr, 18
	.set _ZN9rocsparseL19gebsrmvn_4xn_kernelILj128ELj5ELj16E21rocsparse_complex_numIdEEEvi20rocsparse_direction_NS_24const_host_device_scalarIT2_EEPKiS8_PKS5_SA_S6_PS5_21rocsparse_index_base_b.num_named_barrier, 0
	.set _ZN9rocsparseL19gebsrmvn_4xn_kernelILj128ELj5ELj16E21rocsparse_complex_numIdEEEvi20rocsparse_direction_NS_24const_host_device_scalarIT2_EEPKiS8_PKS5_SA_S6_PS5_21rocsparse_index_base_b.private_seg_size, 0
	.set _ZN9rocsparseL19gebsrmvn_4xn_kernelILj128ELj5ELj16E21rocsparse_complex_numIdEEEvi20rocsparse_direction_NS_24const_host_device_scalarIT2_EEPKiS8_PKS5_SA_S6_PS5_21rocsparse_index_base_b.uses_vcc, 1
	.set _ZN9rocsparseL19gebsrmvn_4xn_kernelILj128ELj5ELj16E21rocsparse_complex_numIdEEEvi20rocsparse_direction_NS_24const_host_device_scalarIT2_EEPKiS8_PKS5_SA_S6_PS5_21rocsparse_index_base_b.uses_flat_scratch, 0
	.set _ZN9rocsparseL19gebsrmvn_4xn_kernelILj128ELj5ELj16E21rocsparse_complex_numIdEEEvi20rocsparse_direction_NS_24const_host_device_scalarIT2_EEPKiS8_PKS5_SA_S6_PS5_21rocsparse_index_base_b.has_dyn_sized_stack, 0
	.set _ZN9rocsparseL19gebsrmvn_4xn_kernelILj128ELj5ELj16E21rocsparse_complex_numIdEEEvi20rocsparse_direction_NS_24const_host_device_scalarIT2_EEPKiS8_PKS5_SA_S6_PS5_21rocsparse_index_base_b.has_recursion, 0
	.set _ZN9rocsparseL19gebsrmvn_4xn_kernelILj128ELj5ELj16E21rocsparse_complex_numIdEEEvi20rocsparse_direction_NS_24const_host_device_scalarIT2_EEPKiS8_PKS5_SA_S6_PS5_21rocsparse_index_base_b.has_indirect_call, 0
	.section	.AMDGPU.csdata,"",@progbits
; Kernel info:
; codeLenInByte = 4652
; TotalNumSgprs: 22
; NumVgprs: 64
; ScratchSize: 0
; MemoryBound: 0
; FloatMode: 240
; IeeeMode: 1
; LDSByteSize: 0 bytes/workgroup (compile time only)
; SGPRBlocks: 2
; VGPRBlocks: 15
; NumSGPRsForWavesPerEU: 22
; NumVGPRsForWavesPerEU: 64
; Occupancy: 4
; WaveLimiterHint : 1
; COMPUTE_PGM_RSRC2:SCRATCH_EN: 0
; COMPUTE_PGM_RSRC2:USER_SGPR: 6
; COMPUTE_PGM_RSRC2:TRAP_HANDLER: 0
; COMPUTE_PGM_RSRC2:TGID_X_EN: 1
; COMPUTE_PGM_RSRC2:TGID_Y_EN: 0
; COMPUTE_PGM_RSRC2:TGID_Z_EN: 0
; COMPUTE_PGM_RSRC2:TIDIG_COMP_CNT: 0
	.section	.text._ZN9rocsparseL19gebsrmvn_4xn_kernelILj128ELj5ELj32E21rocsparse_complex_numIdEEEvi20rocsparse_direction_NS_24const_host_device_scalarIT2_EEPKiS8_PKS5_SA_S6_PS5_21rocsparse_index_base_b,"axG",@progbits,_ZN9rocsparseL19gebsrmvn_4xn_kernelILj128ELj5ELj32E21rocsparse_complex_numIdEEEvi20rocsparse_direction_NS_24const_host_device_scalarIT2_EEPKiS8_PKS5_SA_S6_PS5_21rocsparse_index_base_b,comdat
	.globl	_ZN9rocsparseL19gebsrmvn_4xn_kernelILj128ELj5ELj32E21rocsparse_complex_numIdEEEvi20rocsparse_direction_NS_24const_host_device_scalarIT2_EEPKiS8_PKS5_SA_S6_PS5_21rocsparse_index_base_b ; -- Begin function _ZN9rocsparseL19gebsrmvn_4xn_kernelILj128ELj5ELj32E21rocsparse_complex_numIdEEEvi20rocsparse_direction_NS_24const_host_device_scalarIT2_EEPKiS8_PKS5_SA_S6_PS5_21rocsparse_index_base_b
	.p2align	8
	.type	_ZN9rocsparseL19gebsrmvn_4xn_kernelILj128ELj5ELj32E21rocsparse_complex_numIdEEEvi20rocsparse_direction_NS_24const_host_device_scalarIT2_EEPKiS8_PKS5_SA_S6_PS5_21rocsparse_index_base_b,@function
_ZN9rocsparseL19gebsrmvn_4xn_kernelILj128ELj5ELj32E21rocsparse_complex_numIdEEEvi20rocsparse_direction_NS_24const_host_device_scalarIT2_EEPKiS8_PKS5_SA_S6_PS5_21rocsparse_index_base_b: ; @_ZN9rocsparseL19gebsrmvn_4xn_kernelILj128ELj5ELj32E21rocsparse_complex_numIdEEEvi20rocsparse_direction_NS_24const_host_device_scalarIT2_EEPKiS8_PKS5_SA_S6_PS5_21rocsparse_index_base_b
; %bb.0:
	s_load_dwordx2 s[0:1], s[4:5], 0x8
	s_load_dwordx2 s[2:3], s[4:5], 0x38
	;; [unrolled: 1-line block ×3, first 2 shown]
	s_add_u32 s7, s4, 8
	s_addc_u32 s8, s5, 0
	s_add_u32 s9, s4, 56
	s_addc_u32 s10, s5, 0
	s_waitcnt lgkmcnt(0)
	s_bitcmp1_b32 s17, 0
	s_cselect_b32 s1, s8, s1
	s_cselect_b32 s0, s7, s0
	v_mov_b32_e32 v1, s0
	v_mov_b32_e32 v2, s1
	flat_load_dwordx4 v[1:4], v[1:2]
	s_cselect_b32 s0, s10, s3
	s_cselect_b32 s1, s9, s2
	v_mov_b32_e32 v5, s1
	v_mov_b32_e32 v6, s0
	flat_load_dwordx4 v[5:8], v[5:6]
	s_waitcnt vmcnt(0) lgkmcnt(0)
	v_cmp_eq_f64_e32 vcc, 0, v[1:2]
	v_cmp_eq_f64_e64 s[0:1], 0, v[3:4]
	s_and_b64 s[8:9], vcc, s[0:1]
	s_mov_b64 s[0:1], -1
	s_and_saveexec_b64 s[2:3], s[8:9]
	s_cbranch_execz .LBB129_2
; %bb.1:
	v_cmp_neq_f64_e32 vcc, 1.0, v[5:6]
	v_cmp_neq_f64_e64 s[0:1], 0, v[7:8]
	s_or_b64 s[0:1], vcc, s[0:1]
	s_orn2_b64 s[0:1], s[0:1], exec
.LBB129_2:
	s_or_b64 exec, exec, s[2:3]
	s_and_saveexec_b64 s[2:3], s[0:1]
	s_cbranch_execz .LBB129_21
; %bb.3:
	s_load_dwordx2 s[0:1], s[4:5], 0x0
	v_lshrrev_b32_e32 v9, 5, v0
	v_lshl_or_b32 v9, s6, 2, v9
	s_waitcnt lgkmcnt(0)
	v_cmp_gt_i32_e32 vcc, s0, v9
	s_and_b64 exec, exec, vcc
	s_cbranch_execz .LBB129_21
; %bb.4:
	s_load_dwordx8 s[8:15], s[4:5], 0x18
	v_ashrrev_i32_e32 v10, 31, v9
	v_lshlrev_b64 v[10:11], 2, v[9:10]
	v_and_b32_e32 v0, 31, v0
	s_cmp_lg_u32 s1, 0
	s_waitcnt lgkmcnt(0)
	v_mov_b32_e32 v12, s9
	v_add_co_u32_e32 v10, vcc, s8, v10
	v_addc_co_u32_e32 v11, vcc, v12, v11, vcc
	global_load_dwordx2 v[10:11], v[10:11], off
	s_waitcnt vmcnt(0)
	v_subrev_u32_e32 v10, s16, v10
	v_subrev_u32_e32 v34, s16, v11
	v_add_u32_e32 v10, v10, v0
	v_cmp_lt_i32_e64 s[0:1], v10, v34
	s_cbranch_scc0 .LBB129_10
; %bb.5:
	v_mov_b32_e32 v24, 0
	v_mov_b32_e32 v26, 0
	;; [unrolled: 1-line block ×16, first 2 shown]
	s_and_saveexec_b64 s[6:7], s[0:1]
	s_cbranch_execz .LBB129_9
; %bb.6:
	v_mad_u64_u32 v[11:12], s[2:3], v10, 20, 16
	v_mov_b32_e32 v24, 0
	v_mov_b32_e32 v26, 0
	;; [unrolled: 1-line block ×9, first 2 shown]
	s_mov_b64 s[8:9], 0
	v_mov_b32_e32 v35, s11
	v_mov_b32_e32 v21, 0
	;; [unrolled: 1-line block ×12, first 2 shown]
.LBB129_7:                              ; =>This Inner Loop Header: Depth=1
	v_ashrrev_i32_e32 v23, 31, v22
	v_lshlrev_b64 v[38:39], 2, v[22:23]
	v_add_u32_e32 v20, -16, v11
	v_add_co_u32_e32 v38, vcc, s10, v38
	v_addc_co_u32_e32 v39, vcc, v35, v39, vcc
	v_lshlrev_b64 v[40:41], 4, v[20:21]
	global_load_dword v20, v[38:39], off
	v_mov_b32_e32 v33, v21
	v_add_co_u32_e64 v46, s[2:3], s12, v40
	v_addc_co_u32_e64 v47, vcc, v36, v41, s[2:3]
	v_add_u32_e32 v22, 32, v22
	s_waitcnt vmcnt(0)
	v_subrev_u32_e32 v20, s16, v20
	v_lshl_add_u32 v32, v20, 2, v20
	v_lshlrev_b64 v[38:39], 4, v[32:33]
	v_add_u32_e32 v20, -12, v11
	v_add_co_u32_e32 v48, vcc, s14, v38
	v_addc_co_u32_e32 v49, vcc, v37, v39, vcc
	global_load_dwordx4 v[38:41], v[46:47], off
	global_load_dwordx4 v[42:45], v[48:49], off
	s_waitcnt vmcnt(0)
	v_fma_f64 v[26:27], v[38:39], v[42:43], v[26:27]
	v_fma_f64 v[23:24], v[40:41], v[42:43], v[24:25]
	v_fma_f64 v[40:41], -v[40:41], v[44:45], v[26:27]
	v_fma_f64 v[38:39], v[38:39], v[44:45], v[23:24]
	global_load_dwordx4 v[23:26], v[46:47], off offset:16
	s_waitcnt vmcnt(0)
	v_fma_f64 v[30:31], v[23:24], v[42:43], v[30:31]
	v_fma_f64 v[27:28], v[25:26], v[42:43], v[28:29]
	v_fma_f64 v[29:30], -v[25:26], v[44:45], v[30:31]
	v_fma_f64 v[27:28], v[23:24], v[44:45], v[27:28]
	global_load_dwordx4 v[23:26], v[46:47], off offset:32
	;; [unrolled: 6-line block ×3, first 2 shown]
	s_waitcnt vmcnt(0)
	v_fma_f64 v[18:19], v[12:13], v[42:43], v[18:19]
	v_fma_f64 v[16:17], v[14:15], v[42:43], v[16:17]
	v_fma_f64 v[42:43], -v[14:15], v[44:45], v[18:19]
	v_fma_f64 v[44:45], v[12:13], v[44:45], v[16:17]
	v_lshlrev_b64 v[12:13], 4, v[20:21]
	v_add_u32_e32 v20, 1, v32
	v_add_co_u32_e32 v46, vcc, s12, v12
	v_addc_co_u32_e32 v47, vcc, v36, v13, vcc
	v_lshlrev_b64 v[12:13], 4, v[20:21]
	v_add_u32_e32 v20, -8, v11
	v_add_co_u32_e32 v48, vcc, s14, v12
	v_addc_co_u32_e32 v49, vcc, v37, v13, vcc
	global_load_dwordx4 v[12:15], v[46:47], off
	global_load_dwordx4 v[16:19], v[48:49], off
	s_waitcnt vmcnt(0)
	v_fma_f64 v[40:41], v[12:13], v[16:17], v[40:41]
	v_fma_f64 v[38:39], v[14:15], v[16:17], v[38:39]
	v_fma_f64 v[40:41], -v[14:15], v[18:19], v[40:41]
	v_fma_f64 v[38:39], v[12:13], v[18:19], v[38:39]
	global_load_dwordx4 v[12:15], v[46:47], off offset:16
	s_waitcnt vmcnt(0)
	v_fma_f64 v[29:30], v[12:13], v[16:17], v[29:30]
	v_fma_f64 v[27:28], v[14:15], v[16:17], v[27:28]
	v_fma_f64 v[29:30], -v[14:15], v[18:19], v[29:30]
	v_fma_f64 v[27:28], v[12:13], v[18:19], v[27:28]
	global_load_dwordx4 v[12:15], v[46:47], off offset:32
	;; [unrolled: 6-line block ×3, first 2 shown]
	s_waitcnt vmcnt(0)
	v_fma_f64 v[42:43], v[12:13], v[16:17], v[42:43]
	v_fma_f64 v[16:17], v[14:15], v[16:17], v[44:45]
	v_fma_f64 v[42:43], -v[14:15], v[18:19], v[42:43]
	v_fma_f64 v[44:45], v[12:13], v[18:19], v[16:17]
	v_lshlrev_b64 v[12:13], 4, v[20:21]
	v_add_u32_e32 v20, 2, v32
	v_lshlrev_b64 v[14:15], 4, v[20:21]
	v_add_co_u32_e32 v46, vcc, s12, v12
	v_addc_co_u32_e32 v47, vcc, v36, v13, vcc
	v_add_co_u32_e32 v48, vcc, s14, v14
	v_addc_co_u32_e32 v49, vcc, v37, v15, vcc
	global_load_dwordx4 v[12:15], v[46:47], off
	global_load_dwordx4 v[16:19], v[48:49], off
	v_add_u32_e32 v20, -4, v11
	s_waitcnt vmcnt(0)
	v_fma_f64 v[40:41], v[12:13], v[16:17], v[40:41]
	v_fma_f64 v[38:39], v[14:15], v[16:17], v[38:39]
	v_fma_f64 v[40:41], -v[14:15], v[18:19], v[40:41]
	v_fma_f64 v[38:39], v[12:13], v[18:19], v[38:39]
	global_load_dwordx4 v[12:15], v[46:47], off offset:16
	s_waitcnt vmcnt(0)
	v_fma_f64 v[29:30], v[12:13], v[16:17], v[29:30]
	v_fma_f64 v[27:28], v[14:15], v[16:17], v[27:28]
	v_fma_f64 v[29:30], -v[14:15], v[18:19], v[29:30]
	v_fma_f64 v[27:28], v[12:13], v[18:19], v[27:28]
	global_load_dwordx4 v[12:15], v[46:47], off offset:32
	;; [unrolled: 6-line block ×3, first 2 shown]
	s_waitcnt vmcnt(0)
	v_fma_f64 v[23:24], v[12:13], v[16:17], v[42:43]
	v_fma_f64 v[16:17], v[14:15], v[16:17], v[44:45]
	v_fma_f64 v[42:43], -v[14:15], v[18:19], v[23:24]
	v_fma_f64 v[44:45], v[12:13], v[18:19], v[16:17]
	v_lshlrev_b64 v[12:13], 4, v[20:21]
	v_add_u32_e32 v20, 3, v32
	v_lshlrev_b64 v[14:15], 4, v[20:21]
	v_add_co_u32_e32 v19, vcc, s12, v12
	v_addc_co_u32_e32 v20, vcc, v36, v13, vcc
	v_add_co_u32_e32 v16, vcc, s14, v14
	v_addc_co_u32_e32 v17, vcc, v37, v15, vcc
	global_load_dwordx4 v[12:15], v[19:20], off
	global_load_dwordx4 v[23:26], v[16:17], off
	s_waitcnt vmcnt(0)
	v_fma_f64 v[16:17], v[12:13], v[23:24], v[40:41]
	v_fma_f64 v[38:39], v[14:15], v[23:24], v[38:39]
	v_fma_f64 v[46:47], -v[14:15], v[25:26], v[16:17]
	v_fma_f64 v[52:53], v[12:13], v[25:26], v[38:39]
	global_load_dwordx4 v[12:15], v[19:20], off offset:16
	global_load_dwordx4 v[38:41], v[19:20], off offset:32
	s_waitcnt vmcnt(1)
	v_fma_f64 v[16:17], v[12:13], v[23:24], v[29:30]
	v_fma_f64 v[27:28], v[14:15], v[23:24], v[27:28]
	v_fma_f64 v[17:18], -v[14:15], v[25:26], v[16:17]
	v_fma_f64 v[28:29], v[12:13], v[25:26], v[27:28]
	s_waitcnt vmcnt(0)
	v_fma_f64 v[12:13], v[38:39], v[23:24], v[48:49]
	v_fma_f64 v[15:16], v[40:41], v[23:24], v[50:51]
	v_fma_f64 v[13:14], -v[40:41], v[25:26], v[12:13]
	v_fma_f64 v[15:16], v[38:39], v[25:26], v[15:16]
	global_load_dwordx4 v[38:41], v[19:20], off offset:48
	v_mov_b32_e32 v12, v21
	s_waitcnt vmcnt(0)
	v_fma_f64 v[19:20], v[38:39], v[23:24], v[42:43]
	v_fma_f64 v[23:24], v[40:41], v[23:24], v[44:45]
	v_fma_f64 v[48:49], -v[40:41], v[25:26], v[19:20]
	v_lshlrev_b64 v[19:20], 4, v[11:12]
	v_fma_f64 v[50:51], v[38:39], v[25:26], v[23:24]
	v_add_co_u32_e32 v54, vcc, s12, v19
	v_addc_co_u32_e32 v55, vcc, v36, v20, vcc
	v_add_u32_e32 v20, 4, v32
	v_lshlrev_b64 v[19:20], 4, v[20:21]
	global_load_dwordx4 v[23:26], v[54:55], off
	global_load_dwordx4 v[42:45], v[54:55], off offset:16
	v_add_co_u32_e32 v19, vcc, s14, v19
	v_addc_co_u32_e32 v20, vcc, v37, v20, vcc
	global_load_dwordx4 v[38:41], v[19:20], off
	v_cmp_ge_i32_e32 vcc, v22, v34
	s_or_b64 s[8:9], vcc, s[8:9]
	v_add_u32_e32 v11, 0x280, v11
	s_waitcnt vmcnt(0)
	v_fma_f64 v[19:20], v[23:24], v[38:39], v[46:47]
	v_fma_f64 v[30:31], v[25:26], v[38:39], v[52:53]
	;; [unrolled: 1-line block ×3, first 2 shown]
	v_fma_f64 v[26:27], -v[25:26], v[40:41], v[19:20]
	v_fma_f64 v[19:20], v[44:45], v[38:39], v[28:29]
	v_fma_f64 v[24:25], v[23:24], v[40:41], v[30:31]
	v_fma_f64 v[30:31], -v[44:45], v[40:41], v[17:18]
	v_fma_f64 v[28:29], v[42:43], v[40:41], v[19:20]
	global_load_dwordx4 v[17:20], v[54:55], off offset:32
	s_waitcnt vmcnt(0)
	v_fma_f64 v[12:13], v[17:18], v[38:39], v[13:14]
	v_fma_f64 v[32:33], v[19:20], v[38:39], v[15:16]
	v_fma_f64 v[14:15], -v[19:20], v[40:41], v[12:13]
	v_fma_f64 v[12:13], v[17:18], v[40:41], v[32:33]
	global_load_dwordx4 v[16:19], v[54:55], off offset:48
	s_waitcnt vmcnt(0)
	v_fma_f64 v[32:33], v[16:17], v[38:39], v[48:49]
	v_fma_f64 v[38:39], v[18:19], v[38:39], v[50:51]
	v_fma_f64 v[18:19], -v[18:19], v[40:41], v[32:33]
	v_fma_f64 v[16:17], v[16:17], v[40:41], v[38:39]
	s_andn2_b64 exec, exec, s[8:9]
	s_cbranch_execnz .LBB129_7
; %bb.8:
	s_or_b64 exec, exec, s[8:9]
.LBB129_9:
	s_or_b64 exec, exec, s[6:7]
	s_cbranch_execz .LBB129_11
	s_branch .LBB129_16
.LBB129_10:
                                        ; implicit-def: $vgpr24_vgpr25
                                        ; implicit-def: $vgpr26_vgpr27
                                        ; implicit-def: $vgpr18_vgpr19
                                        ; implicit-def: $vgpr16_vgpr17
                                        ; implicit-def: $vgpr14_vgpr15
                                        ; implicit-def: $vgpr12_vgpr13
                                        ; implicit-def: $vgpr30_vgpr31
                                        ; implicit-def: $vgpr28_vgpr29
.LBB129_11:
	v_mov_b32_e32 v24, 0
	v_mov_b32_e32 v26, 0
	;; [unrolled: 1-line block ×16, first 2 shown]
	s_and_saveexec_b64 s[2:3], s[0:1]
	s_cbranch_execz .LBB129_15
; %bb.12:
	v_mad_u64_u32 v[20:21], s[0:1], v10, 20, 19
	v_mov_b32_e32 v24, 0
	v_mov_b32_e32 v26, 0
	;; [unrolled: 1-line block ×9, first 2 shown]
	s_mov_b64 s[0:1], 0
	v_mov_b32_e32 v35, s11
	v_mov_b32_e32 v23, 0
	;; [unrolled: 1-line block ×11, first 2 shown]
.LBB129_13:                             ; =>This Inner Loop Header: Depth=1
	v_ashrrev_i32_e32 v11, 31, v10
	v_lshlrev_b64 v[38:39], 2, v[10:11]
	v_subrev_u32_e32 v22, 19, v20
	v_lshlrev_b64 v[21:22], 4, v[22:23]
	v_add_co_u32_e32 v46, vcc, s10, v38
	v_addc_co_u32_e32 v47, vcc, v35, v39, vcc
	v_add_co_u32_e32 v52, vcc, s12, v21
	v_addc_co_u32_e32 v53, vcc, v36, v22, vcc
	global_load_dword v11, v[46:47], off
	global_load_dwordx4 v[38:41], v[52:53], off
	global_load_dwordx4 v[42:45], v[52:53], off offset:16
	v_mov_b32_e32 v33, v23
	v_add_u32_e32 v50, -14, v20
	v_mov_b32_e32 v51, v23
	v_add_u32_e32 v10, 32, v10
	s_waitcnt vmcnt(2)
	v_subrev_u32_e32 v11, s16, v11
	v_lshl_add_u32 v32, v11, 2, v11
	v_lshlrev_b64 v[21:22], 4, v[32:33]
	v_add_co_u32_e32 v21, vcc, s14, v21
	v_addc_co_u32_e32 v22, vcc, v37, v22, vcc
	global_load_dwordx4 v[46:49], v[21:22], off
	s_waitcnt vmcnt(0)
	v_fma_f64 v[24:25], v[40:41], v[46:47], v[24:25]
	v_fma_f64 v[21:22], v[38:39], v[46:47], v[26:27]
	;; [unrolled: 1-line block ×3, first 2 shown]
	v_lshlrev_b64 v[24:25], 4, v[50:51]
	v_fma_f64 v[54:55], -v[40:41], v[48:49], v[21:22]
	v_add_u32_e32 v21, -9, v20
	v_mov_b32_e32 v22, v23
	v_lshlrev_b64 v[21:22], 4, v[21:22]
	v_add_co_u32_e32 v50, vcc, s12, v24
	v_addc_co_u32_e32 v51, vcc, v36, v25, vcc
	v_add_co_u32_e32 v21, vcc, s12, v21
	v_addc_co_u32_e32 v22, vcc, v36, v22, vcc
	global_load_dwordx4 v[24:27], v[50:51], off
	global_load_dwordx4 v[38:41], v[21:22], off
	s_waitcnt vmcnt(1)
	v_fma_f64 v[21:22], v[24:25], v[46:47], v[30:31]
	v_fma_f64 v[28:29], v[26:27], v[46:47], v[28:29]
	s_waitcnt vmcnt(0)
	v_fma_f64 v[14:15], v[38:39], v[46:47], v[14:15]
	v_fma_f64 v[11:12], v[40:41], v[46:47], v[12:13]
	v_fma_f64 v[30:31], -v[26:27], v[48:49], v[21:22]
	v_add_u32_e32 v21, -4, v20
	v_mov_b32_e32 v22, v23
	v_lshlrev_b64 v[21:22], 4, v[21:22]
	v_fma_f64 v[28:29], v[24:25], v[48:49], v[28:29]
	v_add_co_u32_e32 v24, vcc, s12, v21
	v_addc_co_u32_e32 v25, vcc, v36, v22, vcc
	v_fma_f64 v[40:41], -v[40:41], v[48:49], v[14:15]
	v_fma_f64 v[38:39], v[38:39], v[48:49], v[11:12]
	global_load_dwordx4 v[11:14], v[24:25], off
	v_add_u32_e32 v22, 1, v32
	v_lshlrev_b64 v[24:25], 4, v[22:23]
	v_add_u32_e32 v22, -13, v20
	v_mov_b32_e32 v21, v23
	s_waitcnt vmcnt(0)
	v_fma_f64 v[18:19], v[11:12], v[46:47], v[18:19]
	v_fma_f64 v[15:16], v[13:14], v[46:47], v[16:17]
	v_fma_f64 v[46:47], -v[13:14], v[48:49], v[18:19]
	v_fma_f64 v[48:49], v[11:12], v[48:49], v[15:16]
	v_add_co_u32_e32 v11, vcc, s14, v24
	v_addc_co_u32_e32 v12, vcc, v37, v25, vcc
	global_load_dwordx4 v[11:14], v[11:12], off
	v_lshlrev_b64 v[15:16], 4, v[22:23]
	v_add_u32_e32 v22, -8, v20
	v_lshlrev_b64 v[17:18], 4, v[22:23]
	v_add_co_u32_e32 v15, vcc, s12, v15
	v_addc_co_u32_e32 v16, vcc, v36, v16, vcc
	v_add_co_u32_e32 v24, vcc, s12, v17
	v_addc_co_u32_e32 v25, vcc, v36, v18, vcc
	global_load_dwordx4 v[15:18], v[15:16], off
	v_add_u32_e32 v22, -3, v20
	s_waitcnt vmcnt(1)
	v_fma_f64 v[26:27], v[42:43], v[11:12], v[54:55]
	v_fma_f64 v[50:51], v[44:45], v[11:12], v[56:57]
	v_fma_f64 v[44:45], -v[44:45], v[13:14], v[26:27]
	global_load_dwordx4 v[24:27], v[24:25], off
	v_fma_f64 v[42:43], v[42:43], v[13:14], v[50:51]
	s_waitcnt vmcnt(1)
	v_fma_f64 v[30:31], v[15:16], v[11:12], v[30:31]
	v_fma_f64 v[28:29], v[17:18], v[11:12], v[28:29]
	v_fma_f64 v[50:51], -v[17:18], v[13:14], v[30:31]
	v_fma_f64 v[54:55], v[15:16], v[13:14], v[28:29]
	global_load_dwordx4 v[15:18], v[52:53], off offset:32
	global_load_dwordx4 v[28:31], v[52:53], off offset:48
	s_waitcnt vmcnt(2)
	v_fma_f64 v[38:39], v[26:27], v[11:12], v[38:39]
	v_fma_f64 v[40:41], v[24:25], v[11:12], v[40:41]
	;; [unrolled: 1-line block ×3, first 2 shown]
	v_lshlrev_b64 v[24:25], 4, v[22:23]
	v_fma_f64 v[40:41], -v[26:27], v[13:14], v[40:41]
	v_add_co_u32_e32 v24, vcc, s12, v24
	v_addc_co_u32_e32 v25, vcc, v36, v25, vcc
	global_load_dwordx4 v[24:27], v[24:25], off
	v_add_u32_e32 v22, 2, v32
	s_waitcnt vmcnt(0)
	v_fma_f64 v[46:47], v[24:25], v[11:12], v[46:47]
	v_fma_f64 v[11:12], v[26:27], v[11:12], v[48:49]
	v_fma_f64 v[46:47], -v[26:27], v[13:14], v[46:47]
	v_fma_f64 v[48:49], v[24:25], v[13:14], v[11:12]
	v_lshlrev_b64 v[11:12], 4, v[22:23]
	v_add_u32_e32 v22, -12, v20
	v_lshlrev_b64 v[13:14], 4, v[22:23]
	v_add_co_u32_e32 v11, vcc, s14, v11
	v_addc_co_u32_e32 v12, vcc, v37, v12, vcc
	v_add_co_u32_e32 v26, vcc, s12, v13
	v_addc_co_u32_e32 v27, vcc, v36, v14, vcc
	global_load_dwordx4 v[11:14], v[11:12], off
	v_add_u32_e32 v22, -7, v20
	v_lshlrev_b64 v[24:25], 4, v[22:23]
	v_add_u32_e32 v22, -2, v20
	v_add_co_u32_e32 v24, vcc, s12, v24
	v_addc_co_u32_e32 v25, vcc, v36, v25, vcc
	s_waitcnt vmcnt(0)
	v_fma_f64 v[44:45], v[15:16], v[11:12], v[44:45]
	v_fma_f64 v[42:43], v[17:18], v[11:12], v[42:43]
	v_fma_f64 v[44:45], -v[17:18], v[13:14], v[44:45]
	v_fma_f64 v[42:43], v[15:16], v[13:14], v[42:43]
	global_load_dwordx4 v[15:18], v[26:27], off
	s_waitcnt vmcnt(0)
	v_fma_f64 v[52:53], v[17:18], v[11:12], v[54:55]
	global_load_dwordx4 v[24:27], v[24:25], off
	v_fma_f64 v[50:51], v[15:16], v[11:12], v[50:51]
	v_fma_f64 v[52:53], v[15:16], v[13:14], v[52:53]
	v_lshlrev_b64 v[15:16], 4, v[20:21]
	v_fma_f64 v[50:51], -v[17:18], v[13:14], v[50:51]
	v_add_co_u32_e32 v15, vcc, s12, v15
	v_addc_co_u32_e32 v16, vcc, v36, v16, vcc
	global_load_dwordx4 v[16:19], v[15:16], off
	s_waitcnt vmcnt(1)
	v_fma_f64 v[38:39], v[26:27], v[11:12], v[38:39]
	v_fma_f64 v[40:41], v[24:25], v[11:12], v[40:41]
	;; [unrolled: 1-line block ×3, first 2 shown]
	v_lshlrev_b64 v[24:25], 4, v[22:23]
	v_fma_f64 v[40:41], -v[26:27], v[13:14], v[40:41]
	v_add_co_u32_e32 v24, vcc, s12, v24
	v_addc_co_u32_e32 v25, vcc, v36, v25, vcc
	global_load_dwordx4 v[24:27], v[24:25], off
	v_add_u32_e32 v22, 3, v32
	s_waitcnt vmcnt(0)
	v_fma_f64 v[46:47], v[24:25], v[11:12], v[46:47]
	v_fma_f64 v[11:12], v[26:27], v[11:12], v[48:49]
	v_fma_f64 v[46:47], -v[26:27], v[13:14], v[46:47]
	v_fma_f64 v[48:49], v[24:25], v[13:14], v[11:12]
	v_lshlrev_b64 v[11:12], 4, v[22:23]
	v_add_u32_e32 v22, -11, v20
	v_lshlrev_b64 v[13:14], 4, v[22:23]
	v_add_co_u32_e32 v11, vcc, s14, v11
	v_addc_co_u32_e32 v12, vcc, v37, v12, vcc
	v_add_co_u32_e32 v24, vcc, s12, v13
	v_addc_co_u32_e32 v25, vcc, v36, v14, vcc
	global_load_dwordx4 v[11:14], v[11:12], off
	v_add_u32_e32 v22, -6, v20
	v_lshlrev_b64 v[54:55], 4, v[22:23]
	v_add_u32_e32 v22, -1, v20
	s_waitcnt vmcnt(0)
	v_fma_f64 v[26:27], v[28:29], v[11:12], v[44:45]
	v_fma_f64 v[42:43], v[30:31], v[11:12], v[42:43]
	v_fma_f64 v[44:45], -v[30:31], v[13:14], v[26:27]
	global_load_dwordx4 v[24:27], v[24:25], off
	v_fma_f64 v[42:43], v[28:29], v[13:14], v[42:43]
	v_add_co_u32_e32 v28, vcc, s12, v54
	v_addc_co_u32_e32 v29, vcc, v36, v55, vcc
	global_load_dwordx4 v[28:31], v[28:29], off
	s_waitcnt vmcnt(1)
	v_fma_f64 v[50:51], v[24:25], v[11:12], v[50:51]
	v_fma_f64 v[52:53], v[26:27], v[11:12], v[52:53]
	s_waitcnt vmcnt(0)
	v_fma_f64 v[38:39], v[30:31], v[11:12], v[38:39]
	v_fma_f64 v[50:51], -v[26:27], v[13:14], v[50:51]
	v_fma_f64 v[26:27], v[28:29], v[11:12], v[40:41]
	v_fma_f64 v[52:53], v[24:25], v[13:14], v[52:53]
	v_lshlrev_b64 v[24:25], 4, v[22:23]
	v_add_u32_e32 v22, -15, v20
	v_add_co_u32_e32 v24, vcc, s12, v24
	v_addc_co_u32_e32 v25, vcc, v36, v25, vcc
	v_fma_f64 v[56:57], -v[30:31], v[13:14], v[26:27]
	global_load_dwordx4 v[24:27], v[24:25], off
	v_lshlrev_b64 v[54:55], 4, v[22:23]
	v_fma_f64 v[58:59], v[28:29], v[13:14], v[38:39]
	v_add_co_u32_e32 v28, vcc, s12, v54
	v_addc_co_u32_e32 v29, vcc, v36, v55, vcc
	global_load_dwordx4 v[28:31], v[28:29], off
	v_add_u32_e32 v22, 4, v32
	v_lshlrev_b64 v[32:33], 4, v[22:23]
	v_add_u32_e32 v22, -10, v20
	s_waitcnt vmcnt(1)
	v_fma_f64 v[38:39], v[24:25], v[11:12], v[46:47]
	v_fma_f64 v[11:12], v[26:27], v[11:12], v[48:49]
	v_fma_f64 v[46:47], -v[26:27], v[13:14], v[38:39]
	v_fma_f64 v[48:49], v[24:25], v[13:14], v[11:12]
	v_add_co_u32_e32 v13, vcc, s14, v32
	v_addc_co_u32_e32 v14, vcc, v37, v33, vcc
	global_load_dwordx4 v[38:41], v[13:14], off
	v_lshlrev_b64 v[11:12], 4, v[22:23]
	v_add_u32_e32 v22, -5, v20
	v_lshlrev_b64 v[21:22], 4, v[22:23]
	v_add_co_u32_e32 v11, vcc, s12, v11
	v_addc_co_u32_e32 v12, vcc, v36, v12, vcc
	v_add_co_u32_e32 v21, vcc, s12, v21
	v_addc_co_u32_e32 v22, vcc, v36, v22, vcc
	global_load_dwordx4 v[11:14], v[11:12], off
	v_cmp_ge_i32_e32 vcc, v10, v34
	s_or_b64 s[0:1], vcc, s[0:1]
	v_add_u32_e32 v20, 0x280, v20
	s_waitcnt vmcnt(1)
	v_fma_f64 v[24:25], v[28:29], v[38:39], v[44:45]
	v_fma_f64 v[32:33], v[30:31], v[38:39], v[42:43]
	global_load_dwordx4 v[42:45], v[21:22], off
	v_fma_f64 v[46:47], v[16:17], v[38:39], v[46:47]
	v_fma_f64 v[26:27], -v[30:31], v[40:41], v[24:25]
	v_fma_f64 v[24:25], v[28:29], v[40:41], v[32:33]
	s_waitcnt vmcnt(1)
	v_fma_f64 v[21:22], v[11:12], v[38:39], v[50:51]
	v_fma_f64 v[28:29], v[13:14], v[38:39], v[52:53]
	v_fma_f64 v[30:31], -v[13:14], v[40:41], v[21:22]
	v_fma_f64 v[28:29], v[11:12], v[40:41], v[28:29]
	s_waitcnt vmcnt(0)
	v_fma_f64 v[32:33], v[42:43], v[38:39], v[56:57]
	v_fma_f64 v[50:51], v[44:45], v[38:39], v[58:59]
	;; [unrolled: 1-line block ×3, first 2 shown]
	v_fma_f64 v[18:19], -v[18:19], v[40:41], v[46:47]
	v_fma_f64 v[14:15], -v[44:45], v[40:41], v[32:33]
	v_fma_f64 v[12:13], v[42:43], v[40:41], v[50:51]
	v_fma_f64 v[16:17], v[16:17], v[40:41], v[38:39]
	s_andn2_b64 exec, exec, s[0:1]
	s_cbranch_execnz .LBB129_13
; %bb.14:
	s_or_b64 exec, exec, s[0:1]
.LBB129_15:
	s_or_b64 exec, exec, s[2:3]
.LBB129_16:
	v_mov_b32_dpp v10, v26 row_shr:1 row_mask:0xf bank_mask:0xf
	v_mov_b32_dpp v11, v27 row_shr:1 row_mask:0xf bank_mask:0xf
	v_add_f64 v[10:11], v[26:27], v[10:11]
	v_mov_b32_dpp v20, v24 row_shr:1 row_mask:0xf bank_mask:0xf
	v_mov_b32_dpp v21, v25 row_shr:1 row_mask:0xf bank_mask:0xf
	v_add_f64 v[20:21], v[24:25], v[20:21]
	v_mov_b32_dpp v22, v30 row_shr:1 row_mask:0xf bank_mask:0xf
	v_cmp_eq_u32_e32 vcc, 31, v0
	v_mov_b32_dpp v23, v10 row_shr:2 row_mask:0xf bank_mask:0xf
	v_mov_b32_dpp v24, v11 row_shr:2 row_mask:0xf bank_mask:0xf
	v_add_f64 v[10:11], v[10:11], v[23:24]
	v_mov_b32_dpp v23, v31 row_shr:1 row_mask:0xf bank_mask:0xf
	v_mov_b32_dpp v25, v20 row_shr:2 row_mask:0xf bank_mask:0xf
	;; [unrolled: 1-line block ×4, first 2 shown]
	v_add_f64 v[22:23], v[30:31], v[22:23]
	v_add_f64 v[20:21], v[20:21], v[25:26]
	v_mov_b32_dpp v25, v29 row_shr:1 row_mask:0xf bank_mask:0xf
	v_add_f64 v[24:25], v[28:29], v[24:25]
	v_mov_b32_dpp v26, v10 row_shr:4 row_mask:0xf bank_mask:0xe
	v_mov_b32_dpp v27, v11 row_shr:4 row_mask:0xf bank_mask:0xe
	v_add_f64 v[10:11], v[10:11], v[26:27]
	v_mov_b32_dpp v26, v22 row_shr:2 row_mask:0xf bank_mask:0xf
	v_mov_b32_dpp v27, v23 row_shr:2 row_mask:0xf bank_mask:0xf
	;; [unrolled: 1-line block ×4, first 2 shown]
	v_add_f64 v[20:21], v[20:21], v[28:29]
	v_add_f64 v[22:23], v[22:23], v[26:27]
	v_mov_b32_dpp v27, v24 row_shr:2 row_mask:0xf bank_mask:0xf
	v_mov_b32_dpp v28, v25 row_shr:2 row_mask:0xf bank_mask:0xf
	v_add_f64 v[24:25], v[24:25], v[27:28]
	v_mov_b32_dpp v26, v10 row_shr:8 row_mask:0xf bank_mask:0xc
	v_mov_b32_dpp v27, v11 row_shr:8 row_mask:0xf bank_mask:0xc
	;; [unrolled: 3-line block ×3, first 2 shown]
	v_mov_b32_dpp v29, v23 row_shr:4 row_mask:0xf bank_mask:0xe
	v_add_f64 v[22:23], v[22:23], v[28:29]
	v_mov_b32_dpp v28, v24 row_shr:4 row_mask:0xf bank_mask:0xe
	v_mov_b32_dpp v29, v25 row_shr:4 row_mask:0xf bank_mask:0xe
	v_add_f64 v[24:25], v[24:25], v[28:29]
	v_mov_b32_dpp v28, v14 row_shr:1 row_mask:0xf bank_mask:0xf
	;; [unrolled: 3-line block ×3, first 2 shown]
	v_add_f64 v[14:15], v[20:21], v[26:27]
	v_mov_b32_dpp v20, v22 row_shr:8 row_mask:0xf bank_mask:0xc
	v_mov_b32_dpp v21, v23 row_shr:8 row_mask:0xf bank_mask:0xc
	v_add_f64 v[20:21], v[22:23], v[20:21]
	v_mov_b32_dpp v22, v24 row_shr:8 row_mask:0xf bank_mask:0xc
	v_mov_b32_dpp v23, v25 row_shr:8 row_mask:0xf bank_mask:0xc
	;; [unrolled: 3-line block ×3, first 2 shown]
	v_add_f64 v[32:33], v[28:29], v[24:25]
	v_mov_b32_dpp v30, v10 row_bcast:15 row_mask:0xa bank_mask:0xf
	v_mov_b32_dpp v31, v11 row_bcast:15 row_mask:0xa bank_mask:0xf
	;; [unrolled: 1-line block ×7, first 2 shown]
	v_mov_b32_dpp v34, v32 row_shr:4 row_mask:0xf bank_mask:0xe
	v_mov_b32_dpp v35, v33 row_shr:4 row_mask:0xf bank_mask:0xe
	v_add_f64 v[32:33], v[32:33], v[34:35]
	v_mov_b32_dpp v34, v12 row_shr:1 row_mask:0xf bank_mask:0xf
	v_mov_b32_dpp v35, v13 row_shr:1 row_mask:0xf bank_mask:0xf
	v_add_f64 v[12:13], v[12:13], v[34:35]
	;; [unrolled: 3-line block ×4, first 2 shown]
	v_mov_b32_dpp v34, v32 row_shr:8 row_mask:0xf bank_mask:0xc
	v_mov_b32_dpp v35, v12 row_shr:2 row_mask:0xf bank_mask:0xf
	;; [unrolled: 1-line block ×3, first 2 shown]
	v_add_f64 v[12:13], v[12:13], v[35:36]
	v_mov_b32_dpp v35, v18 row_shr:2 row_mask:0xf bank_mask:0xf
	v_mov_b32_dpp v36, v19 row_shr:2 row_mask:0xf bank_mask:0xf
	v_add_f64 v[18:19], v[18:19], v[35:36]
	v_mov_b32_dpp v35, v16 row_shr:2 row_mask:0xf bank_mask:0xf
	v_mov_b32_dpp v36, v17 row_shr:2 row_mask:0xf bank_mask:0xf
	;; [unrolled: 3-line block ×3, first 2 shown]
	v_mov_b32_dpp v37, v13 row_shr:4 row_mask:0xf bank_mask:0xe
	v_add_f64 v[36:37], v[12:13], v[36:37]
	v_mov_b32_dpp v12, v18 row_shr:4 row_mask:0xf bank_mask:0xe
	v_mov_b32_dpp v13, v19 row_shr:4 row_mask:0xf bank_mask:0xe
	v_add_f64 v[38:39], v[18:19], v[12:13]
	v_mov_b32_dpp v12, v16 row_shr:4 row_mask:0xf bank_mask:0xe
	v_mov_b32_dpp v13, v17 row_shr:4 row_mask:0xf bank_mask:0xe
	v_add_f64 v[16:17], v[16:17], v[12:13]
	v_add_f64 v[12:13], v[32:33], v[34:35]
	v_mov_b32_dpp v18, v36 row_shr:8 row_mask:0xf bank_mask:0xc
	v_mov_b32_dpp v19, v37 row_shr:8 row_mask:0xf bank_mask:0xc
	v_add_f64 v[18:19], v[36:37], v[18:19]
	v_mov_b32_dpp v32, v38 row_shr:8 row_mask:0xf bank_mask:0xc
	v_mov_b32_dpp v33, v39 row_shr:8 row_mask:0xf bank_mask:0xc
	;; [unrolled: 3-line block ×3, first 2 shown]
	v_add_f64 v[32:33], v[16:17], v[32:33]
	v_mov_b32_dpp v27, v23 row_bcast:15 row_mask:0xa bank_mask:0xf
	v_mov_b32_dpp v42, v12 row_bcast:15 row_mask:0xa bank_mask:0xf
	v_mov_b32_dpp v43, v13 row_bcast:15 row_mask:0xa bank_mask:0xf
	v_mov_b32_dpp v40, v18 row_bcast:15 row_mask:0xa bank_mask:0xf
	v_mov_b32_dpp v41, v19 row_bcast:15 row_mask:0xa bank_mask:0xf
	v_mov_b32_dpp v38, v34 row_bcast:15 row_mask:0xa bank_mask:0xf
	v_mov_b32_dpp v39, v35 row_bcast:15 row_mask:0xa bank_mask:0xf
	v_mov_b32_dpp v36, v32 row_bcast:15 row_mask:0xa bank_mask:0xf
	v_mov_b32_dpp v37, v33 row_bcast:15 row_mask:0xa bank_mask:0xf
	s_and_b64 exec, exec, vcc
	s_cbranch_execz .LBB129_21
; %bb.17:
	v_cmp_eq_f64_e32 vcc, 0, v[5:6]
	v_cmp_eq_f64_e64 s[0:1], 0, v[7:8]
	v_add_f64 v[16:17], v[10:11], v[30:31]
	v_add_f64 v[24:25], v[14:15], v[24:25]
	;; [unrolled: 1-line block ×8, first 2 shown]
	s_load_dwordx2 s[2:3], s[4:5], 0x48
	s_and_b64 s[0:1], vcc, s[0:1]
	s_and_saveexec_b64 s[4:5], s[0:1]
	s_xor_b64 s[0:1], exec, s[4:5]
	s_cbranch_execz .LBB129_19
; %bb.18:
	v_mul_f64 v[5:6], v[24:25], -v[3:4]
	v_mul_f64 v[7:8], v[1:2], v[24:25]
	v_mul_f64 v[26:27], v[22:23], -v[3:4]
	v_mul_f64 v[22:23], v[1:2], v[22:23]
	;; [unrolled: 2-line block ×4, first 2 shown]
	v_fma_f64 v[5:6], v[1:2], v[16:17], v[5:6]
	v_fma_f64 v[7:8], v[3:4], v[16:17], v[7:8]
	;; [unrolled: 1-line block ×4, first 2 shown]
	v_lshlrev_b32_e32 v24, 2, v9
	v_fma_f64 v[9:10], v[1:2], v[12:13], v[28:29]
	v_fma_f64 v[11:12], v[3:4], v[12:13], v[30:31]
	v_ashrrev_i32_e32 v25, 31, v24
	v_fma_f64 v[0:1], v[1:2], v[14:15], v[32:33]
	v_fma_f64 v[2:3], v[3:4], v[14:15], v[20:21]
	v_lshlrev_b64 v[24:25], 4, v[24:25]
	s_waitcnt lgkmcnt(0)
	v_mov_b32_e32 v34, s3
	v_add_co_u32_e32 v13, vcc, s2, v24
	v_addc_co_u32_e32 v14, vcc, v34, v25, vcc
	global_store_dwordx4 v[13:14], v[5:8], off
	global_store_dwordx4 v[13:14], v[16:19], off offset:16
	global_store_dwordx4 v[13:14], v[9:12], off offset:32
	;; [unrolled: 1-line block ×3, first 2 shown]
                                        ; implicit-def: $vgpr9
                                        ; implicit-def: $vgpr16_vgpr17
                                        ; implicit-def: $vgpr24_vgpr25
                                        ; implicit-def: $vgpr10_vgpr11
                                        ; implicit-def: $vgpr22_vgpr23
                                        ; implicit-def: $vgpr12_vgpr13
                                        ; implicit-def: $vgpr18_vgpr19
                                        ; implicit-def: $vgpr14_vgpr15
                                        ; implicit-def: $vgpr20_vgpr21
                                        ; implicit-def: $vgpr7_vgpr8
                                        ; implicit-def: $vgpr3_vgpr4
.LBB129_19:
	s_andn2_saveexec_b64 s[0:1], s[0:1]
	s_cbranch_execz .LBB129_21
; %bb.20:
	v_lshlrev_b32_e32 v26, 2, v9
	v_ashrrev_i32_e32 v27, 31, v26
	v_lshlrev_b64 v[26:27], 4, v[26:27]
	s_waitcnt lgkmcnt(0)
	v_mov_b32_e32 v0, s3
	v_add_co_u32_e32 v42, vcc, s2, v26
	v_addc_co_u32_e32 v43, vcc, v0, v27, vcc
	global_load_dwordx4 v[26:29], v[42:43], off
	global_load_dwordx4 v[30:33], v[42:43], off offset:16
	global_load_dwordx4 v[34:37], v[42:43], off offset:32
	;; [unrolled: 1-line block ×3, first 2 shown]
	v_mul_f64 v[44:45], v[24:25], -v[3:4]
	v_mul_f64 v[24:25], v[1:2], v[24:25]
	v_mul_f64 v[46:47], v[22:23], -v[3:4]
	v_mul_f64 v[22:23], v[1:2], v[22:23]
	;; [unrolled: 2-line block ×4, first 2 shown]
	v_fma_f64 v[44:45], v[1:2], v[16:17], v[44:45]
	v_fma_f64 v[16:17], v[3:4], v[16:17], v[24:25]
	;; [unrolled: 1-line block ×8, first 2 shown]
	s_waitcnt vmcnt(3)
	v_fma_f64 v[13:14], v[5:6], v[26:27], v[44:45]
	v_fma_f64 v[15:16], v[7:8], v[26:27], v[16:17]
	s_waitcnt vmcnt(2)
	v_fma_f64 v[17:18], v[5:6], v[30:31], v[24:25]
	v_fma_f64 v[19:20], v[7:8], v[30:31], v[9:10]
	;; [unrolled: 3-line block ×4, first 2 shown]
	v_fma_f64 v[0:1], -v[7:8], v[28:29], v[13:14]
	v_fma_f64 v[2:3], v[5:6], v[28:29], v[15:16]
	v_fma_f64 v[9:10], -v[7:8], v[32:33], v[17:18]
	v_fma_f64 v[11:12], v[5:6], v[32:33], v[19:20]
	;; [unrolled: 2-line block ×4, first 2 shown]
	global_store_dwordx4 v[42:43], v[0:3], off
	global_store_dwordx4 v[42:43], v[9:12], off offset:16
	global_store_dwordx4 v[42:43], v[13:16], off offset:32
	global_store_dwordx4 v[42:43], v[17:20], off offset:48
.LBB129_21:
	s_endpgm
	.section	.rodata,"a",@progbits
	.p2align	6, 0x0
	.amdhsa_kernel _ZN9rocsparseL19gebsrmvn_4xn_kernelILj128ELj5ELj32E21rocsparse_complex_numIdEEEvi20rocsparse_direction_NS_24const_host_device_scalarIT2_EEPKiS8_PKS5_SA_S6_PS5_21rocsparse_index_base_b
		.amdhsa_group_segment_fixed_size 0
		.amdhsa_private_segment_fixed_size 0
		.amdhsa_kernarg_size 88
		.amdhsa_user_sgpr_count 6
		.amdhsa_user_sgpr_private_segment_buffer 1
		.amdhsa_user_sgpr_dispatch_ptr 0
		.amdhsa_user_sgpr_queue_ptr 0
		.amdhsa_user_sgpr_kernarg_segment_ptr 1
		.amdhsa_user_sgpr_dispatch_id 0
		.amdhsa_user_sgpr_flat_scratch_init 0
		.amdhsa_user_sgpr_private_segment_size 0
		.amdhsa_uses_dynamic_stack 0
		.amdhsa_system_sgpr_private_segment_wavefront_offset 0
		.amdhsa_system_sgpr_workgroup_id_x 1
		.amdhsa_system_sgpr_workgroup_id_y 0
		.amdhsa_system_sgpr_workgroup_id_z 0
		.amdhsa_system_sgpr_workgroup_info 0
		.amdhsa_system_vgpr_workitem_id 0
		.amdhsa_next_free_vgpr 60
		.amdhsa_next_free_sgpr 18
		.amdhsa_reserve_vcc 1
		.amdhsa_reserve_flat_scratch 0
		.amdhsa_float_round_mode_32 0
		.amdhsa_float_round_mode_16_64 0
		.amdhsa_float_denorm_mode_32 3
		.amdhsa_float_denorm_mode_16_64 3
		.amdhsa_dx10_clamp 1
		.amdhsa_ieee_mode 1
		.amdhsa_fp16_overflow 0
		.amdhsa_exception_fp_ieee_invalid_op 0
		.amdhsa_exception_fp_denorm_src 0
		.amdhsa_exception_fp_ieee_div_zero 0
		.amdhsa_exception_fp_ieee_overflow 0
		.amdhsa_exception_fp_ieee_underflow 0
		.amdhsa_exception_fp_ieee_inexact 0
		.amdhsa_exception_int_div_zero 0
	.end_amdhsa_kernel
	.section	.text._ZN9rocsparseL19gebsrmvn_4xn_kernelILj128ELj5ELj32E21rocsparse_complex_numIdEEEvi20rocsparse_direction_NS_24const_host_device_scalarIT2_EEPKiS8_PKS5_SA_S6_PS5_21rocsparse_index_base_b,"axG",@progbits,_ZN9rocsparseL19gebsrmvn_4xn_kernelILj128ELj5ELj32E21rocsparse_complex_numIdEEEvi20rocsparse_direction_NS_24const_host_device_scalarIT2_EEPKiS8_PKS5_SA_S6_PS5_21rocsparse_index_base_b,comdat
.Lfunc_end129:
	.size	_ZN9rocsparseL19gebsrmvn_4xn_kernelILj128ELj5ELj32E21rocsparse_complex_numIdEEEvi20rocsparse_direction_NS_24const_host_device_scalarIT2_EEPKiS8_PKS5_SA_S6_PS5_21rocsparse_index_base_b, .Lfunc_end129-_ZN9rocsparseL19gebsrmvn_4xn_kernelILj128ELj5ELj32E21rocsparse_complex_numIdEEEvi20rocsparse_direction_NS_24const_host_device_scalarIT2_EEPKiS8_PKS5_SA_S6_PS5_21rocsparse_index_base_b
                                        ; -- End function
	.set _ZN9rocsparseL19gebsrmvn_4xn_kernelILj128ELj5ELj32E21rocsparse_complex_numIdEEEvi20rocsparse_direction_NS_24const_host_device_scalarIT2_EEPKiS8_PKS5_SA_S6_PS5_21rocsparse_index_base_b.num_vgpr, 60
	.set _ZN9rocsparseL19gebsrmvn_4xn_kernelILj128ELj5ELj32E21rocsparse_complex_numIdEEEvi20rocsparse_direction_NS_24const_host_device_scalarIT2_EEPKiS8_PKS5_SA_S6_PS5_21rocsparse_index_base_b.num_agpr, 0
	.set _ZN9rocsparseL19gebsrmvn_4xn_kernelILj128ELj5ELj32E21rocsparse_complex_numIdEEEvi20rocsparse_direction_NS_24const_host_device_scalarIT2_EEPKiS8_PKS5_SA_S6_PS5_21rocsparse_index_base_b.numbered_sgpr, 18
	.set _ZN9rocsparseL19gebsrmvn_4xn_kernelILj128ELj5ELj32E21rocsparse_complex_numIdEEEvi20rocsparse_direction_NS_24const_host_device_scalarIT2_EEPKiS8_PKS5_SA_S6_PS5_21rocsparse_index_base_b.num_named_barrier, 0
	.set _ZN9rocsparseL19gebsrmvn_4xn_kernelILj128ELj5ELj32E21rocsparse_complex_numIdEEEvi20rocsparse_direction_NS_24const_host_device_scalarIT2_EEPKiS8_PKS5_SA_S6_PS5_21rocsparse_index_base_b.private_seg_size, 0
	.set _ZN9rocsparseL19gebsrmvn_4xn_kernelILj128ELj5ELj32E21rocsparse_complex_numIdEEEvi20rocsparse_direction_NS_24const_host_device_scalarIT2_EEPKiS8_PKS5_SA_S6_PS5_21rocsparse_index_base_b.uses_vcc, 1
	.set _ZN9rocsparseL19gebsrmvn_4xn_kernelILj128ELj5ELj32E21rocsparse_complex_numIdEEEvi20rocsparse_direction_NS_24const_host_device_scalarIT2_EEPKiS8_PKS5_SA_S6_PS5_21rocsparse_index_base_b.uses_flat_scratch, 0
	.set _ZN9rocsparseL19gebsrmvn_4xn_kernelILj128ELj5ELj32E21rocsparse_complex_numIdEEEvi20rocsparse_direction_NS_24const_host_device_scalarIT2_EEPKiS8_PKS5_SA_S6_PS5_21rocsparse_index_base_b.has_dyn_sized_stack, 0
	.set _ZN9rocsparseL19gebsrmvn_4xn_kernelILj128ELj5ELj32E21rocsparse_complex_numIdEEEvi20rocsparse_direction_NS_24const_host_device_scalarIT2_EEPKiS8_PKS5_SA_S6_PS5_21rocsparse_index_base_b.has_recursion, 0
	.set _ZN9rocsparseL19gebsrmvn_4xn_kernelILj128ELj5ELj32E21rocsparse_complex_numIdEEEvi20rocsparse_direction_NS_24const_host_device_scalarIT2_EEPKiS8_PKS5_SA_S6_PS5_21rocsparse_index_base_b.has_indirect_call, 0
	.section	.AMDGPU.csdata,"",@progbits
; Kernel info:
; codeLenInByte = 4848
; TotalNumSgprs: 22
; NumVgprs: 60
; ScratchSize: 0
; MemoryBound: 0
; FloatMode: 240
; IeeeMode: 1
; LDSByteSize: 0 bytes/workgroup (compile time only)
; SGPRBlocks: 2
; VGPRBlocks: 14
; NumSGPRsForWavesPerEU: 22
; NumVGPRsForWavesPerEU: 60
; Occupancy: 4
; WaveLimiterHint : 1
; COMPUTE_PGM_RSRC2:SCRATCH_EN: 0
; COMPUTE_PGM_RSRC2:USER_SGPR: 6
; COMPUTE_PGM_RSRC2:TRAP_HANDLER: 0
; COMPUTE_PGM_RSRC2:TGID_X_EN: 1
; COMPUTE_PGM_RSRC2:TGID_Y_EN: 0
; COMPUTE_PGM_RSRC2:TGID_Z_EN: 0
; COMPUTE_PGM_RSRC2:TIDIG_COMP_CNT: 0
	.section	.text._ZN9rocsparseL19gebsrmvn_4xn_kernelILj128ELj5ELj64E21rocsparse_complex_numIdEEEvi20rocsparse_direction_NS_24const_host_device_scalarIT2_EEPKiS8_PKS5_SA_S6_PS5_21rocsparse_index_base_b,"axG",@progbits,_ZN9rocsparseL19gebsrmvn_4xn_kernelILj128ELj5ELj64E21rocsparse_complex_numIdEEEvi20rocsparse_direction_NS_24const_host_device_scalarIT2_EEPKiS8_PKS5_SA_S6_PS5_21rocsparse_index_base_b,comdat
	.globl	_ZN9rocsparseL19gebsrmvn_4xn_kernelILj128ELj5ELj64E21rocsparse_complex_numIdEEEvi20rocsparse_direction_NS_24const_host_device_scalarIT2_EEPKiS8_PKS5_SA_S6_PS5_21rocsparse_index_base_b ; -- Begin function _ZN9rocsparseL19gebsrmvn_4xn_kernelILj128ELj5ELj64E21rocsparse_complex_numIdEEEvi20rocsparse_direction_NS_24const_host_device_scalarIT2_EEPKiS8_PKS5_SA_S6_PS5_21rocsparse_index_base_b
	.p2align	8
	.type	_ZN9rocsparseL19gebsrmvn_4xn_kernelILj128ELj5ELj64E21rocsparse_complex_numIdEEEvi20rocsparse_direction_NS_24const_host_device_scalarIT2_EEPKiS8_PKS5_SA_S6_PS5_21rocsparse_index_base_b,@function
_ZN9rocsparseL19gebsrmvn_4xn_kernelILj128ELj5ELj64E21rocsparse_complex_numIdEEEvi20rocsparse_direction_NS_24const_host_device_scalarIT2_EEPKiS8_PKS5_SA_S6_PS5_21rocsparse_index_base_b: ; @_ZN9rocsparseL19gebsrmvn_4xn_kernelILj128ELj5ELj64E21rocsparse_complex_numIdEEEvi20rocsparse_direction_NS_24const_host_device_scalarIT2_EEPKiS8_PKS5_SA_S6_PS5_21rocsparse_index_base_b
; %bb.0:
	s_load_dwordx2 s[0:1], s[4:5], 0x8
	s_load_dwordx2 s[2:3], s[4:5], 0x38
	s_load_dwordx2 s[16:17], s[4:5], 0x50
	s_add_u32 s7, s4, 8
	s_addc_u32 s8, s5, 0
	s_add_u32 s9, s4, 56
	s_addc_u32 s10, s5, 0
	s_waitcnt lgkmcnt(0)
	s_bitcmp1_b32 s17, 0
	s_cselect_b32 s1, s8, s1
	s_cselect_b32 s0, s7, s0
	v_mov_b32_e32 v1, s0
	v_mov_b32_e32 v2, s1
	flat_load_dwordx4 v[1:4], v[1:2]
	s_cselect_b32 s0, s10, s3
	s_cselect_b32 s1, s9, s2
	v_mov_b32_e32 v5, s1
	v_mov_b32_e32 v6, s0
	flat_load_dwordx4 v[5:8], v[5:6]
	s_waitcnt vmcnt(0) lgkmcnt(0)
	v_cmp_eq_f64_e32 vcc, 0, v[1:2]
	v_cmp_eq_f64_e64 s[0:1], 0, v[3:4]
	s_and_b64 s[8:9], vcc, s[0:1]
	s_mov_b64 s[0:1], -1
	s_and_saveexec_b64 s[2:3], s[8:9]
	s_cbranch_execz .LBB130_2
; %bb.1:
	v_cmp_neq_f64_e32 vcc, 1.0, v[5:6]
	v_cmp_neq_f64_e64 s[0:1], 0, v[7:8]
	s_or_b64 s[0:1], vcc, s[0:1]
	s_orn2_b64 s[0:1], s[0:1], exec
.LBB130_2:
	s_or_b64 exec, exec, s[2:3]
	s_and_saveexec_b64 s[2:3], s[0:1]
	s_cbranch_execz .LBB130_21
; %bb.3:
	s_load_dwordx2 s[0:1], s[4:5], 0x0
	v_lshrrev_b32_e32 v9, 6, v0
	v_lshl_or_b32 v9, s6, 1, v9
	s_waitcnt lgkmcnt(0)
	v_cmp_gt_i32_e32 vcc, s0, v9
	s_and_b64 exec, exec, vcc
	s_cbranch_execz .LBB130_21
; %bb.4:
	s_load_dwordx8 s[8:15], s[4:5], 0x18
	v_ashrrev_i32_e32 v10, 31, v9
	v_lshlrev_b64 v[10:11], 2, v[9:10]
	v_and_b32_e32 v0, 63, v0
	s_cmp_lg_u32 s1, 0
	s_waitcnt lgkmcnt(0)
	v_mov_b32_e32 v12, s9
	v_add_co_u32_e32 v10, vcc, s8, v10
	v_addc_co_u32_e32 v11, vcc, v12, v11, vcc
	global_load_dwordx2 v[10:11], v[10:11], off
	s_waitcnt vmcnt(0)
	v_subrev_u32_e32 v10, s16, v10
	v_subrev_u32_e32 v34, s16, v11
	v_add_u32_e32 v10, v10, v0
	v_cmp_lt_i32_e64 s[0:1], v10, v34
	s_cbranch_scc0 .LBB130_10
; %bb.5:
	v_mov_b32_e32 v24, 0
	v_mov_b32_e32 v26, 0
	;; [unrolled: 1-line block ×16, first 2 shown]
	s_and_saveexec_b64 s[6:7], s[0:1]
	s_cbranch_execz .LBB130_9
; %bb.6:
	v_mad_u64_u32 v[11:12], s[2:3], v10, 20, 16
	v_mov_b32_e32 v24, 0
	v_mov_b32_e32 v26, 0
	;; [unrolled: 1-line block ×9, first 2 shown]
	s_mov_b64 s[8:9], 0
	v_mov_b32_e32 v35, s11
	v_mov_b32_e32 v21, 0
	;; [unrolled: 1-line block ×12, first 2 shown]
.LBB130_7:                              ; =>This Inner Loop Header: Depth=1
	v_ashrrev_i32_e32 v23, 31, v22
	v_lshlrev_b64 v[38:39], 2, v[22:23]
	v_add_u32_e32 v20, -16, v11
	v_add_co_u32_e32 v38, vcc, s10, v38
	v_addc_co_u32_e32 v39, vcc, v35, v39, vcc
	v_lshlrev_b64 v[40:41], 4, v[20:21]
	global_load_dword v20, v[38:39], off
	v_mov_b32_e32 v33, v21
	v_add_co_u32_e64 v46, s[2:3], s12, v40
	v_addc_co_u32_e64 v47, vcc, v36, v41, s[2:3]
	v_add_u32_e32 v22, 64, v22
	s_waitcnt vmcnt(0)
	v_subrev_u32_e32 v20, s16, v20
	v_lshl_add_u32 v32, v20, 2, v20
	v_lshlrev_b64 v[38:39], 4, v[32:33]
	v_add_u32_e32 v20, -12, v11
	v_add_co_u32_e32 v48, vcc, s14, v38
	v_addc_co_u32_e32 v49, vcc, v37, v39, vcc
	global_load_dwordx4 v[38:41], v[46:47], off
	global_load_dwordx4 v[42:45], v[48:49], off
	s_waitcnt vmcnt(0)
	v_fma_f64 v[26:27], v[38:39], v[42:43], v[26:27]
	v_fma_f64 v[23:24], v[40:41], v[42:43], v[24:25]
	v_fma_f64 v[40:41], -v[40:41], v[44:45], v[26:27]
	v_fma_f64 v[38:39], v[38:39], v[44:45], v[23:24]
	global_load_dwordx4 v[23:26], v[46:47], off offset:16
	s_waitcnt vmcnt(0)
	v_fma_f64 v[30:31], v[23:24], v[42:43], v[30:31]
	v_fma_f64 v[27:28], v[25:26], v[42:43], v[28:29]
	v_fma_f64 v[29:30], -v[25:26], v[44:45], v[30:31]
	v_fma_f64 v[27:28], v[23:24], v[44:45], v[27:28]
	global_load_dwordx4 v[23:26], v[46:47], off offset:32
	;; [unrolled: 6-line block ×3, first 2 shown]
	s_waitcnt vmcnt(0)
	v_fma_f64 v[18:19], v[12:13], v[42:43], v[18:19]
	v_fma_f64 v[16:17], v[14:15], v[42:43], v[16:17]
	v_fma_f64 v[42:43], -v[14:15], v[44:45], v[18:19]
	v_fma_f64 v[44:45], v[12:13], v[44:45], v[16:17]
	v_lshlrev_b64 v[12:13], 4, v[20:21]
	v_add_u32_e32 v20, 1, v32
	v_add_co_u32_e32 v46, vcc, s12, v12
	v_addc_co_u32_e32 v47, vcc, v36, v13, vcc
	v_lshlrev_b64 v[12:13], 4, v[20:21]
	v_add_u32_e32 v20, -8, v11
	v_add_co_u32_e32 v48, vcc, s14, v12
	v_addc_co_u32_e32 v49, vcc, v37, v13, vcc
	global_load_dwordx4 v[12:15], v[46:47], off
	global_load_dwordx4 v[16:19], v[48:49], off
	s_waitcnt vmcnt(0)
	v_fma_f64 v[40:41], v[12:13], v[16:17], v[40:41]
	v_fma_f64 v[38:39], v[14:15], v[16:17], v[38:39]
	v_fma_f64 v[40:41], -v[14:15], v[18:19], v[40:41]
	v_fma_f64 v[38:39], v[12:13], v[18:19], v[38:39]
	global_load_dwordx4 v[12:15], v[46:47], off offset:16
	s_waitcnt vmcnt(0)
	v_fma_f64 v[29:30], v[12:13], v[16:17], v[29:30]
	v_fma_f64 v[27:28], v[14:15], v[16:17], v[27:28]
	v_fma_f64 v[29:30], -v[14:15], v[18:19], v[29:30]
	v_fma_f64 v[27:28], v[12:13], v[18:19], v[27:28]
	global_load_dwordx4 v[12:15], v[46:47], off offset:32
	;; [unrolled: 6-line block ×3, first 2 shown]
	s_waitcnt vmcnt(0)
	v_fma_f64 v[42:43], v[12:13], v[16:17], v[42:43]
	v_fma_f64 v[16:17], v[14:15], v[16:17], v[44:45]
	v_fma_f64 v[42:43], -v[14:15], v[18:19], v[42:43]
	v_fma_f64 v[44:45], v[12:13], v[18:19], v[16:17]
	v_lshlrev_b64 v[12:13], 4, v[20:21]
	v_add_u32_e32 v20, 2, v32
	v_lshlrev_b64 v[14:15], 4, v[20:21]
	v_add_co_u32_e32 v46, vcc, s12, v12
	v_addc_co_u32_e32 v47, vcc, v36, v13, vcc
	v_add_co_u32_e32 v48, vcc, s14, v14
	v_addc_co_u32_e32 v49, vcc, v37, v15, vcc
	global_load_dwordx4 v[12:15], v[46:47], off
	global_load_dwordx4 v[16:19], v[48:49], off
	v_add_u32_e32 v20, -4, v11
	s_waitcnt vmcnt(0)
	v_fma_f64 v[40:41], v[12:13], v[16:17], v[40:41]
	v_fma_f64 v[38:39], v[14:15], v[16:17], v[38:39]
	v_fma_f64 v[40:41], -v[14:15], v[18:19], v[40:41]
	v_fma_f64 v[38:39], v[12:13], v[18:19], v[38:39]
	global_load_dwordx4 v[12:15], v[46:47], off offset:16
	s_waitcnt vmcnt(0)
	v_fma_f64 v[29:30], v[12:13], v[16:17], v[29:30]
	v_fma_f64 v[27:28], v[14:15], v[16:17], v[27:28]
	v_fma_f64 v[29:30], -v[14:15], v[18:19], v[29:30]
	v_fma_f64 v[27:28], v[12:13], v[18:19], v[27:28]
	global_load_dwordx4 v[12:15], v[46:47], off offset:32
	;; [unrolled: 6-line block ×3, first 2 shown]
	s_waitcnt vmcnt(0)
	v_fma_f64 v[23:24], v[12:13], v[16:17], v[42:43]
	v_fma_f64 v[16:17], v[14:15], v[16:17], v[44:45]
	v_fma_f64 v[42:43], -v[14:15], v[18:19], v[23:24]
	v_fma_f64 v[44:45], v[12:13], v[18:19], v[16:17]
	v_lshlrev_b64 v[12:13], 4, v[20:21]
	v_add_u32_e32 v20, 3, v32
	v_lshlrev_b64 v[14:15], 4, v[20:21]
	v_add_co_u32_e32 v19, vcc, s12, v12
	v_addc_co_u32_e32 v20, vcc, v36, v13, vcc
	v_add_co_u32_e32 v16, vcc, s14, v14
	v_addc_co_u32_e32 v17, vcc, v37, v15, vcc
	global_load_dwordx4 v[12:15], v[19:20], off
	global_load_dwordx4 v[23:26], v[16:17], off
	s_waitcnt vmcnt(0)
	v_fma_f64 v[16:17], v[12:13], v[23:24], v[40:41]
	v_fma_f64 v[38:39], v[14:15], v[23:24], v[38:39]
	v_fma_f64 v[46:47], -v[14:15], v[25:26], v[16:17]
	v_fma_f64 v[52:53], v[12:13], v[25:26], v[38:39]
	global_load_dwordx4 v[12:15], v[19:20], off offset:16
	global_load_dwordx4 v[38:41], v[19:20], off offset:32
	s_waitcnt vmcnt(1)
	v_fma_f64 v[16:17], v[12:13], v[23:24], v[29:30]
	v_fma_f64 v[27:28], v[14:15], v[23:24], v[27:28]
	v_fma_f64 v[17:18], -v[14:15], v[25:26], v[16:17]
	v_fma_f64 v[28:29], v[12:13], v[25:26], v[27:28]
	s_waitcnt vmcnt(0)
	v_fma_f64 v[12:13], v[38:39], v[23:24], v[48:49]
	v_fma_f64 v[15:16], v[40:41], v[23:24], v[50:51]
	v_fma_f64 v[13:14], -v[40:41], v[25:26], v[12:13]
	v_fma_f64 v[15:16], v[38:39], v[25:26], v[15:16]
	global_load_dwordx4 v[38:41], v[19:20], off offset:48
	v_mov_b32_e32 v12, v21
	s_waitcnt vmcnt(0)
	v_fma_f64 v[19:20], v[38:39], v[23:24], v[42:43]
	v_fma_f64 v[23:24], v[40:41], v[23:24], v[44:45]
	v_fma_f64 v[48:49], -v[40:41], v[25:26], v[19:20]
	v_lshlrev_b64 v[19:20], 4, v[11:12]
	v_fma_f64 v[50:51], v[38:39], v[25:26], v[23:24]
	v_add_co_u32_e32 v54, vcc, s12, v19
	v_addc_co_u32_e32 v55, vcc, v36, v20, vcc
	v_add_u32_e32 v20, 4, v32
	v_lshlrev_b64 v[19:20], 4, v[20:21]
	global_load_dwordx4 v[23:26], v[54:55], off
	global_load_dwordx4 v[42:45], v[54:55], off offset:16
	v_add_co_u32_e32 v19, vcc, s14, v19
	v_addc_co_u32_e32 v20, vcc, v37, v20, vcc
	global_load_dwordx4 v[38:41], v[19:20], off
	v_cmp_ge_i32_e32 vcc, v22, v34
	s_or_b64 s[8:9], vcc, s[8:9]
	v_add_u32_e32 v11, 0x500, v11
	s_waitcnt vmcnt(0)
	v_fma_f64 v[19:20], v[23:24], v[38:39], v[46:47]
	v_fma_f64 v[30:31], v[25:26], v[38:39], v[52:53]
	;; [unrolled: 1-line block ×3, first 2 shown]
	v_fma_f64 v[26:27], -v[25:26], v[40:41], v[19:20]
	v_fma_f64 v[19:20], v[44:45], v[38:39], v[28:29]
	v_fma_f64 v[24:25], v[23:24], v[40:41], v[30:31]
	v_fma_f64 v[30:31], -v[44:45], v[40:41], v[17:18]
	v_fma_f64 v[28:29], v[42:43], v[40:41], v[19:20]
	global_load_dwordx4 v[17:20], v[54:55], off offset:32
	s_waitcnt vmcnt(0)
	v_fma_f64 v[12:13], v[17:18], v[38:39], v[13:14]
	v_fma_f64 v[32:33], v[19:20], v[38:39], v[15:16]
	v_fma_f64 v[14:15], -v[19:20], v[40:41], v[12:13]
	v_fma_f64 v[12:13], v[17:18], v[40:41], v[32:33]
	global_load_dwordx4 v[16:19], v[54:55], off offset:48
	s_waitcnt vmcnt(0)
	v_fma_f64 v[32:33], v[16:17], v[38:39], v[48:49]
	v_fma_f64 v[38:39], v[18:19], v[38:39], v[50:51]
	v_fma_f64 v[18:19], -v[18:19], v[40:41], v[32:33]
	v_fma_f64 v[16:17], v[16:17], v[40:41], v[38:39]
	s_andn2_b64 exec, exec, s[8:9]
	s_cbranch_execnz .LBB130_7
; %bb.8:
	s_or_b64 exec, exec, s[8:9]
.LBB130_9:
	s_or_b64 exec, exec, s[6:7]
	s_cbranch_execz .LBB130_11
	s_branch .LBB130_16
.LBB130_10:
                                        ; implicit-def: $vgpr24_vgpr25
                                        ; implicit-def: $vgpr26_vgpr27
                                        ; implicit-def: $vgpr18_vgpr19
                                        ; implicit-def: $vgpr16_vgpr17
                                        ; implicit-def: $vgpr14_vgpr15
                                        ; implicit-def: $vgpr12_vgpr13
                                        ; implicit-def: $vgpr30_vgpr31
                                        ; implicit-def: $vgpr28_vgpr29
.LBB130_11:
	v_mov_b32_e32 v24, 0
	v_mov_b32_e32 v26, 0
	;; [unrolled: 1-line block ×16, first 2 shown]
	s_and_saveexec_b64 s[2:3], s[0:1]
	s_cbranch_execz .LBB130_15
; %bb.12:
	v_mad_u64_u32 v[20:21], s[0:1], v10, 20, 19
	v_mov_b32_e32 v24, 0
	v_mov_b32_e32 v26, 0
	;; [unrolled: 1-line block ×9, first 2 shown]
	s_mov_b64 s[0:1], 0
	v_mov_b32_e32 v35, s11
	v_mov_b32_e32 v23, 0
	;; [unrolled: 1-line block ×11, first 2 shown]
.LBB130_13:                             ; =>This Inner Loop Header: Depth=1
	v_ashrrev_i32_e32 v11, 31, v10
	v_lshlrev_b64 v[38:39], 2, v[10:11]
	v_subrev_u32_e32 v22, 19, v20
	v_lshlrev_b64 v[21:22], 4, v[22:23]
	v_add_co_u32_e32 v46, vcc, s10, v38
	v_addc_co_u32_e32 v47, vcc, v35, v39, vcc
	v_add_co_u32_e32 v52, vcc, s12, v21
	v_addc_co_u32_e32 v53, vcc, v36, v22, vcc
	global_load_dword v11, v[46:47], off
	global_load_dwordx4 v[38:41], v[52:53], off
	global_load_dwordx4 v[42:45], v[52:53], off offset:16
	v_mov_b32_e32 v33, v23
	v_add_u32_e32 v50, -14, v20
	v_mov_b32_e32 v51, v23
	v_add_u32_e32 v10, 64, v10
	s_waitcnt vmcnt(2)
	v_subrev_u32_e32 v11, s16, v11
	v_lshl_add_u32 v32, v11, 2, v11
	v_lshlrev_b64 v[21:22], 4, v[32:33]
	v_add_co_u32_e32 v21, vcc, s14, v21
	v_addc_co_u32_e32 v22, vcc, v37, v22, vcc
	global_load_dwordx4 v[46:49], v[21:22], off
	s_waitcnt vmcnt(0)
	v_fma_f64 v[24:25], v[40:41], v[46:47], v[24:25]
	v_fma_f64 v[21:22], v[38:39], v[46:47], v[26:27]
	;; [unrolled: 1-line block ×3, first 2 shown]
	v_lshlrev_b64 v[24:25], 4, v[50:51]
	v_fma_f64 v[54:55], -v[40:41], v[48:49], v[21:22]
	v_add_u32_e32 v21, -9, v20
	v_mov_b32_e32 v22, v23
	v_lshlrev_b64 v[21:22], 4, v[21:22]
	v_add_co_u32_e32 v50, vcc, s12, v24
	v_addc_co_u32_e32 v51, vcc, v36, v25, vcc
	v_add_co_u32_e32 v21, vcc, s12, v21
	v_addc_co_u32_e32 v22, vcc, v36, v22, vcc
	global_load_dwordx4 v[24:27], v[50:51], off
	global_load_dwordx4 v[38:41], v[21:22], off
	s_waitcnt vmcnt(1)
	v_fma_f64 v[21:22], v[24:25], v[46:47], v[30:31]
	v_fma_f64 v[28:29], v[26:27], v[46:47], v[28:29]
	s_waitcnt vmcnt(0)
	v_fma_f64 v[14:15], v[38:39], v[46:47], v[14:15]
	v_fma_f64 v[11:12], v[40:41], v[46:47], v[12:13]
	v_fma_f64 v[30:31], -v[26:27], v[48:49], v[21:22]
	v_add_u32_e32 v21, -4, v20
	v_mov_b32_e32 v22, v23
	v_lshlrev_b64 v[21:22], 4, v[21:22]
	v_fma_f64 v[28:29], v[24:25], v[48:49], v[28:29]
	v_add_co_u32_e32 v24, vcc, s12, v21
	v_addc_co_u32_e32 v25, vcc, v36, v22, vcc
	v_fma_f64 v[40:41], -v[40:41], v[48:49], v[14:15]
	v_fma_f64 v[38:39], v[38:39], v[48:49], v[11:12]
	global_load_dwordx4 v[11:14], v[24:25], off
	v_add_u32_e32 v22, 1, v32
	v_lshlrev_b64 v[24:25], 4, v[22:23]
	v_add_u32_e32 v22, -13, v20
	v_mov_b32_e32 v21, v23
	s_waitcnt vmcnt(0)
	v_fma_f64 v[18:19], v[11:12], v[46:47], v[18:19]
	v_fma_f64 v[15:16], v[13:14], v[46:47], v[16:17]
	v_fma_f64 v[46:47], -v[13:14], v[48:49], v[18:19]
	v_fma_f64 v[48:49], v[11:12], v[48:49], v[15:16]
	v_add_co_u32_e32 v11, vcc, s14, v24
	v_addc_co_u32_e32 v12, vcc, v37, v25, vcc
	global_load_dwordx4 v[11:14], v[11:12], off
	v_lshlrev_b64 v[15:16], 4, v[22:23]
	v_add_u32_e32 v22, -8, v20
	v_lshlrev_b64 v[17:18], 4, v[22:23]
	v_add_co_u32_e32 v15, vcc, s12, v15
	v_addc_co_u32_e32 v16, vcc, v36, v16, vcc
	v_add_co_u32_e32 v24, vcc, s12, v17
	v_addc_co_u32_e32 v25, vcc, v36, v18, vcc
	global_load_dwordx4 v[15:18], v[15:16], off
	v_add_u32_e32 v22, -3, v20
	s_waitcnt vmcnt(1)
	v_fma_f64 v[26:27], v[42:43], v[11:12], v[54:55]
	v_fma_f64 v[50:51], v[44:45], v[11:12], v[56:57]
	v_fma_f64 v[44:45], -v[44:45], v[13:14], v[26:27]
	global_load_dwordx4 v[24:27], v[24:25], off
	v_fma_f64 v[42:43], v[42:43], v[13:14], v[50:51]
	s_waitcnt vmcnt(1)
	v_fma_f64 v[30:31], v[15:16], v[11:12], v[30:31]
	v_fma_f64 v[28:29], v[17:18], v[11:12], v[28:29]
	v_fma_f64 v[50:51], -v[17:18], v[13:14], v[30:31]
	v_fma_f64 v[54:55], v[15:16], v[13:14], v[28:29]
	global_load_dwordx4 v[15:18], v[52:53], off offset:32
	global_load_dwordx4 v[28:31], v[52:53], off offset:48
	s_waitcnt vmcnt(2)
	v_fma_f64 v[38:39], v[26:27], v[11:12], v[38:39]
	v_fma_f64 v[40:41], v[24:25], v[11:12], v[40:41]
	;; [unrolled: 1-line block ×3, first 2 shown]
	v_lshlrev_b64 v[24:25], 4, v[22:23]
	v_fma_f64 v[40:41], -v[26:27], v[13:14], v[40:41]
	v_add_co_u32_e32 v24, vcc, s12, v24
	v_addc_co_u32_e32 v25, vcc, v36, v25, vcc
	global_load_dwordx4 v[24:27], v[24:25], off
	v_add_u32_e32 v22, 2, v32
	s_waitcnt vmcnt(0)
	v_fma_f64 v[46:47], v[24:25], v[11:12], v[46:47]
	v_fma_f64 v[11:12], v[26:27], v[11:12], v[48:49]
	v_fma_f64 v[46:47], -v[26:27], v[13:14], v[46:47]
	v_fma_f64 v[48:49], v[24:25], v[13:14], v[11:12]
	v_lshlrev_b64 v[11:12], 4, v[22:23]
	v_add_u32_e32 v22, -12, v20
	v_lshlrev_b64 v[13:14], 4, v[22:23]
	v_add_co_u32_e32 v11, vcc, s14, v11
	v_addc_co_u32_e32 v12, vcc, v37, v12, vcc
	v_add_co_u32_e32 v26, vcc, s12, v13
	v_addc_co_u32_e32 v27, vcc, v36, v14, vcc
	global_load_dwordx4 v[11:14], v[11:12], off
	v_add_u32_e32 v22, -7, v20
	v_lshlrev_b64 v[24:25], 4, v[22:23]
	v_add_u32_e32 v22, -2, v20
	v_add_co_u32_e32 v24, vcc, s12, v24
	v_addc_co_u32_e32 v25, vcc, v36, v25, vcc
	s_waitcnt vmcnt(0)
	v_fma_f64 v[44:45], v[15:16], v[11:12], v[44:45]
	v_fma_f64 v[42:43], v[17:18], v[11:12], v[42:43]
	v_fma_f64 v[44:45], -v[17:18], v[13:14], v[44:45]
	v_fma_f64 v[42:43], v[15:16], v[13:14], v[42:43]
	global_load_dwordx4 v[15:18], v[26:27], off
	s_waitcnt vmcnt(0)
	v_fma_f64 v[52:53], v[17:18], v[11:12], v[54:55]
	global_load_dwordx4 v[24:27], v[24:25], off
	v_fma_f64 v[50:51], v[15:16], v[11:12], v[50:51]
	v_fma_f64 v[52:53], v[15:16], v[13:14], v[52:53]
	v_lshlrev_b64 v[15:16], 4, v[20:21]
	v_fma_f64 v[50:51], -v[17:18], v[13:14], v[50:51]
	v_add_co_u32_e32 v15, vcc, s12, v15
	v_addc_co_u32_e32 v16, vcc, v36, v16, vcc
	global_load_dwordx4 v[16:19], v[15:16], off
	s_waitcnt vmcnt(1)
	v_fma_f64 v[38:39], v[26:27], v[11:12], v[38:39]
	v_fma_f64 v[40:41], v[24:25], v[11:12], v[40:41]
	;; [unrolled: 1-line block ×3, first 2 shown]
	v_lshlrev_b64 v[24:25], 4, v[22:23]
	v_fma_f64 v[40:41], -v[26:27], v[13:14], v[40:41]
	v_add_co_u32_e32 v24, vcc, s12, v24
	v_addc_co_u32_e32 v25, vcc, v36, v25, vcc
	global_load_dwordx4 v[24:27], v[24:25], off
	v_add_u32_e32 v22, 3, v32
	s_waitcnt vmcnt(0)
	v_fma_f64 v[46:47], v[24:25], v[11:12], v[46:47]
	v_fma_f64 v[11:12], v[26:27], v[11:12], v[48:49]
	v_fma_f64 v[46:47], -v[26:27], v[13:14], v[46:47]
	v_fma_f64 v[48:49], v[24:25], v[13:14], v[11:12]
	v_lshlrev_b64 v[11:12], 4, v[22:23]
	v_add_u32_e32 v22, -11, v20
	v_lshlrev_b64 v[13:14], 4, v[22:23]
	v_add_co_u32_e32 v11, vcc, s14, v11
	v_addc_co_u32_e32 v12, vcc, v37, v12, vcc
	v_add_co_u32_e32 v24, vcc, s12, v13
	v_addc_co_u32_e32 v25, vcc, v36, v14, vcc
	global_load_dwordx4 v[11:14], v[11:12], off
	v_add_u32_e32 v22, -6, v20
	v_lshlrev_b64 v[54:55], 4, v[22:23]
	v_add_u32_e32 v22, -1, v20
	s_waitcnt vmcnt(0)
	v_fma_f64 v[26:27], v[28:29], v[11:12], v[44:45]
	v_fma_f64 v[42:43], v[30:31], v[11:12], v[42:43]
	v_fma_f64 v[44:45], -v[30:31], v[13:14], v[26:27]
	global_load_dwordx4 v[24:27], v[24:25], off
	v_fma_f64 v[42:43], v[28:29], v[13:14], v[42:43]
	v_add_co_u32_e32 v28, vcc, s12, v54
	v_addc_co_u32_e32 v29, vcc, v36, v55, vcc
	global_load_dwordx4 v[28:31], v[28:29], off
	s_waitcnt vmcnt(1)
	v_fma_f64 v[50:51], v[24:25], v[11:12], v[50:51]
	v_fma_f64 v[52:53], v[26:27], v[11:12], v[52:53]
	s_waitcnt vmcnt(0)
	v_fma_f64 v[38:39], v[30:31], v[11:12], v[38:39]
	v_fma_f64 v[50:51], -v[26:27], v[13:14], v[50:51]
	v_fma_f64 v[26:27], v[28:29], v[11:12], v[40:41]
	v_fma_f64 v[52:53], v[24:25], v[13:14], v[52:53]
	v_lshlrev_b64 v[24:25], 4, v[22:23]
	v_add_u32_e32 v22, -15, v20
	v_add_co_u32_e32 v24, vcc, s12, v24
	v_addc_co_u32_e32 v25, vcc, v36, v25, vcc
	v_fma_f64 v[56:57], -v[30:31], v[13:14], v[26:27]
	global_load_dwordx4 v[24:27], v[24:25], off
	v_lshlrev_b64 v[54:55], 4, v[22:23]
	v_fma_f64 v[58:59], v[28:29], v[13:14], v[38:39]
	v_add_co_u32_e32 v28, vcc, s12, v54
	v_addc_co_u32_e32 v29, vcc, v36, v55, vcc
	global_load_dwordx4 v[28:31], v[28:29], off
	v_add_u32_e32 v22, 4, v32
	v_lshlrev_b64 v[32:33], 4, v[22:23]
	v_add_u32_e32 v22, -10, v20
	s_waitcnt vmcnt(1)
	v_fma_f64 v[38:39], v[24:25], v[11:12], v[46:47]
	v_fma_f64 v[11:12], v[26:27], v[11:12], v[48:49]
	v_fma_f64 v[46:47], -v[26:27], v[13:14], v[38:39]
	v_fma_f64 v[48:49], v[24:25], v[13:14], v[11:12]
	v_add_co_u32_e32 v13, vcc, s14, v32
	v_addc_co_u32_e32 v14, vcc, v37, v33, vcc
	global_load_dwordx4 v[38:41], v[13:14], off
	v_lshlrev_b64 v[11:12], 4, v[22:23]
	v_add_u32_e32 v22, -5, v20
	v_lshlrev_b64 v[21:22], 4, v[22:23]
	v_add_co_u32_e32 v11, vcc, s12, v11
	v_addc_co_u32_e32 v12, vcc, v36, v12, vcc
	v_add_co_u32_e32 v21, vcc, s12, v21
	v_addc_co_u32_e32 v22, vcc, v36, v22, vcc
	global_load_dwordx4 v[11:14], v[11:12], off
	v_cmp_ge_i32_e32 vcc, v10, v34
	s_or_b64 s[0:1], vcc, s[0:1]
	v_add_u32_e32 v20, 0x500, v20
	s_waitcnt vmcnt(1)
	v_fma_f64 v[24:25], v[28:29], v[38:39], v[44:45]
	v_fma_f64 v[32:33], v[30:31], v[38:39], v[42:43]
	global_load_dwordx4 v[42:45], v[21:22], off
	v_fma_f64 v[46:47], v[16:17], v[38:39], v[46:47]
	v_fma_f64 v[26:27], -v[30:31], v[40:41], v[24:25]
	v_fma_f64 v[24:25], v[28:29], v[40:41], v[32:33]
	s_waitcnt vmcnt(1)
	v_fma_f64 v[21:22], v[11:12], v[38:39], v[50:51]
	v_fma_f64 v[28:29], v[13:14], v[38:39], v[52:53]
	v_fma_f64 v[30:31], -v[13:14], v[40:41], v[21:22]
	v_fma_f64 v[28:29], v[11:12], v[40:41], v[28:29]
	s_waitcnt vmcnt(0)
	v_fma_f64 v[32:33], v[42:43], v[38:39], v[56:57]
	v_fma_f64 v[50:51], v[44:45], v[38:39], v[58:59]
	;; [unrolled: 1-line block ×3, first 2 shown]
	v_fma_f64 v[18:19], -v[18:19], v[40:41], v[46:47]
	v_fma_f64 v[14:15], -v[44:45], v[40:41], v[32:33]
	v_fma_f64 v[12:13], v[42:43], v[40:41], v[50:51]
	v_fma_f64 v[16:17], v[16:17], v[40:41], v[38:39]
	s_andn2_b64 exec, exec, s[0:1]
	s_cbranch_execnz .LBB130_13
; %bb.14:
	s_or_b64 exec, exec, s[0:1]
.LBB130_15:
	s_or_b64 exec, exec, s[2:3]
.LBB130_16:
	v_mov_b32_dpp v10, v26 row_shr:1 row_mask:0xf bank_mask:0xf
	v_mov_b32_dpp v11, v27 row_shr:1 row_mask:0xf bank_mask:0xf
	v_add_f64 v[10:11], v[26:27], v[10:11]
	v_mov_b32_dpp v20, v24 row_shr:1 row_mask:0xf bank_mask:0xf
	v_mov_b32_dpp v21, v25 row_shr:1 row_mask:0xf bank_mask:0xf
	v_add_f64 v[20:21], v[24:25], v[20:21]
	v_mov_b32_dpp v24, v28 row_shr:1 row_mask:0xf bank_mask:0xf
	v_mov_b32_dpp v36, v12 row_shr:1 row_mask:0xf bank_mask:0xf
	;; [unrolled: 1-line block ×3, first 2 shown]
	v_add_f64 v[12:13], v[12:13], v[36:37]
	v_mov_b32_dpp v22, v10 row_shr:2 row_mask:0xf bank_mask:0xf
	v_mov_b32_dpp v23, v11 row_shr:2 row_mask:0xf bank_mask:0xf
	v_add_f64 v[10:11], v[10:11], v[22:23]
	v_mov_b32_dpp v22, v20 row_shr:2 row_mask:0xf bank_mask:0xf
	v_mov_b32_dpp v23, v21 row_shr:2 row_mask:0xf bank_mask:0xf
	;; [unrolled: 3-line block ×4, first 2 shown]
	v_mov_b32_dpp v26, v11 row_shr:4 row_mask:0xf bank_mask:0xe
	v_add_f64 v[10:11], v[10:11], v[25:26]
	v_mov_b32_dpp v25, v20 row_shr:4 row_mask:0xf bank_mask:0xe
	v_mov_b32_dpp v26, v21 row_shr:4 row_mask:0xf bank_mask:0xe
	v_add_f64 v[20:21], v[20:21], v[25:26]
	v_mov_b32_dpp v25, v29 row_shr:1 row_mask:0xf bank_mask:0xf
	v_add_f64 v[24:25], v[28:29], v[24:25]
	v_mov_b32_dpp v26, v22 row_shr:2 row_mask:0xf bank_mask:0xf
	v_mov_b32_dpp v27, v23 row_shr:2 row_mask:0xf bank_mask:0xf
	;; [unrolled: 1-line block ×4, first 2 shown]
	v_add_f64 v[10:11], v[10:11], v[28:29]
	v_add_f64 v[22:23], v[22:23], v[26:27]
	v_mov_b32_dpp v28, v20 row_shr:8 row_mask:0xf bank_mask:0xc
	v_mov_b32_dpp v26, v24 row_shr:2 row_mask:0xf bank_mask:0xf
	;; [unrolled: 1-line block ×3, first 2 shown]
	v_add_f64 v[24:25], v[24:25], v[26:27]
	v_mov_b32_dpp v29, v21 row_shr:8 row_mask:0xf bank_mask:0xc
	v_add_f64 v[20:21], v[20:21], v[28:29]
	v_mov_b32_dpp v26, v10 row_bcast:15 row_mask:0xa bank_mask:0xf
	v_mov_b32_dpp v27, v11 row_bcast:15 row_mask:0xa bank_mask:0xf
	v_add_f64 v[10:11], v[10:11], v[26:27]
	v_mov_b32_dpp v28, v23 row_shr:4 row_mask:0xf bank_mask:0xe
	v_mov_b32_dpp v27, v22 row_shr:4 row_mask:0xf bank_mask:0xe
	v_add_f64 v[22:23], v[22:23], v[27:28]
	v_mov_b32_dpp v28, v25 row_shr:4 row_mask:0xf bank_mask:0xe
	v_mov_b32_dpp v27, v24 row_shr:4 row_mask:0xf bank_mask:0xe
	;; [unrolled: 3-line block ×3, first 2 shown]
	v_add_f64 v[14:15], v[14:15], v[27:28]
	v_mov_b32_dpp v26, v20 row_bcast:15 row_mask:0xa bank_mask:0xf
	v_mov_b32_dpp v28, v22 row_shr:8 row_mask:0xf bank_mask:0xc
	v_mov_b32_dpp v29, v23 row_shr:8 row_mask:0xf bank_mask:0xc
	v_add_f64 v[22:23], v[22:23], v[28:29]
	v_mov_b32_dpp v28, v24 row_shr:8 row_mask:0xf bank_mask:0xc
	v_mov_b32_dpp v29, v25 row_shr:8 row_mask:0xf bank_mask:0xc
	v_add_f64 v[24:25], v[24:25], v[28:29]
	;; [unrolled: 3-line block ×3, first 2 shown]
	v_mov_b32_dpp v27, v21 row_bcast:15 row_mask:0xa bank_mask:0xf
	v_add_f64 v[14:15], v[20:21], v[26:27]
	v_mov_b32_dpp v20, v22 row_bcast:15 row_mask:0xa bank_mask:0xf
	v_mov_b32_dpp v21, v23 row_bcast:15 row_mask:0xa bank_mask:0xf
	v_add_f64 v[20:21], v[22:23], v[20:21]
	v_mov_b32_dpp v22, v24 row_bcast:15 row_mask:0xa bank_mask:0xf
	v_mov_b32_dpp v23, v25 row_bcast:15 row_mask:0xa bank_mask:0xf
	v_add_f64 v[22:23], v[24:25], v[22:23]
	v_mov_b32_dpp v24, v28 row_shr:4 row_mask:0xf bank_mask:0xe
	v_mov_b32_dpp v25, v29 row_shr:4 row_mask:0xf bank_mask:0xe
	v_add_f64 v[32:33], v[28:29], v[24:25]
	v_mov_b32_dpp v37, v19 row_shr:1 row_mask:0xf bank_mask:0xf
	v_add_f64 v[18:19], v[18:19], v[36:37]
	v_mov_b32_dpp v36, v16 row_shr:1 row_mask:0xf bank_mask:0xf
	v_mov_b32_dpp v37, v17 row_shr:1 row_mask:0xf bank_mask:0xf
	v_add_f64 v[16:17], v[16:17], v[36:37]
	v_mov_b32_dpp v30, v10 row_bcast:31 row_mask:0xc bank_mask:0xf
	v_mov_b32_dpp v31, v11 row_bcast:31 row_mask:0xc bank_mask:0xf
	v_mov_b32_dpp v34, v32 row_shr:8 row_mask:0xf bank_mask:0xc
	v_mov_b32_dpp v35, v33 row_shr:8 row_mask:0xf bank_mask:0xc
	v_add_f64 v[32:33], v[32:33], v[34:35]
	v_mov_b32_dpp v34, v12 row_shr:2 row_mask:0xf bank_mask:0xf
	v_mov_b32_dpp v35, v13 row_shr:2 row_mask:0xf bank_mask:0xf
	v_add_f64 v[12:13], v[12:13], v[34:35]
	;; [unrolled: 3-line block ×4, first 2 shown]
	v_mov_b32_dpp v34, v32 row_bcast:15 row_mask:0xa bank_mask:0xf
	v_mov_b32_dpp v35, v12 row_shr:4 row_mask:0xf bank_mask:0xe
	v_mov_b32_dpp v36, v13 row_shr:4 row_mask:0xf bank_mask:0xe
	v_add_f64 v[12:13], v[12:13], v[35:36]
	v_mov_b32_dpp v35, v18 row_shr:4 row_mask:0xf bank_mask:0xe
	v_mov_b32_dpp v36, v19 row_shr:4 row_mask:0xf bank_mask:0xe
	v_add_f64 v[18:19], v[18:19], v[35:36]
	;; [unrolled: 3-line block ×3, first 2 shown]
	v_mov_b32_dpp v35, v33 row_bcast:15 row_mask:0xa bank_mask:0xf
	v_mov_b32_dpp v36, v12 row_shr:8 row_mask:0xf bank_mask:0xc
	v_mov_b32_dpp v37, v13 row_shr:8 row_mask:0xf bank_mask:0xc
	v_add_f64 v[36:37], v[12:13], v[36:37]
	v_mov_b32_dpp v12, v18 row_shr:8 row_mask:0xf bank_mask:0xc
	v_mov_b32_dpp v13, v19 row_shr:8 row_mask:0xf bank_mask:0xc
	v_add_f64 v[38:39], v[18:19], v[12:13]
	;; [unrolled: 3-line block ×3, first 2 shown]
	v_add_f64 v[12:13], v[32:33], v[34:35]
	v_mov_b32_dpp v18, v36 row_bcast:15 row_mask:0xa bank_mask:0xf
	v_mov_b32_dpp v19, v37 row_bcast:15 row_mask:0xa bank_mask:0xf
	v_add_f64 v[18:19], v[36:37], v[18:19]
	v_mov_b32_dpp v32, v38 row_bcast:15 row_mask:0xa bank_mask:0xf
	v_mov_b32_dpp v33, v39 row_bcast:15 row_mask:0xa bank_mask:0xf
	;; [unrolled: 3-line block ×4, first 2 shown]
	v_mov_b32_dpp v28, v20 row_bcast:31 row_mask:0xc bank_mask:0xf
	v_mov_b32_dpp v29, v21 row_bcast:31 row_mask:0xc bank_mask:0xf
	v_mov_b32_dpp v26, v22 row_bcast:31 row_mask:0xc bank_mask:0xf
	v_mov_b32_dpp v27, v23 row_bcast:31 row_mask:0xc bank_mask:0xf
	v_mov_b32_dpp v42, v12 row_bcast:31 row_mask:0xc bank_mask:0xf
	v_mov_b32_dpp v43, v13 row_bcast:31 row_mask:0xc bank_mask:0xf
	v_mov_b32_dpp v40, v18 row_bcast:31 row_mask:0xc bank_mask:0xf
	v_mov_b32_dpp v41, v19 row_bcast:31 row_mask:0xc bank_mask:0xf
	v_mov_b32_dpp v38, v34 row_bcast:31 row_mask:0xc bank_mask:0xf
	v_mov_b32_dpp v39, v35 row_bcast:31 row_mask:0xc bank_mask:0xf
	v_mov_b32_dpp v36, v32 row_bcast:31 row_mask:0xc bank_mask:0xf
	v_mov_b32_dpp v37, v33 row_bcast:31 row_mask:0xc bank_mask:0xf
	v_cmp_eq_u32_e32 vcc, 63, v0
	s_and_b64 exec, exec, vcc
	s_cbranch_execz .LBB130_21
; %bb.17:
	v_cmp_eq_f64_e32 vcc, 0, v[5:6]
	v_cmp_eq_f64_e64 s[0:1], 0, v[7:8]
	v_add_f64 v[16:17], v[10:11], v[30:31]
	v_add_f64 v[24:25], v[14:15], v[24:25]
	;; [unrolled: 1-line block ×8, first 2 shown]
	s_load_dwordx2 s[2:3], s[4:5], 0x48
	s_and_b64 s[0:1], vcc, s[0:1]
	s_and_saveexec_b64 s[4:5], s[0:1]
	s_xor_b64 s[0:1], exec, s[4:5]
	s_cbranch_execz .LBB130_19
; %bb.18:
	v_mul_f64 v[5:6], v[24:25], -v[3:4]
	v_mul_f64 v[7:8], v[1:2], v[24:25]
	v_mul_f64 v[26:27], v[22:23], -v[3:4]
	v_mul_f64 v[22:23], v[1:2], v[22:23]
	;; [unrolled: 2-line block ×4, first 2 shown]
	v_fma_f64 v[5:6], v[1:2], v[16:17], v[5:6]
	v_fma_f64 v[7:8], v[3:4], v[16:17], v[7:8]
	;; [unrolled: 1-line block ×4, first 2 shown]
	v_lshlrev_b32_e32 v24, 2, v9
	v_fma_f64 v[9:10], v[1:2], v[12:13], v[28:29]
	v_fma_f64 v[11:12], v[3:4], v[12:13], v[30:31]
	v_ashrrev_i32_e32 v25, 31, v24
	v_fma_f64 v[0:1], v[1:2], v[14:15], v[32:33]
	v_fma_f64 v[2:3], v[3:4], v[14:15], v[20:21]
	v_lshlrev_b64 v[24:25], 4, v[24:25]
	s_waitcnt lgkmcnt(0)
	v_mov_b32_e32 v34, s3
	v_add_co_u32_e32 v13, vcc, s2, v24
	v_addc_co_u32_e32 v14, vcc, v34, v25, vcc
	global_store_dwordx4 v[13:14], v[5:8], off
	global_store_dwordx4 v[13:14], v[16:19], off offset:16
	global_store_dwordx4 v[13:14], v[9:12], off offset:32
	;; [unrolled: 1-line block ×3, first 2 shown]
                                        ; implicit-def: $vgpr9
                                        ; implicit-def: $vgpr16_vgpr17
                                        ; implicit-def: $vgpr24_vgpr25
                                        ; implicit-def: $vgpr10_vgpr11
                                        ; implicit-def: $vgpr22_vgpr23
                                        ; implicit-def: $vgpr12_vgpr13
                                        ; implicit-def: $vgpr18_vgpr19
                                        ; implicit-def: $vgpr14_vgpr15
                                        ; implicit-def: $vgpr20_vgpr21
                                        ; implicit-def: $vgpr7_vgpr8
                                        ; implicit-def: $vgpr3_vgpr4
.LBB130_19:
	s_andn2_saveexec_b64 s[0:1], s[0:1]
	s_cbranch_execz .LBB130_21
; %bb.20:
	v_lshlrev_b32_e32 v26, 2, v9
	v_ashrrev_i32_e32 v27, 31, v26
	v_lshlrev_b64 v[26:27], 4, v[26:27]
	s_waitcnt lgkmcnt(0)
	v_mov_b32_e32 v0, s3
	v_add_co_u32_e32 v42, vcc, s2, v26
	v_addc_co_u32_e32 v43, vcc, v0, v27, vcc
	global_load_dwordx4 v[26:29], v[42:43], off
	global_load_dwordx4 v[30:33], v[42:43], off offset:16
	global_load_dwordx4 v[34:37], v[42:43], off offset:32
	;; [unrolled: 1-line block ×3, first 2 shown]
	v_mul_f64 v[44:45], v[24:25], -v[3:4]
	v_mul_f64 v[24:25], v[1:2], v[24:25]
	v_mul_f64 v[46:47], v[22:23], -v[3:4]
	v_mul_f64 v[22:23], v[1:2], v[22:23]
	;; [unrolled: 2-line block ×4, first 2 shown]
	v_fma_f64 v[44:45], v[1:2], v[16:17], v[44:45]
	v_fma_f64 v[16:17], v[3:4], v[16:17], v[24:25]
	;; [unrolled: 1-line block ×8, first 2 shown]
	s_waitcnt vmcnt(3)
	v_fma_f64 v[13:14], v[5:6], v[26:27], v[44:45]
	v_fma_f64 v[15:16], v[7:8], v[26:27], v[16:17]
	s_waitcnt vmcnt(2)
	v_fma_f64 v[17:18], v[5:6], v[30:31], v[24:25]
	v_fma_f64 v[19:20], v[7:8], v[30:31], v[9:10]
	;; [unrolled: 3-line block ×4, first 2 shown]
	v_fma_f64 v[0:1], -v[7:8], v[28:29], v[13:14]
	v_fma_f64 v[2:3], v[5:6], v[28:29], v[15:16]
	v_fma_f64 v[9:10], -v[7:8], v[32:33], v[17:18]
	v_fma_f64 v[11:12], v[5:6], v[32:33], v[19:20]
	;; [unrolled: 2-line block ×4, first 2 shown]
	global_store_dwordx4 v[42:43], v[0:3], off
	global_store_dwordx4 v[42:43], v[9:12], off offset:16
	global_store_dwordx4 v[42:43], v[13:16], off offset:32
	;; [unrolled: 1-line block ×3, first 2 shown]
.LBB130_21:
	s_endpgm
	.section	.rodata,"a",@progbits
	.p2align	6, 0x0
	.amdhsa_kernel _ZN9rocsparseL19gebsrmvn_4xn_kernelILj128ELj5ELj64E21rocsparse_complex_numIdEEEvi20rocsparse_direction_NS_24const_host_device_scalarIT2_EEPKiS8_PKS5_SA_S6_PS5_21rocsparse_index_base_b
		.amdhsa_group_segment_fixed_size 0
		.amdhsa_private_segment_fixed_size 0
		.amdhsa_kernarg_size 88
		.amdhsa_user_sgpr_count 6
		.amdhsa_user_sgpr_private_segment_buffer 1
		.amdhsa_user_sgpr_dispatch_ptr 0
		.amdhsa_user_sgpr_queue_ptr 0
		.amdhsa_user_sgpr_kernarg_segment_ptr 1
		.amdhsa_user_sgpr_dispatch_id 0
		.amdhsa_user_sgpr_flat_scratch_init 0
		.amdhsa_user_sgpr_private_segment_size 0
		.amdhsa_uses_dynamic_stack 0
		.amdhsa_system_sgpr_private_segment_wavefront_offset 0
		.amdhsa_system_sgpr_workgroup_id_x 1
		.amdhsa_system_sgpr_workgroup_id_y 0
		.amdhsa_system_sgpr_workgroup_id_z 0
		.amdhsa_system_sgpr_workgroup_info 0
		.amdhsa_system_vgpr_workitem_id 0
		.amdhsa_next_free_vgpr 60
		.amdhsa_next_free_sgpr 18
		.amdhsa_reserve_vcc 1
		.amdhsa_reserve_flat_scratch 0
		.amdhsa_float_round_mode_32 0
		.amdhsa_float_round_mode_16_64 0
		.amdhsa_float_denorm_mode_32 3
		.amdhsa_float_denorm_mode_16_64 3
		.amdhsa_dx10_clamp 1
		.amdhsa_ieee_mode 1
		.amdhsa_fp16_overflow 0
		.amdhsa_exception_fp_ieee_invalid_op 0
		.amdhsa_exception_fp_denorm_src 0
		.amdhsa_exception_fp_ieee_div_zero 0
		.amdhsa_exception_fp_ieee_overflow 0
		.amdhsa_exception_fp_ieee_underflow 0
		.amdhsa_exception_fp_ieee_inexact 0
		.amdhsa_exception_int_div_zero 0
	.end_amdhsa_kernel
	.section	.text._ZN9rocsparseL19gebsrmvn_4xn_kernelILj128ELj5ELj64E21rocsparse_complex_numIdEEEvi20rocsparse_direction_NS_24const_host_device_scalarIT2_EEPKiS8_PKS5_SA_S6_PS5_21rocsparse_index_base_b,"axG",@progbits,_ZN9rocsparseL19gebsrmvn_4xn_kernelILj128ELj5ELj64E21rocsparse_complex_numIdEEEvi20rocsparse_direction_NS_24const_host_device_scalarIT2_EEPKiS8_PKS5_SA_S6_PS5_21rocsparse_index_base_b,comdat
.Lfunc_end130:
	.size	_ZN9rocsparseL19gebsrmvn_4xn_kernelILj128ELj5ELj64E21rocsparse_complex_numIdEEEvi20rocsparse_direction_NS_24const_host_device_scalarIT2_EEPKiS8_PKS5_SA_S6_PS5_21rocsparse_index_base_b, .Lfunc_end130-_ZN9rocsparseL19gebsrmvn_4xn_kernelILj128ELj5ELj64E21rocsparse_complex_numIdEEEvi20rocsparse_direction_NS_24const_host_device_scalarIT2_EEPKiS8_PKS5_SA_S6_PS5_21rocsparse_index_base_b
                                        ; -- End function
	.set _ZN9rocsparseL19gebsrmvn_4xn_kernelILj128ELj5ELj64E21rocsparse_complex_numIdEEEvi20rocsparse_direction_NS_24const_host_device_scalarIT2_EEPKiS8_PKS5_SA_S6_PS5_21rocsparse_index_base_b.num_vgpr, 60
	.set _ZN9rocsparseL19gebsrmvn_4xn_kernelILj128ELj5ELj64E21rocsparse_complex_numIdEEEvi20rocsparse_direction_NS_24const_host_device_scalarIT2_EEPKiS8_PKS5_SA_S6_PS5_21rocsparse_index_base_b.num_agpr, 0
	.set _ZN9rocsparseL19gebsrmvn_4xn_kernelILj128ELj5ELj64E21rocsparse_complex_numIdEEEvi20rocsparse_direction_NS_24const_host_device_scalarIT2_EEPKiS8_PKS5_SA_S6_PS5_21rocsparse_index_base_b.numbered_sgpr, 18
	.set _ZN9rocsparseL19gebsrmvn_4xn_kernelILj128ELj5ELj64E21rocsparse_complex_numIdEEEvi20rocsparse_direction_NS_24const_host_device_scalarIT2_EEPKiS8_PKS5_SA_S6_PS5_21rocsparse_index_base_b.num_named_barrier, 0
	.set _ZN9rocsparseL19gebsrmvn_4xn_kernelILj128ELj5ELj64E21rocsparse_complex_numIdEEEvi20rocsparse_direction_NS_24const_host_device_scalarIT2_EEPKiS8_PKS5_SA_S6_PS5_21rocsparse_index_base_b.private_seg_size, 0
	.set _ZN9rocsparseL19gebsrmvn_4xn_kernelILj128ELj5ELj64E21rocsparse_complex_numIdEEEvi20rocsparse_direction_NS_24const_host_device_scalarIT2_EEPKiS8_PKS5_SA_S6_PS5_21rocsparse_index_base_b.uses_vcc, 1
	.set _ZN9rocsparseL19gebsrmvn_4xn_kernelILj128ELj5ELj64E21rocsparse_complex_numIdEEEvi20rocsparse_direction_NS_24const_host_device_scalarIT2_EEPKiS8_PKS5_SA_S6_PS5_21rocsparse_index_base_b.uses_flat_scratch, 0
	.set _ZN9rocsparseL19gebsrmvn_4xn_kernelILj128ELj5ELj64E21rocsparse_complex_numIdEEEvi20rocsparse_direction_NS_24const_host_device_scalarIT2_EEPKiS8_PKS5_SA_S6_PS5_21rocsparse_index_base_b.has_dyn_sized_stack, 0
	.set _ZN9rocsparseL19gebsrmvn_4xn_kernelILj128ELj5ELj64E21rocsparse_complex_numIdEEEvi20rocsparse_direction_NS_24const_host_device_scalarIT2_EEPKiS8_PKS5_SA_S6_PS5_21rocsparse_index_base_b.has_recursion, 0
	.set _ZN9rocsparseL19gebsrmvn_4xn_kernelILj128ELj5ELj64E21rocsparse_complex_numIdEEEvi20rocsparse_direction_NS_24const_host_device_scalarIT2_EEPKiS8_PKS5_SA_S6_PS5_21rocsparse_index_base_b.has_indirect_call, 0
	.section	.AMDGPU.csdata,"",@progbits
; Kernel info:
; codeLenInByte = 5040
; TotalNumSgprs: 22
; NumVgprs: 60
; ScratchSize: 0
; MemoryBound: 0
; FloatMode: 240
; IeeeMode: 1
; LDSByteSize: 0 bytes/workgroup (compile time only)
; SGPRBlocks: 2
; VGPRBlocks: 14
; NumSGPRsForWavesPerEU: 22
; NumVGPRsForWavesPerEU: 60
; Occupancy: 4
; WaveLimiterHint : 1
; COMPUTE_PGM_RSRC2:SCRATCH_EN: 0
; COMPUTE_PGM_RSRC2:USER_SGPR: 6
; COMPUTE_PGM_RSRC2:TRAP_HANDLER: 0
; COMPUTE_PGM_RSRC2:TGID_X_EN: 1
; COMPUTE_PGM_RSRC2:TGID_Y_EN: 0
; COMPUTE_PGM_RSRC2:TGID_Z_EN: 0
; COMPUTE_PGM_RSRC2:TIDIG_COMP_CNT: 0
	.section	.text._ZN9rocsparseL19gebsrmvn_4xn_kernelILj128ELj6ELj4E21rocsparse_complex_numIdEEEvi20rocsparse_direction_NS_24const_host_device_scalarIT2_EEPKiS8_PKS5_SA_S6_PS5_21rocsparse_index_base_b,"axG",@progbits,_ZN9rocsparseL19gebsrmvn_4xn_kernelILj128ELj6ELj4E21rocsparse_complex_numIdEEEvi20rocsparse_direction_NS_24const_host_device_scalarIT2_EEPKiS8_PKS5_SA_S6_PS5_21rocsparse_index_base_b,comdat
	.globl	_ZN9rocsparseL19gebsrmvn_4xn_kernelILj128ELj6ELj4E21rocsparse_complex_numIdEEEvi20rocsparse_direction_NS_24const_host_device_scalarIT2_EEPKiS8_PKS5_SA_S6_PS5_21rocsparse_index_base_b ; -- Begin function _ZN9rocsparseL19gebsrmvn_4xn_kernelILj128ELj6ELj4E21rocsparse_complex_numIdEEEvi20rocsparse_direction_NS_24const_host_device_scalarIT2_EEPKiS8_PKS5_SA_S6_PS5_21rocsparse_index_base_b
	.p2align	8
	.type	_ZN9rocsparseL19gebsrmvn_4xn_kernelILj128ELj6ELj4E21rocsparse_complex_numIdEEEvi20rocsparse_direction_NS_24const_host_device_scalarIT2_EEPKiS8_PKS5_SA_S6_PS5_21rocsparse_index_base_b,@function
_ZN9rocsparseL19gebsrmvn_4xn_kernelILj128ELj6ELj4E21rocsparse_complex_numIdEEEvi20rocsparse_direction_NS_24const_host_device_scalarIT2_EEPKiS8_PKS5_SA_S6_PS5_21rocsparse_index_base_b: ; @_ZN9rocsparseL19gebsrmvn_4xn_kernelILj128ELj6ELj4E21rocsparse_complex_numIdEEEvi20rocsparse_direction_NS_24const_host_device_scalarIT2_EEPKiS8_PKS5_SA_S6_PS5_21rocsparse_index_base_b
; %bb.0:
	s_load_dwordx2 s[0:1], s[4:5], 0x8
	s_load_dwordx2 s[2:3], s[4:5], 0x38
	s_load_dwordx2 s[16:17], s[4:5], 0x50
	s_add_u32 s7, s4, 8
	s_addc_u32 s8, s5, 0
	s_add_u32 s9, s4, 56
	s_addc_u32 s10, s5, 0
	s_waitcnt lgkmcnt(0)
	s_bitcmp1_b32 s17, 0
	s_cselect_b32 s1, s8, s1
	s_cselect_b32 s0, s7, s0
	v_mov_b32_e32 v1, s0
	v_mov_b32_e32 v2, s1
	flat_load_dwordx4 v[1:4], v[1:2]
	s_cselect_b32 s0, s10, s3
	s_cselect_b32 s1, s9, s2
	v_mov_b32_e32 v5, s1
	v_mov_b32_e32 v6, s0
	flat_load_dwordx4 v[5:8], v[5:6]
	s_waitcnt vmcnt(0) lgkmcnt(0)
	v_cmp_eq_f64_e32 vcc, 0, v[1:2]
	v_cmp_eq_f64_e64 s[0:1], 0, v[3:4]
	s_and_b64 s[8:9], vcc, s[0:1]
	s_mov_b64 s[0:1], -1
	s_and_saveexec_b64 s[2:3], s[8:9]
	s_cbranch_execz .LBB131_2
; %bb.1:
	v_cmp_neq_f64_e32 vcc, 1.0, v[5:6]
	v_cmp_neq_f64_e64 s[0:1], 0, v[7:8]
	s_or_b64 s[0:1], vcc, s[0:1]
	s_orn2_b64 s[0:1], s[0:1], exec
.LBB131_2:
	s_or_b64 exec, exec, s[2:3]
	s_and_saveexec_b64 s[2:3], s[0:1]
	s_cbranch_execz .LBB131_21
; %bb.3:
	s_load_dwordx2 s[0:1], s[4:5], 0x0
	v_lshrrev_b32_e32 v9, 2, v0
	v_lshl_or_b32 v9, s6, 5, v9
	s_waitcnt lgkmcnt(0)
	v_cmp_gt_i32_e32 vcc, s0, v9
	s_and_b64 exec, exec, vcc
	s_cbranch_execz .LBB131_21
; %bb.4:
	s_load_dwordx8 s[8:15], s[4:5], 0x18
	v_ashrrev_i32_e32 v10, 31, v9
	v_lshlrev_b64 v[10:11], 2, v[9:10]
	v_and_b32_e32 v0, 3, v0
	s_cmp_lg_u32 s1, 0
	s_waitcnt lgkmcnt(0)
	v_mov_b32_e32 v12, s9
	v_add_co_u32_e32 v10, vcc, s8, v10
	v_addc_co_u32_e32 v11, vcc, v12, v11, vcc
	global_load_dwordx2 v[10:11], v[10:11], off
	s_waitcnt vmcnt(0)
	v_subrev_u32_e32 v10, s16, v10
	v_subrev_u32_e32 v35, s16, v11
	v_add_u32_e32 v10, v10, v0
	v_cmp_lt_i32_e64 s[0:1], v10, v35
	s_cbranch_scc0 .LBB131_10
; %bb.5:
	v_mov_b32_e32 v23, 0
	v_mov_b32_e32 v25, 0
	;; [unrolled: 1-line block ×16, first 2 shown]
	s_and_saveexec_b64 s[6:7], s[0:1]
	s_cbranch_execz .LBB131_9
; %bb.6:
	v_mad_u64_u32 v[11:12], s[2:3], v10, 24, 20
	v_mov_b32_e32 v23, 0
	v_mov_b32_e32 v25, 0
	;; [unrolled: 1-line block ×9, first 2 shown]
	s_mov_b64 s[8:9], 0
	v_mov_b32_e32 v33, s11
	v_mov_b32_e32 v13, 0
	;; [unrolled: 1-line block ×12, first 2 shown]
.LBB131_7:                              ; =>This Inner Loop Header: Depth=1
	v_ashrrev_i32_e32 v15, 31, v14
	v_lshlrev_b64 v[15:16], 2, v[14:15]
	v_subrev_u32_e32 v12, 20, v11
	v_add_co_u32_e32 v15, vcc, s10, v15
	v_addc_co_u32_e32 v16, vcc, v33, v16, vcc
	v_lshlrev_b64 v[37:38], 4, v[12:13]
	global_load_dword v12, v[15:16], off
	v_mov_b32_e32 v46, v13
	v_add_co_u32_e64 v47, s[2:3], s12, v37
	v_addc_co_u32_e64 v48, vcc, v34, v38, s[2:3]
	v_add_u32_e32 v14, 4, v14
	s_waitcnt vmcnt(0)
	v_subrev_u32_e32 v12, s16, v12
	v_mul_lo_u32 v45, v12, 6
	v_add_u32_e32 v12, -12, v11
	v_lshlrev_b64 v[15:16], 4, v[45:46]
	v_add_co_u32_e32 v49, vcc, s14, v15
	v_addc_co_u32_e32 v50, vcc, v36, v16, vcc
	global_load_dwordx4 v[37:40], v[47:48], off
	global_load_dwordx4 v[41:44], v[49:50], off
	s_waitcnt vmcnt(0)
	v_fma_f64 v[23:24], v[39:40], v[41:42], v[23:24]
	v_fma_f64 v[15:16], v[37:38], v[41:42], v[25:26]
	;; [unrolled: 1-line block ×3, first 2 shown]
	global_load_dwordx4 v[23:26], v[47:48], off offset:16
	v_fma_f64 v[39:40], -v[39:40], v[43:44], v[15:16]
	s_waitcnt vmcnt(0)
	v_fma_f64 v[15:16], v[23:24], v[41:42], v[31:32]
	v_fma_f64 v[29:30], v[25:26], v[41:42], v[29:30]
	v_fma_f64 v[31:32], -v[25:26], v[43:44], v[15:16]
	v_fma_f64 v[29:30], v[23:24], v[43:44], v[29:30]
	global_load_dwordx4 v[23:26], v[47:48], off offset:32
	s_waitcnt vmcnt(0)
	v_fma_f64 v[21:22], v[25:26], v[41:42], v[21:22]
	v_fma_f64 v[15:16], v[23:24], v[41:42], v[27:28]
	;; [unrolled: 1-line block ×3, first 2 shown]
	global_load_dwordx4 v[21:24], v[47:48], off offset:48
	v_fma_f64 v[25:26], -v[25:26], v[43:44], v[15:16]
	s_waitcnt vmcnt(0)
	v_fma_f64 v[15:16], v[21:22], v[41:42], v[17:18]
	v_fma_f64 v[17:18], v[23:24], v[41:42], v[19:20]
	v_fma_f64 v[23:24], -v[23:24], v[43:44], v[15:16]
	v_fma_f64 v[41:42], v[21:22], v[43:44], v[17:18]
	global_load_dwordx4 v[15:18], v[47:48], off offset:64
	global_load_dwordx4 v[19:22], v[49:50], off offset:16
	s_waitcnt vmcnt(0)
	v_fma_f64 v[39:40], v[15:16], v[19:20], v[39:40]
	v_fma_f64 v[37:38], v[17:18], v[19:20], v[37:38]
	v_fma_f64 v[39:40], -v[17:18], v[21:22], v[39:40]
	v_fma_f64 v[37:38], v[15:16], v[21:22], v[37:38]
	global_load_dwordx4 v[15:18], v[47:48], off offset:80
	s_waitcnt vmcnt(0)
	v_fma_f64 v[31:32], v[15:16], v[19:20], v[31:32]
	v_fma_f64 v[29:30], v[17:18], v[19:20], v[29:30]
	v_fma_f64 v[31:32], -v[17:18], v[21:22], v[31:32]
	v_fma_f64 v[29:30], v[15:16], v[21:22], v[29:30]
	;; [unrolled: 6-line block ×4, first 2 shown]
	v_lshlrev_b64 v[15:16], 4, v[12:13]
	v_add_u32_e32 v12, 2, v45
	v_add_co_u32_e32 v43, vcc, s12, v15
	v_addc_co_u32_e32 v44, vcc, v34, v16, vcc
	v_lshlrev_b64 v[15:16], 4, v[12:13]
	v_add_u32_e32 v12, -8, v11
	v_add_co_u32_e32 v46, vcc, s14, v15
	v_addc_co_u32_e32 v47, vcc, v36, v16, vcc
	global_load_dwordx4 v[15:18], v[43:44], off
	global_load_dwordx4 v[19:22], v[46:47], off
	s_waitcnt vmcnt(0)
	v_fma_f64 v[39:40], v[15:16], v[19:20], v[39:40]
	v_fma_f64 v[37:38], v[17:18], v[19:20], v[37:38]
	v_fma_f64 v[39:40], -v[17:18], v[21:22], v[39:40]
	v_fma_f64 v[37:38], v[15:16], v[21:22], v[37:38]
	global_load_dwordx4 v[15:18], v[43:44], off offset:16
	s_waitcnt vmcnt(0)
	v_fma_f64 v[31:32], v[15:16], v[19:20], v[31:32]
	v_fma_f64 v[29:30], v[17:18], v[19:20], v[29:30]
	v_fma_f64 v[31:32], -v[17:18], v[21:22], v[31:32]
	v_fma_f64 v[29:30], v[15:16], v[21:22], v[29:30]
	global_load_dwordx4 v[15:18], v[43:44], off offset:32
	;; [unrolled: 6-line block ×3, first 2 shown]
	s_waitcnt vmcnt(0)
	v_fma_f64 v[23:24], v[15:16], v[19:20], v[23:24]
	v_fma_f64 v[19:20], v[17:18], v[19:20], v[41:42]
	v_fma_f64 v[23:24], -v[17:18], v[21:22], v[23:24]
	v_fma_f64 v[41:42], v[15:16], v[21:22], v[19:20]
	v_lshlrev_b64 v[18:19], 4, v[12:13]
	v_add_u32_e32 v12, -4, v11
	v_add_co_u32_e32 v43, vcc, s12, v18
	v_addc_co_u32_e32 v44, vcc, v34, v19, vcc
	global_load_dwordx4 v[15:18], v[46:47], off offset:16
	global_load_dwordx4 v[19:22], v[43:44], off
	s_waitcnt vmcnt(0)
	v_fma_f64 v[39:40], v[19:20], v[15:16], v[39:40]
	v_fma_f64 v[37:38], v[21:22], v[15:16], v[37:38]
	v_fma_f64 v[39:40], -v[21:22], v[17:18], v[39:40]
	v_fma_f64 v[37:38], v[19:20], v[17:18], v[37:38]
	global_load_dwordx4 v[19:22], v[43:44], off offset:16
	s_waitcnt vmcnt(0)
	v_fma_f64 v[31:32], v[19:20], v[15:16], v[31:32]
	v_fma_f64 v[29:30], v[21:22], v[15:16], v[29:30]
	v_fma_f64 v[46:47], -v[21:22], v[17:18], v[31:32]
	v_fma_f64 v[48:49], v[19:20], v[17:18], v[29:30]
	global_load_dwordx4 v[19:22], v[43:44], off offset:32
	;; [unrolled: 6-line block ×3, first 2 shown]
	v_lshlrev_b64 v[25:26], 4, v[12:13]
	v_add_u32_e32 v12, 4, v45
	v_add_co_u32_e32 v54, vcc, s12, v25
	v_addc_co_u32_e32 v55, vcc, v34, v26, vcc
	s_waitcnt vmcnt(0)
	v_fma_f64 v[23:24], v[19:20], v[15:16], v[23:24]
	v_fma_f64 v[15:16], v[21:22], v[15:16], v[41:42]
	v_fma_f64 v[41:42], -v[21:22], v[17:18], v[23:24]
	v_fma_f64 v[43:44], v[19:20], v[17:18], v[15:16]
	v_lshlrev_b64 v[18:19], 4, v[12:13]
	v_mov_b32_e32 v12, v13
	v_add_co_u32_e32 v23, vcc, s14, v18
	v_addc_co_u32_e32 v24, vcc, v36, v19, vcc
	global_load_dwordx4 v[15:18], v[54:55], off
	global_load_dwordx4 v[29:32], v[23:24], off
	s_waitcnt vmcnt(0)
	v_fma_f64 v[19:20], v[15:16], v[29:30], v[39:40]
	v_fma_f64 v[21:22], v[17:18], v[29:30], v[37:38]
	global_load_dwordx4 v[37:40], v[54:55], off offset:32
	v_fma_f64 v[25:26], -v[17:18], v[31:32], v[19:20]
	v_fma_f64 v[27:28], v[15:16], v[31:32], v[21:22]
	global_load_dwordx4 v[15:18], v[54:55], off offset:16
	s_waitcnt vmcnt(0)
	v_fma_f64 v[19:20], v[15:16], v[29:30], v[46:47]
	v_fma_f64 v[21:22], v[17:18], v[29:30], v[48:49]
	v_fma_f64 v[19:20], -v[17:18], v[31:32], v[19:20]
	v_fma_f64 v[21:22], v[15:16], v[31:32], v[21:22]
	v_fma_f64 v[15:16], v[37:38], v[29:30], v[50:51]
	;; [unrolled: 1-line block ×3, first 2 shown]
	v_fma_f64 v[15:16], -v[39:40], v[31:32], v[15:16]
	v_fma_f64 v[17:18], v[37:38], v[31:32], v[17:18]
	global_load_dwordx4 v[37:40], v[54:55], off offset:48
	s_waitcnt vmcnt(0)
	v_fma_f64 v[41:42], v[37:38], v[29:30], v[41:42]
	v_fma_f64 v[29:30], v[39:40], v[29:30], v[43:44]
	v_fma_f64 v[41:42], -v[39:40], v[31:32], v[41:42]
	v_fma_f64 v[43:44], v[37:38], v[31:32], v[29:30]
	v_lshlrev_b64 v[29:30], 4, v[11:12]
	v_add_u32_e32 v11, 0x60, v11
	v_add_co_u32_e32 v45, vcc, s12, v29
	v_addc_co_u32_e32 v46, vcc, v34, v30, vcc
	global_load_dwordx4 v[29:32], v[45:46], off
	global_load_dwordx4 v[37:40], v[23:24], off offset:16
	v_cmp_ge_i32_e32 vcc, v14, v35
	s_or_b64 s[8:9], vcc, s[8:9]
	s_waitcnt vmcnt(0)
	v_fma_f64 v[23:24], v[29:30], v[37:38], v[25:26]
	v_fma_f64 v[27:28], v[31:32], v[37:38], v[27:28]
	v_fma_f64 v[25:26], -v[31:32], v[39:40], v[23:24]
	v_fma_f64 v[23:24], v[29:30], v[39:40], v[27:28]
	global_load_dwordx4 v[27:30], v[45:46], off offset:16
	s_waitcnt vmcnt(0)
	v_fma_f64 v[19:20], v[27:28], v[37:38], v[19:20]
	v_fma_f64 v[21:22], v[29:30], v[37:38], v[21:22]
	v_fma_f64 v[31:32], -v[29:30], v[39:40], v[19:20]
	v_fma_f64 v[29:30], v[27:28], v[39:40], v[21:22]
	global_load_dwordx4 v[19:22], v[45:46], off offset:32
	;; [unrolled: 6-line block ×3, first 2 shown]
	s_waitcnt vmcnt(0)
	v_fma_f64 v[19:20], v[15:16], v[37:38], v[41:42]
	v_fma_f64 v[37:38], v[17:18], v[37:38], v[43:44]
	v_fma_f64 v[17:18], -v[17:18], v[39:40], v[19:20]
	v_fma_f64 v[19:20], v[15:16], v[39:40], v[37:38]
	s_andn2_b64 exec, exec, s[8:9]
	s_cbranch_execnz .LBB131_7
; %bb.8:
	s_or_b64 exec, exec, s[8:9]
.LBB131_9:
	s_or_b64 exec, exec, s[6:7]
	s_cbranch_execz .LBB131_11
	s_branch .LBB131_16
.LBB131_10:
                                        ; implicit-def: $vgpr23_vgpr24
                                        ; implicit-def: $vgpr25_vgpr26
                                        ; implicit-def: $vgpr17_vgpr18
                                        ; implicit-def: $vgpr19_vgpr20
                                        ; implicit-def: $vgpr27_vgpr28
                                        ; implicit-def: $vgpr21_vgpr22
                                        ; implicit-def: $vgpr31_vgpr32
                                        ; implicit-def: $vgpr29_vgpr30
.LBB131_11:
	v_mov_b32_e32 v23, 0
	v_mov_b32_e32 v25, 0
	;; [unrolled: 1-line block ×16, first 2 shown]
	s_and_saveexec_b64 s[2:3], s[0:1]
	s_cbranch_execz .LBB131_15
; %bb.12:
	v_mad_u64_u32 v[12:13], s[0:1], v10, 24, 23
	v_mov_b32_e32 v23, 0
	v_mov_b32_e32 v25, 0
	;; [unrolled: 1-line block ×9, first 2 shown]
	s_mov_b64 s[6:7], 0
	v_mov_b32_e32 v36, s11
	v_mov_b32_e32 v14, 0
	;; [unrolled: 1-line block ×11, first 2 shown]
.LBB131_13:                             ; =>This Inner Loop Header: Depth=1
	v_ashrrev_i32_e32 v11, 31, v10
	v_lshlrev_b64 v[15:16], 2, v[10:11]
	v_subrev_u32_e32 v13, 23, v12
	v_add_co_u32_e32 v41, vcc, s10, v15
	v_addc_co_u32_e32 v42, vcc, v36, v16, vcc
	global_load_dword v11, v[41:42], off
	v_lshlrev_b64 v[39:40], 4, v[13:14]
	v_mov_b32_e32 v34, v14
	v_add_co_u32_e64 v15, s[0:1], s12, v39
	v_addc_co_u32_e64 v16, vcc, v37, v40, s[0:1]
	v_add_u32_e32 v13, -10, v12
	v_add_u32_e32 v10, 4, v10
	s_waitcnt vmcnt(0)
	v_subrev_u32_e32 v11, s16, v11
	v_mul_lo_u32 v33, v11, 6
	v_lshlrev_b64 v[39:40], 4, v[33:34]
	v_add_co_u32_e32 v47, vcc, s14, v39
	v_addc_co_u32_e32 v48, vcc, v38, v40, vcc
	global_load_dwordx4 v[39:42], v[15:16], off
	global_load_dwordx4 v[43:46], v[47:48], off
	s_waitcnt vmcnt(0)
	v_fma_f64 v[25:26], v[39:40], v[43:44], v[25:26]
	v_fma_f64 v[23:24], v[41:42], v[43:44], v[23:24]
	v_fma_f64 v[41:42], -v[41:42], v[45:46], v[25:26]
	v_fma_f64 v[39:40], v[39:40], v[45:46], v[23:24]
	global_load_dwordx4 v[23:26], v[15:16], off offset:96
	s_waitcnt vmcnt(0)
	v_fma_f64 v[29:30], v[25:26], v[43:44], v[29:30]
	v_fma_f64 v[31:32], v[23:24], v[43:44], v[31:32]
	;; [unrolled: 1-line block ×3, first 2 shown]
	v_add_u32_e32 v23, -11, v12
	v_mov_b32_e32 v24, v14
	v_lshlrev_b64 v[23:24], 4, v[23:24]
	v_fma_f64 v[31:32], -v[25:26], v[45:46], v[31:32]
	v_add_co_u32_e32 v23, vcc, s12, v23
	v_addc_co_u32_e32 v24, vcc, v37, v24, vcc
	global_load_dwordx4 v[23:26], v[23:24], off
	s_waitcnt vmcnt(0)
	v_fma_f64 v[27:28], v[23:24], v[43:44], v[27:28]
	v_fma_f64 v[21:22], v[25:26], v[43:44], v[21:22]
	v_fma_f64 v[25:26], -v[25:26], v[45:46], v[27:28]
	v_fma_f64 v[27:28], v[23:24], v[45:46], v[21:22]
	v_add_u32_e32 v21, -5, v12
	v_mov_b32_e32 v22, v14
	v_lshlrev_b64 v[21:22], 4, v[21:22]
	v_add_co_u32_e32 v21, vcc, s12, v21
	v_addc_co_u32_e32 v22, vcc, v37, v22, vcc
	global_load_dwordx4 v[21:24], v[21:22], off
	s_waitcnt vmcnt(0)
	v_fma_f64 v[17:18], v[21:22], v[43:44], v[17:18]
	v_fma_f64 v[19:20], v[23:24], v[43:44], v[19:20]
	v_fma_f64 v[43:44], -v[23:24], v[45:46], v[17:18]
	v_fma_f64 v[45:46], v[21:22], v[45:46], v[19:20]
	global_load_dwordx4 v[17:20], v[15:16], off offset:16
	global_load_dwordx4 v[21:24], v[47:48], off offset:16
	s_waitcnt vmcnt(0)
	v_fma_f64 v[41:42], v[17:18], v[21:22], v[41:42]
	v_fma_f64 v[39:40], v[19:20], v[21:22], v[39:40]
	v_fma_f64 v[41:42], -v[19:20], v[23:24], v[41:42]
	v_fma_f64 v[39:40], v[17:18], v[23:24], v[39:40]
	global_load_dwordx4 v[17:20], v[15:16], off offset:112
	s_waitcnt vmcnt(0)
	v_fma_f64 v[29:30], v[19:20], v[21:22], v[29:30]
	v_fma_f64 v[31:32], v[17:18], v[21:22], v[31:32]
	;; [unrolled: 1-line block ×3, first 2 shown]
	v_lshlrev_b64 v[17:18], 4, v[13:14]
	v_fma_f64 v[31:32], -v[19:20], v[23:24], v[31:32]
	v_add_co_u32_e32 v17, vcc, s12, v17
	v_addc_co_u32_e32 v18, vcc, v37, v18, vcc
	global_load_dwordx4 v[17:20], v[17:18], off
	v_add_u32_e32 v13, -4, v12
	s_waitcnt vmcnt(0)
	v_fma_f64 v[27:28], v[19:20], v[21:22], v[27:28]
	v_fma_f64 v[25:26], v[17:18], v[21:22], v[25:26]
	;; [unrolled: 1-line block ×3, first 2 shown]
	v_lshlrev_b64 v[17:18], 4, v[13:14]
	v_fma_f64 v[25:26], -v[19:20], v[23:24], v[25:26]
	v_add_co_u32_e32 v17, vcc, s12, v17
	v_addc_co_u32_e32 v18, vcc, v37, v18, vcc
	global_load_dwordx4 v[17:20], v[17:18], off
	v_add_u32_e32 v13, 2, v33
	s_waitcnt vmcnt(0)
	v_fma_f64 v[43:44], v[17:18], v[21:22], v[43:44]
	v_fma_f64 v[21:22], v[19:20], v[21:22], v[45:46]
	v_fma_f64 v[43:44], -v[19:20], v[23:24], v[43:44]
	v_fma_f64 v[45:46], v[17:18], v[23:24], v[21:22]
	v_lshlrev_b64 v[17:18], 4, v[13:14]
	v_add_u32_e32 v13, -15, v12
	v_add_co_u32_e32 v47, vcc, s14, v17
	v_addc_co_u32_e32 v48, vcc, v38, v18, vcc
	global_load_dwordx4 v[17:20], v[15:16], off offset:32
	global_load_dwordx4 v[21:24], v[47:48], off
	s_waitcnt vmcnt(0)
	v_fma_f64 v[39:40], v[19:20], v[21:22], v[39:40]
	v_fma_f64 v[41:42], v[17:18], v[21:22], v[41:42]
	v_fma_f64 v[39:40], v[17:18], v[23:24], v[39:40]
	v_lshlrev_b64 v[17:18], 4, v[13:14]
	v_fma_f64 v[41:42], -v[19:20], v[23:24], v[41:42]
	v_add_co_u32_e32 v17, vcc, s12, v17
	v_addc_co_u32_e32 v18, vcc, v37, v18, vcc
	global_load_dwordx4 v[17:20], v[17:18], off
	v_add_u32_e32 v13, -9, v12
	s_waitcnt vmcnt(0)
	v_fma_f64 v[29:30], v[19:20], v[21:22], v[29:30]
	v_fma_f64 v[31:32], v[17:18], v[21:22], v[31:32]
	v_fma_f64 v[29:30], v[17:18], v[23:24], v[29:30]
	v_lshlrev_b64 v[17:18], 4, v[13:14]
	v_fma_f64 v[31:32], -v[19:20], v[23:24], v[31:32]
	v_add_co_u32_e32 v17, vcc, s12, v17
	v_addc_co_u32_e32 v18, vcc, v37, v18, vcc
	global_load_dwordx4 v[17:20], v[17:18], off
	v_add_u32_e32 v13, -3, v12
	;; [unrolled: 10-line block ×3, first 2 shown]
	s_waitcnt vmcnt(0)
	v_fma_f64 v[43:44], v[17:18], v[21:22], v[43:44]
	v_fma_f64 v[21:22], v[19:20], v[21:22], v[45:46]
	v_fma_f64 v[43:44], -v[19:20], v[23:24], v[43:44]
	v_fma_f64 v[45:46], v[17:18], v[23:24], v[21:22]
	global_load_dwordx4 v[17:20], v[15:16], off offset:48
	global_load_dwordx4 v[21:24], v[47:48], off offset:16
	s_waitcnt vmcnt(0)
	v_fma_f64 v[39:40], v[19:20], v[21:22], v[39:40]
	v_fma_f64 v[41:42], v[17:18], v[21:22], v[41:42]
	;; [unrolled: 1-line block ×3, first 2 shown]
	v_lshlrev_b64 v[17:18], 4, v[13:14]
	v_fma_f64 v[47:48], -v[19:20], v[23:24], v[41:42]
	v_add_co_u32_e32 v17, vcc, s12, v17
	v_addc_co_u32_e32 v18, vcc, v37, v18, vcc
	global_load_dwordx4 v[17:20], v[17:18], off
	v_add_u32_e32 v13, -8, v12
	s_waitcnt vmcnt(0)
	v_fma_f64 v[29:30], v[19:20], v[21:22], v[29:30]
	v_fma_f64 v[31:32], v[17:18], v[21:22], v[31:32]
	;; [unrolled: 1-line block ×3, first 2 shown]
	v_lshlrev_b64 v[17:18], 4, v[13:14]
	v_fma_f64 v[31:32], -v[19:20], v[23:24], v[31:32]
	v_add_co_u32_e32 v17, vcc, s12, v17
	v_addc_co_u32_e32 v18, vcc, v37, v18, vcc
	global_load_dwordx4 v[17:20], v[17:18], off
	v_add_u32_e32 v13, -2, v12
	s_waitcnt vmcnt(0)
	v_fma_f64 v[27:28], v[19:20], v[21:22], v[27:28]
	v_fma_f64 v[25:26], v[17:18], v[21:22], v[25:26]
	;; [unrolled: 1-line block ×3, first 2 shown]
	v_lshlrev_b64 v[17:18], 4, v[13:14]
	v_fma_f64 v[51:52], -v[19:20], v[23:24], v[25:26]
	v_add_co_u32_e32 v17, vcc, s12, v17
	v_addc_co_u32_e32 v18, vcc, v37, v18, vcc
	global_load_dwordx4 v[17:20], v[17:18], off
	v_add_u32_e32 v13, 4, v33
	s_waitcnt vmcnt(0)
	v_fma_f64 v[25:26], v[17:18], v[21:22], v[43:44]
	v_fma_f64 v[21:22], v[19:20], v[21:22], v[45:46]
	v_fma_f64 v[43:44], -v[19:20], v[23:24], v[25:26]
	v_fma_f64 v[45:46], v[17:18], v[23:24], v[21:22]
	v_lshlrev_b64 v[21:22], 4, v[13:14]
	global_load_dwordx4 v[17:20], v[15:16], off offset:64
	v_add_co_u32_e32 v23, vcc, s14, v21
	v_addc_co_u32_e32 v24, vcc, v38, v22, vcc
	global_load_dwordx4 v[39:42], v[23:24], off
	v_add_u32_e32 v13, -13, v12
	s_waitcnt vmcnt(0)
	v_fma_f64 v[33:34], v[19:20], v[39:40], v[49:50]
	v_fma_f64 v[21:22], v[17:18], v[39:40], v[47:48]
	;; [unrolled: 1-line block ×3, first 2 shown]
	v_lshlrev_b64 v[17:18], 4, v[13:14]
	v_fma_f64 v[25:26], -v[19:20], v[41:42], v[21:22]
	v_add_co_u32_e32 v17, vcc, s12, v17
	v_addc_co_u32_e32 v18, vcc, v37, v18, vcc
	global_load_dwordx4 v[17:20], v[17:18], off
	v_add_u32_e32 v13, -7, v12
	s_waitcnt vmcnt(0)
	v_fma_f64 v[21:22], v[17:18], v[39:40], v[31:32]
	v_fma_f64 v[31:32], v[19:20], v[39:40], v[29:30]
	v_fma_f64 v[29:30], -v[19:20], v[41:42], v[21:22]
	v_fma_f64 v[31:32], v[17:18], v[41:42], v[31:32]
	v_lshlrev_b64 v[17:18], 4, v[13:14]
	v_add_u32_e32 v13, -1, v12
	v_add_co_u32_e32 v17, vcc, s12, v17
	v_addc_co_u32_e32 v18, vcc, v37, v18, vcc
	global_load_dwordx4 v[17:20], v[17:18], off
	s_waitcnt vmcnt(0)
	v_fma_f64 v[27:28], v[19:20], v[39:40], v[27:28]
	v_fma_f64 v[21:22], v[17:18], v[39:40], v[51:52]
	;; [unrolled: 1-line block ×3, first 2 shown]
	v_lshlrev_b64 v[17:18], 4, v[13:14]
	v_fma_f64 v[21:22], -v[19:20], v[41:42], v[21:22]
	v_add_co_u32_e32 v17, vcc, s12, v17
	v_addc_co_u32_e32 v18, vcc, v37, v18, vcc
	global_load_dwordx4 v[17:20], v[17:18], off
	v_mov_b32_e32 v13, v14
	s_waitcnt vmcnt(0)
	v_fma_f64 v[43:44], v[17:18], v[39:40], v[43:44]
	v_fma_f64 v[39:40], v[19:20], v[39:40], v[45:46]
	v_fma_f64 v[19:20], -v[19:20], v[41:42], v[43:44]
	v_fma_f64 v[17:18], v[17:18], v[41:42], v[39:40]
	v_lshlrev_b64 v[39:40], 4, v[12:13]
	global_load_dwordx4 v[43:46], v[23:24], off offset:16
	v_add_co_u32_e32 v47, vcc, s12, v39
	v_addc_co_u32_e32 v48, vcc, v37, v40, vcc
	global_load_dwordx4 v[39:42], v[15:16], off offset:80
	v_add_u32_e32 v13, -12, v12
	s_waitcnt vmcnt(0)
	v_fma_f64 v[15:16], v[39:40], v[43:44], v[25:26]
	v_fma_f64 v[23:24], v[41:42], v[43:44], v[33:34]
	v_fma_f64 v[25:26], -v[41:42], v[45:46], v[15:16]
	v_lshlrev_b64 v[15:16], 4, v[13:14]
	v_fma_f64 v[23:24], v[39:40], v[45:46], v[23:24]
	v_add_co_u32_e32 v15, vcc, s12, v15
	v_addc_co_u32_e32 v16, vcc, v37, v16, vcc
	global_load_dwordx4 v[39:42], v[15:16], off
	v_add_u32_e32 v13, -6, v12
	v_add_u32_e32 v12, 0x60, v12
	s_waitcnt vmcnt(0)
	v_fma_f64 v[15:16], v[39:40], v[43:44], v[29:30]
	v_fma_f64 v[29:30], v[41:42], v[43:44], v[31:32]
	v_fma_f64 v[31:32], -v[41:42], v[45:46], v[15:16]
	v_lshlrev_b64 v[15:16], 4, v[13:14]
	v_fma_f64 v[29:30], v[39:40], v[45:46], v[29:30]
	v_add_co_u32_e32 v15, vcc, s12, v15
	v_addc_co_u32_e32 v16, vcc, v37, v16, vcc
	global_load_dwordx4 v[39:42], v[15:16], off
	v_cmp_ge_i32_e32 vcc, v10, v35
	s_or_b64 s[6:7], vcc, s[6:7]
	s_waitcnt vmcnt(0)
	v_fma_f64 v[15:16], v[39:40], v[43:44], v[21:22]
	v_fma_f64 v[21:22], v[41:42], v[43:44], v[27:28]
	v_fma_f64 v[27:28], -v[41:42], v[45:46], v[15:16]
	v_fma_f64 v[21:22], v[39:40], v[45:46], v[21:22]
	global_load_dwordx4 v[39:42], v[47:48], off
	s_waitcnt vmcnt(0)
	v_fma_f64 v[15:16], v[39:40], v[43:44], v[19:20]
	v_fma_f64 v[19:20], v[41:42], v[43:44], v[17:18]
	v_fma_f64 v[17:18], -v[41:42], v[45:46], v[15:16]
	v_fma_f64 v[19:20], v[39:40], v[45:46], v[19:20]
	s_andn2_b64 exec, exec, s[6:7]
	s_cbranch_execnz .LBB131_13
; %bb.14:
	s_or_b64 exec, exec, s[6:7]
.LBB131_15:
	s_or_b64 exec, exec, s[2:3]
.LBB131_16:
	v_mov_b32_dpp v33, v27 row_shr:1 row_mask:0xf bank_mask:0xf
	v_mov_b32_dpp v34, v28 row_shr:1 row_mask:0xf bank_mask:0xf
	v_add_f64 v[33:34], v[27:28], v[33:34]
	v_mov_b32_dpp v27, v21 row_shr:1 row_mask:0xf bank_mask:0xf
	v_mov_b32_dpp v28, v22 row_shr:1 row_mask:0xf bank_mask:0xf
	v_mov_b32_dpp v12, v23 row_shr:1 row_mask:0xf bank_mask:0xf
	v_mov_b32_dpp v13, v24 row_shr:1 row_mask:0xf bank_mask:0xf
	v_add_f64 v[37:38], v[21:22], v[27:28]
	v_mov_b32_dpp v21, v17 row_shr:1 row_mask:0xf bank_mask:0xf
	v_mov_b32_dpp v22, v18 row_shr:1 row_mask:0xf bank_mask:0xf
	;; [unrolled: 5-line block ×4, first 2 shown]
	v_add_f64 v[10:11], v[25:26], v[10:11]
	v_add_f64 v[14:15], v[31:32], v[14:15]
	;; [unrolled: 1-line block ×4, first 2 shown]
	v_mov_b32_dpp v23, v12 row_shr:2 row_mask:0xf bank_mask:0xf
	v_mov_b32_dpp v24, v13 row_shr:2 row_mask:0xf bank_mask:0xf
	;; [unrolled: 1-line block ×16, first 2 shown]
	v_cmp_eq_u32_e32 vcc, 3, v0
	s_and_b64 exec, exec, vcc
	s_cbranch_execz .LBB131_21
; %bb.17:
	v_cmp_eq_f64_e32 vcc, 0, v[5:6]
	v_cmp_eq_f64_e64 s[0:1], 0, v[7:8]
	v_add_f64 v[16:17], v[10:11], v[35:36]
	v_add_f64 v[24:25], v[12:13], v[23:24]
	;; [unrolled: 1-line block ×8, first 2 shown]
	s_load_dwordx2 s[2:3], s[4:5], 0x48
	s_and_b64 s[0:1], vcc, s[0:1]
	s_and_saveexec_b64 s[4:5], s[0:1]
	s_xor_b64 s[0:1], exec, s[4:5]
	s_cbranch_execz .LBB131_19
; %bb.18:
	v_mul_f64 v[5:6], v[24:25], -v[3:4]
	v_mul_f64 v[7:8], v[1:2], v[24:25]
	v_mul_f64 v[26:27], v[22:23], -v[3:4]
	v_mul_f64 v[22:23], v[1:2], v[22:23]
	;; [unrolled: 2-line block ×4, first 2 shown]
	v_fma_f64 v[5:6], v[1:2], v[16:17], v[5:6]
	v_fma_f64 v[7:8], v[3:4], v[16:17], v[7:8]
	;; [unrolled: 1-line block ×4, first 2 shown]
	v_lshlrev_b32_e32 v24, 2, v9
	v_fma_f64 v[9:10], v[1:2], v[12:13], v[28:29]
	v_fma_f64 v[11:12], v[3:4], v[12:13], v[20:21]
	v_ashrrev_i32_e32 v25, 31, v24
	v_fma_f64 v[0:1], v[1:2], v[14:15], v[30:31]
	v_fma_f64 v[2:3], v[3:4], v[14:15], v[32:33]
	v_lshlrev_b64 v[24:25], 4, v[24:25]
	s_waitcnt lgkmcnt(0)
	v_mov_b32_e32 v34, s3
	v_add_co_u32_e32 v13, vcc, s2, v24
	v_addc_co_u32_e32 v14, vcc, v34, v25, vcc
	global_store_dwordx4 v[13:14], v[5:8], off
	global_store_dwordx4 v[13:14], v[16:19], off offset:16
	global_store_dwordx4 v[13:14], v[9:12], off offset:32
	global_store_dwordx4 v[13:14], v[0:3], off offset:48
                                        ; implicit-def: $vgpr9
                                        ; implicit-def: $vgpr16_vgpr17
                                        ; implicit-def: $vgpr24_vgpr25
                                        ; implicit-def: $vgpr10_vgpr11
                                        ; implicit-def: $vgpr22_vgpr23
                                        ; implicit-def: $vgpr12_vgpr13
                                        ; implicit-def: $vgpr20_vgpr21
                                        ; implicit-def: $vgpr14_vgpr15
                                        ; implicit-def: $vgpr18_vgpr19
                                        ; implicit-def: $vgpr7_vgpr8
                                        ; implicit-def: $vgpr3_vgpr4
.LBB131_19:
	s_andn2_saveexec_b64 s[0:1], s[0:1]
	s_cbranch_execz .LBB131_21
; %bb.20:
	v_lshlrev_b32_e32 v26, 2, v9
	v_ashrrev_i32_e32 v27, 31, v26
	v_lshlrev_b64 v[26:27], 4, v[26:27]
	s_waitcnt lgkmcnt(0)
	v_mov_b32_e32 v0, s3
	v_add_co_u32_e32 v42, vcc, s2, v26
	v_addc_co_u32_e32 v43, vcc, v0, v27, vcc
	global_load_dwordx4 v[26:29], v[42:43], off
	global_load_dwordx4 v[30:33], v[42:43], off offset:16
	global_load_dwordx4 v[34:37], v[42:43], off offset:32
	;; [unrolled: 1-line block ×3, first 2 shown]
	v_mul_f64 v[44:45], v[24:25], -v[3:4]
	v_mul_f64 v[24:25], v[1:2], v[24:25]
	v_mul_f64 v[46:47], v[22:23], -v[3:4]
	v_mul_f64 v[22:23], v[1:2], v[22:23]
	;; [unrolled: 2-line block ×4, first 2 shown]
	v_fma_f64 v[44:45], v[1:2], v[16:17], v[44:45]
	v_fma_f64 v[16:17], v[3:4], v[16:17], v[24:25]
	;; [unrolled: 1-line block ×8, first 2 shown]
	s_waitcnt vmcnt(3)
	v_fma_f64 v[13:14], v[5:6], v[26:27], v[44:45]
	v_fma_f64 v[15:16], v[7:8], v[26:27], v[16:17]
	s_waitcnt vmcnt(2)
	v_fma_f64 v[17:18], v[5:6], v[30:31], v[24:25]
	v_fma_f64 v[19:20], v[7:8], v[30:31], v[9:10]
	;; [unrolled: 3-line block ×4, first 2 shown]
	v_fma_f64 v[0:1], -v[7:8], v[28:29], v[13:14]
	v_fma_f64 v[2:3], v[5:6], v[28:29], v[15:16]
	v_fma_f64 v[9:10], -v[7:8], v[32:33], v[17:18]
	v_fma_f64 v[11:12], v[5:6], v[32:33], v[19:20]
	v_fma_f64 v[13:14], -v[7:8], v[36:37], v[21:22]
	v_fma_f64 v[15:16], v[5:6], v[36:37], v[23:24]
	v_fma_f64 v[17:18], -v[7:8], v[40:41], v[25:26]
	v_fma_f64 v[19:20], v[5:6], v[40:41], v[30:31]
	global_store_dwordx4 v[42:43], v[0:3], off
	global_store_dwordx4 v[42:43], v[9:12], off offset:16
	global_store_dwordx4 v[42:43], v[13:16], off offset:32
	global_store_dwordx4 v[42:43], v[17:20], off offset:48
.LBB131_21:
	s_endpgm
	.section	.rodata,"a",@progbits
	.p2align	6, 0x0
	.amdhsa_kernel _ZN9rocsparseL19gebsrmvn_4xn_kernelILj128ELj6ELj4E21rocsparse_complex_numIdEEEvi20rocsparse_direction_NS_24const_host_device_scalarIT2_EEPKiS8_PKS5_SA_S6_PS5_21rocsparse_index_base_b
		.amdhsa_group_segment_fixed_size 0
		.amdhsa_private_segment_fixed_size 0
		.amdhsa_kernarg_size 88
		.amdhsa_user_sgpr_count 6
		.amdhsa_user_sgpr_private_segment_buffer 1
		.amdhsa_user_sgpr_dispatch_ptr 0
		.amdhsa_user_sgpr_queue_ptr 0
		.amdhsa_user_sgpr_kernarg_segment_ptr 1
		.amdhsa_user_sgpr_dispatch_id 0
		.amdhsa_user_sgpr_flat_scratch_init 0
		.amdhsa_user_sgpr_private_segment_size 0
		.amdhsa_uses_dynamic_stack 0
		.amdhsa_system_sgpr_private_segment_wavefront_offset 0
		.amdhsa_system_sgpr_workgroup_id_x 1
		.amdhsa_system_sgpr_workgroup_id_y 0
		.amdhsa_system_sgpr_workgroup_id_z 0
		.amdhsa_system_sgpr_workgroup_info 0
		.amdhsa_system_vgpr_workitem_id 0
		.amdhsa_next_free_vgpr 56
		.amdhsa_next_free_sgpr 18
		.amdhsa_reserve_vcc 1
		.amdhsa_reserve_flat_scratch 0
		.amdhsa_float_round_mode_32 0
		.amdhsa_float_round_mode_16_64 0
		.amdhsa_float_denorm_mode_32 3
		.amdhsa_float_denorm_mode_16_64 3
		.amdhsa_dx10_clamp 1
		.amdhsa_ieee_mode 1
		.amdhsa_fp16_overflow 0
		.amdhsa_exception_fp_ieee_invalid_op 0
		.amdhsa_exception_fp_denorm_src 0
		.amdhsa_exception_fp_ieee_div_zero 0
		.amdhsa_exception_fp_ieee_overflow 0
		.amdhsa_exception_fp_ieee_underflow 0
		.amdhsa_exception_fp_ieee_inexact 0
		.amdhsa_exception_int_div_zero 0
	.end_amdhsa_kernel
	.section	.text._ZN9rocsparseL19gebsrmvn_4xn_kernelILj128ELj6ELj4E21rocsparse_complex_numIdEEEvi20rocsparse_direction_NS_24const_host_device_scalarIT2_EEPKiS8_PKS5_SA_S6_PS5_21rocsparse_index_base_b,"axG",@progbits,_ZN9rocsparseL19gebsrmvn_4xn_kernelILj128ELj6ELj4E21rocsparse_complex_numIdEEEvi20rocsparse_direction_NS_24const_host_device_scalarIT2_EEPKiS8_PKS5_SA_S6_PS5_21rocsparse_index_base_b,comdat
.Lfunc_end131:
	.size	_ZN9rocsparseL19gebsrmvn_4xn_kernelILj128ELj6ELj4E21rocsparse_complex_numIdEEEvi20rocsparse_direction_NS_24const_host_device_scalarIT2_EEPKiS8_PKS5_SA_S6_PS5_21rocsparse_index_base_b, .Lfunc_end131-_ZN9rocsparseL19gebsrmvn_4xn_kernelILj128ELj6ELj4E21rocsparse_complex_numIdEEEvi20rocsparse_direction_NS_24const_host_device_scalarIT2_EEPKiS8_PKS5_SA_S6_PS5_21rocsparse_index_base_b
                                        ; -- End function
	.set _ZN9rocsparseL19gebsrmvn_4xn_kernelILj128ELj6ELj4E21rocsparse_complex_numIdEEEvi20rocsparse_direction_NS_24const_host_device_scalarIT2_EEPKiS8_PKS5_SA_S6_PS5_21rocsparse_index_base_b.num_vgpr, 56
	.set _ZN9rocsparseL19gebsrmvn_4xn_kernelILj128ELj6ELj4E21rocsparse_complex_numIdEEEvi20rocsparse_direction_NS_24const_host_device_scalarIT2_EEPKiS8_PKS5_SA_S6_PS5_21rocsparse_index_base_b.num_agpr, 0
	.set _ZN9rocsparseL19gebsrmvn_4xn_kernelILj128ELj6ELj4E21rocsparse_complex_numIdEEEvi20rocsparse_direction_NS_24const_host_device_scalarIT2_EEPKiS8_PKS5_SA_S6_PS5_21rocsparse_index_base_b.numbered_sgpr, 18
	.set _ZN9rocsparseL19gebsrmvn_4xn_kernelILj128ELj6ELj4E21rocsparse_complex_numIdEEEvi20rocsparse_direction_NS_24const_host_device_scalarIT2_EEPKiS8_PKS5_SA_S6_PS5_21rocsparse_index_base_b.num_named_barrier, 0
	.set _ZN9rocsparseL19gebsrmvn_4xn_kernelILj128ELj6ELj4E21rocsparse_complex_numIdEEEvi20rocsparse_direction_NS_24const_host_device_scalarIT2_EEPKiS8_PKS5_SA_S6_PS5_21rocsparse_index_base_b.private_seg_size, 0
	.set _ZN9rocsparseL19gebsrmvn_4xn_kernelILj128ELj6ELj4E21rocsparse_complex_numIdEEEvi20rocsparse_direction_NS_24const_host_device_scalarIT2_EEPKiS8_PKS5_SA_S6_PS5_21rocsparse_index_base_b.uses_vcc, 1
	.set _ZN9rocsparseL19gebsrmvn_4xn_kernelILj128ELj6ELj4E21rocsparse_complex_numIdEEEvi20rocsparse_direction_NS_24const_host_device_scalarIT2_EEPKiS8_PKS5_SA_S6_PS5_21rocsparse_index_base_b.uses_flat_scratch, 0
	.set _ZN9rocsparseL19gebsrmvn_4xn_kernelILj128ELj6ELj4E21rocsparse_complex_numIdEEEvi20rocsparse_direction_NS_24const_host_device_scalarIT2_EEPKiS8_PKS5_SA_S6_PS5_21rocsparse_index_base_b.has_dyn_sized_stack, 0
	.set _ZN9rocsparseL19gebsrmvn_4xn_kernelILj128ELj6ELj4E21rocsparse_complex_numIdEEEvi20rocsparse_direction_NS_24const_host_device_scalarIT2_EEPKiS8_PKS5_SA_S6_PS5_21rocsparse_index_base_b.has_recursion, 0
	.set _ZN9rocsparseL19gebsrmvn_4xn_kernelILj128ELj6ELj4E21rocsparse_complex_numIdEEEvi20rocsparse_direction_NS_24const_host_device_scalarIT2_EEPKiS8_PKS5_SA_S6_PS5_21rocsparse_index_base_b.has_indirect_call, 0
	.section	.AMDGPU.csdata,"",@progbits
; Kernel info:
; codeLenInByte = 4568
; TotalNumSgprs: 22
; NumVgprs: 56
; ScratchSize: 0
; MemoryBound: 1
; FloatMode: 240
; IeeeMode: 1
; LDSByteSize: 0 bytes/workgroup (compile time only)
; SGPRBlocks: 2
; VGPRBlocks: 13
; NumSGPRsForWavesPerEU: 22
; NumVGPRsForWavesPerEU: 56
; Occupancy: 4
; WaveLimiterHint : 1
; COMPUTE_PGM_RSRC2:SCRATCH_EN: 0
; COMPUTE_PGM_RSRC2:USER_SGPR: 6
; COMPUTE_PGM_RSRC2:TRAP_HANDLER: 0
; COMPUTE_PGM_RSRC2:TGID_X_EN: 1
; COMPUTE_PGM_RSRC2:TGID_Y_EN: 0
; COMPUTE_PGM_RSRC2:TGID_Z_EN: 0
; COMPUTE_PGM_RSRC2:TIDIG_COMP_CNT: 0
	.section	.text._ZN9rocsparseL19gebsrmvn_4xn_kernelILj128ELj6ELj8E21rocsparse_complex_numIdEEEvi20rocsparse_direction_NS_24const_host_device_scalarIT2_EEPKiS8_PKS5_SA_S6_PS5_21rocsparse_index_base_b,"axG",@progbits,_ZN9rocsparseL19gebsrmvn_4xn_kernelILj128ELj6ELj8E21rocsparse_complex_numIdEEEvi20rocsparse_direction_NS_24const_host_device_scalarIT2_EEPKiS8_PKS5_SA_S6_PS5_21rocsparse_index_base_b,comdat
	.globl	_ZN9rocsparseL19gebsrmvn_4xn_kernelILj128ELj6ELj8E21rocsparse_complex_numIdEEEvi20rocsparse_direction_NS_24const_host_device_scalarIT2_EEPKiS8_PKS5_SA_S6_PS5_21rocsparse_index_base_b ; -- Begin function _ZN9rocsparseL19gebsrmvn_4xn_kernelILj128ELj6ELj8E21rocsparse_complex_numIdEEEvi20rocsparse_direction_NS_24const_host_device_scalarIT2_EEPKiS8_PKS5_SA_S6_PS5_21rocsparse_index_base_b
	.p2align	8
	.type	_ZN9rocsparseL19gebsrmvn_4xn_kernelILj128ELj6ELj8E21rocsparse_complex_numIdEEEvi20rocsparse_direction_NS_24const_host_device_scalarIT2_EEPKiS8_PKS5_SA_S6_PS5_21rocsparse_index_base_b,@function
_ZN9rocsparseL19gebsrmvn_4xn_kernelILj128ELj6ELj8E21rocsparse_complex_numIdEEEvi20rocsparse_direction_NS_24const_host_device_scalarIT2_EEPKiS8_PKS5_SA_S6_PS5_21rocsparse_index_base_b: ; @_ZN9rocsparseL19gebsrmvn_4xn_kernelILj128ELj6ELj8E21rocsparse_complex_numIdEEEvi20rocsparse_direction_NS_24const_host_device_scalarIT2_EEPKiS8_PKS5_SA_S6_PS5_21rocsparse_index_base_b
; %bb.0:
	s_load_dwordx2 s[0:1], s[4:5], 0x8
	s_load_dwordx2 s[2:3], s[4:5], 0x38
	;; [unrolled: 1-line block ×3, first 2 shown]
	s_add_u32 s7, s4, 8
	s_addc_u32 s8, s5, 0
	s_add_u32 s9, s4, 56
	s_addc_u32 s10, s5, 0
	s_waitcnt lgkmcnt(0)
	s_bitcmp1_b32 s17, 0
	s_cselect_b32 s1, s8, s1
	s_cselect_b32 s0, s7, s0
	v_mov_b32_e32 v1, s0
	v_mov_b32_e32 v2, s1
	flat_load_dwordx4 v[1:4], v[1:2]
	s_cselect_b32 s0, s10, s3
	s_cselect_b32 s1, s9, s2
	v_mov_b32_e32 v5, s1
	v_mov_b32_e32 v6, s0
	flat_load_dwordx4 v[5:8], v[5:6]
	s_waitcnt vmcnt(0) lgkmcnt(0)
	v_cmp_eq_f64_e32 vcc, 0, v[1:2]
	v_cmp_eq_f64_e64 s[0:1], 0, v[3:4]
	s_and_b64 s[8:9], vcc, s[0:1]
	s_mov_b64 s[0:1], -1
	s_and_saveexec_b64 s[2:3], s[8:9]
	s_cbranch_execz .LBB132_2
; %bb.1:
	v_cmp_neq_f64_e32 vcc, 1.0, v[5:6]
	v_cmp_neq_f64_e64 s[0:1], 0, v[7:8]
	s_or_b64 s[0:1], vcc, s[0:1]
	s_orn2_b64 s[0:1], s[0:1], exec
.LBB132_2:
	s_or_b64 exec, exec, s[2:3]
	s_and_saveexec_b64 s[2:3], s[0:1]
	s_cbranch_execz .LBB132_21
; %bb.3:
	s_load_dwordx2 s[0:1], s[4:5], 0x0
	v_lshrrev_b32_e32 v9, 3, v0
	v_lshl_or_b32 v9, s6, 4, v9
	s_waitcnt lgkmcnt(0)
	v_cmp_gt_i32_e32 vcc, s0, v9
	s_and_b64 exec, exec, vcc
	s_cbranch_execz .LBB132_21
; %bb.4:
	s_load_dwordx8 s[8:15], s[4:5], 0x18
	v_ashrrev_i32_e32 v10, 31, v9
	v_lshlrev_b64 v[10:11], 2, v[9:10]
	v_and_b32_e32 v0, 7, v0
	s_cmp_lg_u32 s1, 0
	s_waitcnt lgkmcnt(0)
	v_mov_b32_e32 v12, s9
	v_add_co_u32_e32 v10, vcc, s8, v10
	v_addc_co_u32_e32 v11, vcc, v12, v11, vcc
	global_load_dwordx2 v[10:11], v[10:11], off
	s_waitcnt vmcnt(0)
	v_subrev_u32_e32 v10, s16, v10
	v_subrev_u32_e32 v35, s16, v11
	v_add_u32_e32 v10, v10, v0
	v_cmp_lt_i32_e64 s[0:1], v10, v35
	s_cbranch_scc0 .LBB132_10
; %bb.5:
	v_mov_b32_e32 v19, 0
	v_mov_b32_e32 v25, 0
	;; [unrolled: 1-line block ×16, first 2 shown]
	s_and_saveexec_b64 s[6:7], s[0:1]
	s_cbranch_execz .LBB132_9
; %bb.6:
	v_mad_u64_u32 v[11:12], s[2:3], v10, 24, 20
	v_mov_b32_e32 v19, 0
	v_mov_b32_e32 v25, 0
	;; [unrolled: 1-line block ×9, first 2 shown]
	s_mov_b64 s[8:9], 0
	v_mov_b32_e32 v33, s11
	v_mov_b32_e32 v13, 0
	;; [unrolled: 1-line block ×12, first 2 shown]
.LBB132_7:                              ; =>This Inner Loop Header: Depth=1
	v_ashrrev_i32_e32 v15, 31, v14
	v_lshlrev_b64 v[15:16], 2, v[14:15]
	v_subrev_u32_e32 v12, 20, v11
	v_add_co_u32_e32 v15, vcc, s10, v15
	v_addc_co_u32_e32 v16, vcc, v33, v16, vcc
	v_lshlrev_b64 v[37:38], 4, v[12:13]
	global_load_dword v12, v[15:16], off
	v_mov_b32_e32 v46, v13
	v_add_co_u32_e64 v47, s[2:3], s12, v37
	v_addc_co_u32_e64 v48, vcc, v34, v38, s[2:3]
	v_add_u32_e32 v14, 8, v14
	s_waitcnt vmcnt(0)
	v_subrev_u32_e32 v12, s16, v12
	v_mul_lo_u32 v45, v12, 6
	v_add_u32_e32 v12, -12, v11
	v_lshlrev_b64 v[15:16], 4, v[45:46]
	v_add_co_u32_e32 v49, vcc, s14, v15
	v_addc_co_u32_e32 v50, vcc, v36, v16, vcc
	global_load_dwordx4 v[37:40], v[47:48], off
	global_load_dwordx4 v[41:44], v[49:50], off
	s_waitcnt vmcnt(0)
	v_fma_f64 v[15:16], v[37:38], v[41:42], v[25:26]
	v_fma_f64 v[19:20], v[39:40], v[41:42], v[19:20]
	v_fma_f64 v[51:52], -v[39:40], v[43:44], v[15:16]
	v_fma_f64 v[53:54], v[37:38], v[43:44], v[19:20]
	global_load_dwordx4 v[37:40], v[47:48], off offset:16
	s_waitcnt vmcnt(0)
	v_fma_f64 v[15:16], v[37:38], v[41:42], v[31:32]
	v_fma_f64 v[19:20], v[39:40], v[41:42], v[29:30]
	global_load_dwordx4 v[29:32], v[47:48], off offset:32
	v_fma_f64 v[39:40], -v[39:40], v[43:44], v[15:16]
	v_fma_f64 v[37:38], v[37:38], v[43:44], v[19:20]
	s_waitcnt vmcnt(0)
	v_fma_f64 v[19:20], v[31:32], v[41:42], v[23:24]
	global_load_dwordx4 v[23:26], v[47:48], off offset:48
	v_fma_f64 v[15:16], v[29:30], v[41:42], v[27:28]
	v_fma_f64 v[29:30], v[29:30], v[43:44], v[19:20]
	v_fma_f64 v[27:28], -v[31:32], v[43:44], v[15:16]
	s_waitcnt vmcnt(0)
	v_fma_f64 v[15:16], v[23:24], v[41:42], v[17:18]
	v_fma_f64 v[17:18], v[25:26], v[41:42], v[21:22]
	v_fma_f64 v[25:26], -v[25:26], v[43:44], v[15:16]
	v_fma_f64 v[23:24], v[23:24], v[43:44], v[17:18]
	global_load_dwordx4 v[15:18], v[47:48], off offset:64
	global_load_dwordx4 v[19:22], v[49:50], off offset:16
	s_waitcnt vmcnt(0)
	v_fma_f64 v[31:32], v[15:16], v[19:20], v[51:52]
	v_fma_f64 v[41:42], v[17:18], v[19:20], v[53:54]
	v_fma_f64 v[31:32], -v[17:18], v[21:22], v[31:32]
	v_fma_f64 v[41:42], v[15:16], v[21:22], v[41:42]
	global_load_dwordx4 v[15:18], v[47:48], off offset:80
	s_waitcnt vmcnt(0)
	v_fma_f64 v[39:40], v[15:16], v[19:20], v[39:40]
	v_fma_f64 v[37:38], v[17:18], v[19:20], v[37:38]
	v_fma_f64 v[39:40], -v[17:18], v[21:22], v[39:40]
	v_fma_f64 v[37:38], v[15:16], v[21:22], v[37:38]
	;; [unrolled: 6-line block ×4, first 2 shown]
	v_lshlrev_b64 v[15:16], 4, v[12:13]
	v_add_u32_e32 v12, 2, v45
	v_add_co_u32_e32 v43, vcc, s12, v15
	v_addc_co_u32_e32 v44, vcc, v34, v16, vcc
	v_lshlrev_b64 v[15:16], 4, v[12:13]
	v_add_u32_e32 v12, -8, v11
	v_add_co_u32_e32 v46, vcc, s14, v15
	v_addc_co_u32_e32 v47, vcc, v36, v16, vcc
	global_load_dwordx4 v[15:18], v[43:44], off
	global_load_dwordx4 v[19:22], v[46:47], off
	s_waitcnt vmcnt(0)
	v_fma_f64 v[31:32], v[15:16], v[19:20], v[31:32]
	v_fma_f64 v[41:42], v[17:18], v[19:20], v[41:42]
	v_fma_f64 v[31:32], -v[17:18], v[21:22], v[31:32]
	v_fma_f64 v[41:42], v[15:16], v[21:22], v[41:42]
	global_load_dwordx4 v[15:18], v[43:44], off offset:16
	s_waitcnt vmcnt(0)
	v_fma_f64 v[39:40], v[15:16], v[19:20], v[39:40]
	v_fma_f64 v[37:38], v[17:18], v[19:20], v[37:38]
	v_fma_f64 v[39:40], -v[17:18], v[21:22], v[39:40]
	v_fma_f64 v[37:38], v[15:16], v[21:22], v[37:38]
	global_load_dwordx4 v[15:18], v[43:44], off offset:32
	;; [unrolled: 6-line block ×3, first 2 shown]
	s_waitcnt vmcnt(0)
	v_fma_f64 v[23:24], v[15:16], v[19:20], v[23:24]
	v_fma_f64 v[19:20], v[17:18], v[19:20], v[25:26]
	v_fma_f64 v[23:24], -v[17:18], v[21:22], v[23:24]
	v_fma_f64 v[25:26], v[15:16], v[21:22], v[19:20]
	v_lshlrev_b64 v[18:19], 4, v[12:13]
	v_add_u32_e32 v12, -4, v11
	v_add_co_u32_e32 v43, vcc, s12, v18
	v_addc_co_u32_e32 v44, vcc, v34, v19, vcc
	global_load_dwordx4 v[15:18], v[46:47], off offset:16
	global_load_dwordx4 v[19:22], v[43:44], off
	s_waitcnt vmcnt(0)
	v_fma_f64 v[31:32], v[19:20], v[15:16], v[31:32]
	v_fma_f64 v[41:42], v[21:22], v[15:16], v[41:42]
	v_fma_f64 v[46:47], -v[21:22], v[17:18], v[31:32]
	v_fma_f64 v[41:42], v[19:20], v[17:18], v[41:42]
	global_load_dwordx4 v[19:22], v[43:44], off offset:16
	s_waitcnt vmcnt(0)
	v_fma_f64 v[31:32], v[19:20], v[15:16], v[39:40]
	v_fma_f64 v[37:38], v[21:22], v[15:16], v[37:38]
	v_fma_f64 v[39:40], -v[21:22], v[17:18], v[31:32]
	v_fma_f64 v[37:38], v[19:20], v[17:18], v[37:38]
	global_load_dwordx4 v[19:22], v[43:44], off offset:32
	;; [unrolled: 6-line block ×3, first 2 shown]
	v_lshlrev_b64 v[27:28], 4, v[12:13]
	v_add_u32_e32 v12, 4, v45
	v_add_co_u32_e32 v54, vcc, s12, v27
	v_addc_co_u32_e32 v55, vcc, v34, v28, vcc
	s_waitcnt vmcnt(0)
	v_fma_f64 v[23:24], v[19:20], v[15:16], v[23:24]
	v_fma_f64 v[15:16], v[21:22], v[15:16], v[25:26]
	v_fma_f64 v[43:44], -v[21:22], v[17:18], v[23:24]
	v_fma_f64 v[52:53], v[19:20], v[17:18], v[15:16]
	v_lshlrev_b64 v[19:20], 4, v[12:13]
	global_load_dwordx4 v[15:18], v[54:55], off
	v_add_co_u32_e32 v19, vcc, s14, v19
	v_addc_co_u32_e32 v20, vcc, v36, v20, vcc
	global_load_dwordx4 v[29:32], v[19:20], off
	v_mov_b32_e32 v12, v13
	s_waitcnt vmcnt(0)
	v_fma_f64 v[21:22], v[15:16], v[29:30], v[46:47]
	v_fma_f64 v[23:24], v[17:18], v[29:30], v[41:42]
	v_fma_f64 v[25:26], -v[17:18], v[31:32], v[21:22]
	v_fma_f64 v[27:28], v[15:16], v[31:32], v[23:24]
	global_load_dwordx4 v[15:18], v[54:55], off offset:16
	s_waitcnt vmcnt(0)
	v_fma_f64 v[21:22], v[15:16], v[29:30], v[39:40]
	v_fma_f64 v[23:24], v[17:18], v[29:30], v[37:38]
	global_load_dwordx4 v[37:40], v[54:55], off offset:32
	v_fma_f64 v[21:22], -v[17:18], v[31:32], v[21:22]
	v_fma_f64 v[23:24], v[15:16], v[31:32], v[23:24]
	s_waitcnt vmcnt(0)
	v_fma_f64 v[15:16], v[37:38], v[29:30], v[48:49]
	v_fma_f64 v[17:18], v[39:40], v[29:30], v[50:51]
	v_fma_f64 v[15:16], -v[39:40], v[31:32], v[15:16]
	v_fma_f64 v[17:18], v[37:38], v[31:32], v[17:18]
	global_load_dwordx4 v[37:40], v[54:55], off offset:48
	s_waitcnt vmcnt(0)
	v_fma_f64 v[41:42], v[37:38], v[29:30], v[43:44]
	v_fma_f64 v[29:30], v[39:40], v[29:30], v[52:53]
	v_fma_f64 v[41:42], -v[39:40], v[31:32], v[41:42]
	v_fma_f64 v[43:44], v[37:38], v[31:32], v[29:30]
	v_lshlrev_b64 v[29:30], 4, v[11:12]
	v_add_u32_e32 v11, 0xc0, v11
	v_add_co_u32_e32 v45, vcc, s12, v29
	v_addc_co_u32_e32 v46, vcc, v34, v30, vcc
	global_load_dwordx4 v[29:32], v[45:46], off
	global_load_dwordx4 v[37:40], v[19:20], off offset:16
	v_cmp_ge_i32_e32 vcc, v14, v35
	s_or_b64 s[8:9], vcc, s[8:9]
	s_waitcnt vmcnt(0)
	v_fma_f64 v[19:20], v[29:30], v[37:38], v[25:26]
	v_fma_f64 v[27:28], v[31:32], v[37:38], v[27:28]
	v_fma_f64 v[25:26], -v[31:32], v[39:40], v[19:20]
	v_fma_f64 v[19:20], v[29:30], v[39:40], v[27:28]
	global_load_dwordx4 v[27:30], v[45:46], off offset:16
	s_waitcnt vmcnt(0)
	v_fma_f64 v[21:22], v[27:28], v[37:38], v[21:22]
	v_fma_f64 v[23:24], v[29:30], v[37:38], v[23:24]
	v_fma_f64 v[31:32], -v[29:30], v[39:40], v[21:22]
	v_fma_f64 v[29:30], v[27:28], v[39:40], v[23:24]
	global_load_dwordx4 v[21:24], v[45:46], off offset:32
	;; [unrolled: 6-line block ×3, first 2 shown]
	s_waitcnt vmcnt(0)
	v_fma_f64 v[21:22], v[15:16], v[37:38], v[41:42]
	v_fma_f64 v[37:38], v[17:18], v[37:38], v[43:44]
	v_fma_f64 v[17:18], -v[17:18], v[39:40], v[21:22]
	v_fma_f64 v[21:22], v[15:16], v[39:40], v[37:38]
	s_andn2_b64 exec, exec, s[8:9]
	s_cbranch_execnz .LBB132_7
; %bb.8:
	s_or_b64 exec, exec, s[8:9]
.LBB132_9:
	s_or_b64 exec, exec, s[6:7]
	s_cbranch_execz .LBB132_11
	s_branch .LBB132_16
.LBB132_10:
                                        ; implicit-def: $vgpr19_vgpr20
                                        ; implicit-def: $vgpr25_vgpr26
                                        ; implicit-def: $vgpr17_vgpr18
                                        ; implicit-def: $vgpr21_vgpr22
                                        ; implicit-def: $vgpr27_vgpr28
                                        ; implicit-def: $vgpr23_vgpr24
                                        ; implicit-def: $vgpr31_vgpr32
                                        ; implicit-def: $vgpr29_vgpr30
.LBB132_11:
	v_mov_b32_e32 v19, 0
	v_mov_b32_e32 v25, 0
	v_mov_b32_e32 v17, 0
	v_mov_b32_e32 v21, 0
	v_mov_b32_e32 v27, 0
	v_mov_b32_e32 v23, 0
	v_mov_b32_e32 v31, 0
	v_mov_b32_e32 v29, 0
	v_mov_b32_e32 v20, 0
	v_mov_b32_e32 v26, 0
	v_mov_b32_e32 v18, 0
	v_mov_b32_e32 v22, 0
	v_mov_b32_e32 v28, 0
	v_mov_b32_e32 v24, 0
	v_mov_b32_e32 v32, 0
	v_mov_b32_e32 v30, 0
	s_and_saveexec_b64 s[2:3], s[0:1]
	s_cbranch_execz .LBB132_15
; %bb.12:
	v_mad_u64_u32 v[12:13], s[0:1], v10, 24, 23
	v_mov_b32_e32 v19, 0
	v_mov_b32_e32 v25, 0
	;; [unrolled: 1-line block ×9, first 2 shown]
	s_mov_b64 s[6:7], 0
	v_mov_b32_e32 v36, s11
	v_mov_b32_e32 v14, 0
	;; [unrolled: 1-line block ×11, first 2 shown]
.LBB132_13:                             ; =>This Inner Loop Header: Depth=1
	v_ashrrev_i32_e32 v11, 31, v10
	v_lshlrev_b64 v[15:16], 2, v[10:11]
	v_subrev_u32_e32 v13, 23, v12
	v_add_co_u32_e32 v41, vcc, s10, v15
	v_addc_co_u32_e32 v42, vcc, v36, v16, vcc
	global_load_dword v11, v[41:42], off
	v_lshlrev_b64 v[39:40], 4, v[13:14]
	v_mov_b32_e32 v34, v14
	v_add_co_u32_e64 v15, s[0:1], s12, v39
	v_addc_co_u32_e64 v16, vcc, v37, v40, s[0:1]
	v_add_u32_e32 v13, -10, v12
	v_add_u32_e32 v10, 8, v10
	s_waitcnt vmcnt(0)
	v_subrev_u32_e32 v11, s16, v11
	v_mul_lo_u32 v33, v11, 6
	v_lshlrev_b64 v[39:40], 4, v[33:34]
	v_add_co_u32_e32 v47, vcc, s14, v39
	v_addc_co_u32_e32 v48, vcc, v38, v40, vcc
	global_load_dwordx4 v[39:42], v[15:16], off
	global_load_dwordx4 v[43:46], v[47:48], off
	s_waitcnt vmcnt(0)
	v_fma_f64 v[25:26], v[39:40], v[43:44], v[25:26]
	v_fma_f64 v[19:20], v[41:42], v[43:44], v[19:20]
	v_fma_f64 v[49:50], -v[41:42], v[45:46], v[25:26]
	v_fma_f64 v[51:52], v[39:40], v[45:46], v[19:20]
	global_load_dwordx4 v[39:42], v[15:16], off offset:96
	s_waitcnt vmcnt(0)
	v_fma_f64 v[19:20], v[39:40], v[43:44], v[31:32]
	v_fma_f64 v[25:26], v[41:42], v[43:44], v[29:30]
	v_fma_f64 v[41:42], -v[41:42], v[45:46], v[19:20]
	v_add_u32_e32 v19, -11, v12
	v_mov_b32_e32 v20, v14
	v_lshlrev_b64 v[19:20], 4, v[19:20]
	v_fma_f64 v[39:40], v[39:40], v[45:46], v[25:26]
	v_add_co_u32_e32 v19, vcc, s12, v19
	v_addc_co_u32_e32 v20, vcc, v37, v20, vcc
	global_load_dwordx4 v[29:32], v[19:20], off
	s_waitcnt vmcnt(0)
	v_fma_f64 v[19:20], v[29:30], v[43:44], v[27:28]
	v_fma_f64 v[23:24], v[31:32], v[43:44], v[23:24]
	v_fma_f64 v[27:28], -v[31:32], v[45:46], v[19:20]
	v_add_u32_e32 v19, -5, v12
	v_mov_b32_e32 v20, v14
	v_lshlrev_b64 v[19:20], 4, v[19:20]
	v_fma_f64 v[29:30], v[29:30], v[45:46], v[23:24]
	v_add_co_u32_e32 v19, vcc, s12, v19
	v_addc_co_u32_e32 v20, vcc, v37, v20, vcc
	global_load_dwordx4 v[23:26], v[19:20], off
	s_waitcnt vmcnt(0)
	v_fma_f64 v[17:18], v[23:24], v[43:44], v[17:18]
	v_fma_f64 v[19:20], v[25:26], v[43:44], v[21:22]
	v_fma_f64 v[25:26], -v[25:26], v[45:46], v[17:18]
	v_fma_f64 v[31:32], v[23:24], v[45:46], v[19:20]
	global_load_dwordx4 v[17:20], v[15:16], off offset:16
	global_load_dwordx4 v[21:24], v[47:48], off offset:16
	s_waitcnt vmcnt(0)
	v_fma_f64 v[43:44], v[17:18], v[21:22], v[49:50]
	v_fma_f64 v[45:46], v[19:20], v[21:22], v[51:52]
	v_fma_f64 v[43:44], -v[19:20], v[23:24], v[43:44]
	v_fma_f64 v[45:46], v[17:18], v[23:24], v[45:46]
	global_load_dwordx4 v[17:20], v[15:16], off offset:112
	s_waitcnt vmcnt(0)
	v_fma_f64 v[39:40], v[19:20], v[21:22], v[39:40]
	v_fma_f64 v[41:42], v[17:18], v[21:22], v[41:42]
	;; [unrolled: 1-line block ×3, first 2 shown]
	v_lshlrev_b64 v[17:18], 4, v[13:14]
	v_fma_f64 v[41:42], -v[19:20], v[23:24], v[41:42]
	v_add_co_u32_e32 v17, vcc, s12, v17
	v_addc_co_u32_e32 v18, vcc, v37, v18, vcc
	global_load_dwordx4 v[17:20], v[17:18], off
	v_add_u32_e32 v13, -4, v12
	s_waitcnt vmcnt(0)
	v_fma_f64 v[29:30], v[19:20], v[21:22], v[29:30]
	v_fma_f64 v[27:28], v[17:18], v[21:22], v[27:28]
	;; [unrolled: 1-line block ×3, first 2 shown]
	v_lshlrev_b64 v[17:18], 4, v[13:14]
	v_fma_f64 v[27:28], -v[19:20], v[23:24], v[27:28]
	v_add_co_u32_e32 v17, vcc, s12, v17
	v_addc_co_u32_e32 v18, vcc, v37, v18, vcc
	global_load_dwordx4 v[17:20], v[17:18], off
	v_add_u32_e32 v13, 2, v33
	s_waitcnt vmcnt(0)
	v_fma_f64 v[25:26], v[17:18], v[21:22], v[25:26]
	v_fma_f64 v[21:22], v[19:20], v[21:22], v[31:32]
	v_fma_f64 v[25:26], -v[19:20], v[23:24], v[25:26]
	v_fma_f64 v[31:32], v[17:18], v[23:24], v[21:22]
	v_lshlrev_b64 v[17:18], 4, v[13:14]
	v_add_u32_e32 v13, -15, v12
	v_add_co_u32_e32 v47, vcc, s14, v17
	v_addc_co_u32_e32 v48, vcc, v38, v18, vcc
	global_load_dwordx4 v[17:20], v[15:16], off offset:32
	global_load_dwordx4 v[21:24], v[47:48], off
	s_waitcnt vmcnt(0)
	v_fma_f64 v[45:46], v[19:20], v[21:22], v[45:46]
	v_fma_f64 v[43:44], v[17:18], v[21:22], v[43:44]
	v_fma_f64 v[45:46], v[17:18], v[23:24], v[45:46]
	v_lshlrev_b64 v[17:18], 4, v[13:14]
	v_fma_f64 v[43:44], -v[19:20], v[23:24], v[43:44]
	v_add_co_u32_e32 v17, vcc, s12, v17
	v_addc_co_u32_e32 v18, vcc, v37, v18, vcc
	global_load_dwordx4 v[17:20], v[17:18], off
	v_add_u32_e32 v13, -9, v12
	s_waitcnt vmcnt(0)
	v_fma_f64 v[39:40], v[19:20], v[21:22], v[39:40]
	v_fma_f64 v[41:42], v[17:18], v[21:22], v[41:42]
	v_fma_f64 v[39:40], v[17:18], v[23:24], v[39:40]
	v_lshlrev_b64 v[17:18], 4, v[13:14]
	v_fma_f64 v[41:42], -v[19:20], v[23:24], v[41:42]
	v_add_co_u32_e32 v17, vcc, s12, v17
	v_addc_co_u32_e32 v18, vcc, v37, v18, vcc
	global_load_dwordx4 v[17:20], v[17:18], off
	v_add_u32_e32 v13, -3, v12
	;; [unrolled: 10-line block ×3, first 2 shown]
	s_waitcnt vmcnt(0)
	v_fma_f64 v[25:26], v[17:18], v[21:22], v[25:26]
	v_fma_f64 v[21:22], v[19:20], v[21:22], v[31:32]
	v_fma_f64 v[25:26], -v[19:20], v[23:24], v[25:26]
	v_fma_f64 v[31:32], v[17:18], v[23:24], v[21:22]
	global_load_dwordx4 v[17:20], v[15:16], off offset:48
	global_load_dwordx4 v[21:24], v[47:48], off offset:16
	s_waitcnt vmcnt(0)
	v_fma_f64 v[45:46], v[19:20], v[21:22], v[45:46]
	v_fma_f64 v[43:44], v[17:18], v[21:22], v[43:44]
	;; [unrolled: 1-line block ×3, first 2 shown]
	v_lshlrev_b64 v[17:18], 4, v[13:14]
	v_fma_f64 v[43:44], -v[19:20], v[23:24], v[43:44]
	v_add_co_u32_e32 v17, vcc, s12, v17
	v_addc_co_u32_e32 v18, vcc, v37, v18, vcc
	global_load_dwordx4 v[17:20], v[17:18], off
	v_add_u32_e32 v13, -8, v12
	s_waitcnt vmcnt(0)
	v_fma_f64 v[39:40], v[19:20], v[21:22], v[39:40]
	v_fma_f64 v[41:42], v[17:18], v[21:22], v[41:42]
	;; [unrolled: 1-line block ×3, first 2 shown]
	v_lshlrev_b64 v[17:18], 4, v[13:14]
	v_fma_f64 v[47:48], -v[19:20], v[23:24], v[41:42]
	v_add_co_u32_e32 v17, vcc, s12, v17
	v_addc_co_u32_e32 v18, vcc, v37, v18, vcc
	global_load_dwordx4 v[17:20], v[17:18], off
	v_add_u32_e32 v13, -2, v12
	s_waitcnt vmcnt(0)
	v_fma_f64 v[29:30], v[19:20], v[21:22], v[29:30]
	v_fma_f64 v[27:28], v[17:18], v[21:22], v[27:28]
	;; [unrolled: 1-line block ×3, first 2 shown]
	v_lshlrev_b64 v[17:18], 4, v[13:14]
	v_fma_f64 v[27:28], -v[19:20], v[23:24], v[27:28]
	v_add_co_u32_e32 v17, vcc, s12, v17
	v_addc_co_u32_e32 v18, vcc, v37, v18, vcc
	global_load_dwordx4 v[17:20], v[17:18], off
	v_add_u32_e32 v13, 4, v33
	s_waitcnt vmcnt(0)
	v_fma_f64 v[25:26], v[17:18], v[21:22], v[25:26]
	v_fma_f64 v[21:22], v[19:20], v[21:22], v[31:32]
	v_fma_f64 v[53:54], -v[19:20], v[23:24], v[25:26]
	v_lshlrev_b64 v[19:20], 4, v[13:14]
	v_fma_f64 v[17:18], v[17:18], v[23:24], v[21:22]
	v_add_co_u32_e32 v19, vcc, s14, v19
	v_addc_co_u32_e32 v20, vcc, v38, v20, vcc
	global_load_dwordx4 v[21:24], v[15:16], off offset:64
	global_load_dwordx4 v[39:42], v[19:20], off
	v_add_u32_e32 v13, -13, v12
	s_waitcnt vmcnt(0)
	v_fma_f64 v[29:30], v[23:24], v[39:40], v[45:46]
	v_fma_f64 v[25:26], v[21:22], v[39:40], v[43:44]
	v_fma_f64 v[33:34], v[21:22], v[41:42], v[29:30]
	v_lshlrev_b64 v[21:22], 4, v[13:14]
	v_fma_f64 v[25:26], -v[23:24], v[41:42], v[25:26]
	v_add_co_u32_e32 v21, vcc, s12, v21
	v_addc_co_u32_e32 v22, vcc, v37, v22, vcc
	global_load_dwordx4 v[21:24], v[21:22], off
	v_add_u32_e32 v13, -7, v12
	s_waitcnt vmcnt(0)
	v_fma_f64 v[31:32], v[23:24], v[39:40], v[49:50]
	v_fma_f64 v[29:30], v[21:22], v[39:40], v[47:48]
	;; [unrolled: 1-line block ×3, first 2 shown]
	v_lshlrev_b64 v[21:22], 4, v[13:14]
	v_fma_f64 v[29:30], -v[23:24], v[41:42], v[29:30]
	v_add_co_u32_e32 v21, vcc, s12, v21
	v_addc_co_u32_e32 v22, vcc, v37, v22, vcc
	global_load_dwordx4 v[21:24], v[21:22], off
	v_add_u32_e32 v13, -1, v12
	s_waitcnt vmcnt(0)
	v_fma_f64 v[27:28], v[21:22], v[39:40], v[27:28]
	v_fma_f64 v[43:44], v[23:24], v[39:40], v[51:52]
	v_fma_f64 v[23:24], -v[23:24], v[41:42], v[27:28]
	v_fma_f64 v[27:28], v[21:22], v[41:42], v[43:44]
	v_lshlrev_b64 v[21:22], 4, v[13:14]
	v_mov_b32_e32 v13, v14
	v_add_co_u32_e32 v21, vcc, s12, v21
	v_addc_co_u32_e32 v22, vcc, v37, v22, vcc
	global_load_dwordx4 v[43:46], v[21:22], off
	s_waitcnt vmcnt(0)
	v_fma_f64 v[21:22], v[43:44], v[39:40], v[53:54]
	v_fma_f64 v[17:18], v[45:46], v[39:40], v[17:18]
	v_lshlrev_b64 v[39:40], 4, v[12:13]
	v_add_u32_e32 v13, -12, v12
	v_add_co_u32_e32 v47, vcc, s12, v39
	v_addc_co_u32_e32 v48, vcc, v37, v40, vcc
	v_fma_f64 v[21:22], -v[45:46], v[41:42], v[21:22]
	v_fma_f64 v[17:18], v[43:44], v[41:42], v[17:18]
	global_load_dwordx4 v[39:42], v[15:16], off offset:80
	global_load_dwordx4 v[43:46], v[19:20], off offset:16
	s_waitcnt vmcnt(0)
	v_fma_f64 v[15:16], v[39:40], v[43:44], v[25:26]
	v_fma_f64 v[19:20], v[41:42], v[43:44], v[33:34]
	v_fma_f64 v[25:26], -v[41:42], v[45:46], v[15:16]
	v_lshlrev_b64 v[15:16], 4, v[13:14]
	v_fma_f64 v[19:20], v[39:40], v[45:46], v[19:20]
	v_add_co_u32_e32 v15, vcc, s12, v15
	v_addc_co_u32_e32 v16, vcc, v37, v16, vcc
	global_load_dwordx4 v[39:42], v[15:16], off
	v_add_u32_e32 v13, -6, v12
	v_add_u32_e32 v12, 0xc0, v12
	s_waitcnt vmcnt(0)
	v_fma_f64 v[15:16], v[39:40], v[43:44], v[29:30]
	v_fma_f64 v[29:30], v[41:42], v[43:44], v[31:32]
	v_fma_f64 v[31:32], -v[41:42], v[45:46], v[15:16]
	v_lshlrev_b64 v[15:16], 4, v[13:14]
	v_fma_f64 v[29:30], v[39:40], v[45:46], v[29:30]
	v_add_co_u32_e32 v15, vcc, s12, v15
	v_addc_co_u32_e32 v16, vcc, v37, v16, vcc
	global_load_dwordx4 v[39:42], v[15:16], off
	v_cmp_ge_i32_e32 vcc, v10, v35
	s_or_b64 s[6:7], vcc, s[6:7]
	s_waitcnt vmcnt(0)
	v_fma_f64 v[15:16], v[39:40], v[43:44], v[23:24]
	v_fma_f64 v[23:24], v[41:42], v[43:44], v[27:28]
	v_fma_f64 v[27:28], -v[41:42], v[45:46], v[15:16]
	v_fma_f64 v[23:24], v[39:40], v[45:46], v[23:24]
	global_load_dwordx4 v[39:42], v[47:48], off
	s_waitcnt vmcnt(0)
	v_fma_f64 v[15:16], v[39:40], v[43:44], v[21:22]
	v_fma_f64 v[21:22], v[41:42], v[43:44], v[17:18]
	v_fma_f64 v[17:18], -v[41:42], v[45:46], v[15:16]
	v_fma_f64 v[21:22], v[39:40], v[45:46], v[21:22]
	s_andn2_b64 exec, exec, s[6:7]
	s_cbranch_execnz .LBB132_13
; %bb.14:
	s_or_b64 exec, exec, s[6:7]
.LBB132_15:
	s_or_b64 exec, exec, s[2:3]
.LBB132_16:
	v_mov_b32_dpp v10, v25 row_shr:1 row_mask:0xf bank_mask:0xf
	v_mov_b32_dpp v11, v26 row_shr:1 row_mask:0xf bank_mask:0xf
	v_add_f64 v[10:11], v[25:26], v[10:11]
	v_mov_b32_dpp v12, v19 row_shr:1 row_mask:0xf bank_mask:0xf
	v_mov_b32_dpp v13, v20 row_shr:1 row_mask:0xf bank_mask:0xf
	;; [unrolled: 1-line block ×4, first 2 shown]
	v_add_f64 v[12:13], v[19:20], v[12:13]
	v_add_f64 v[14:15], v[31:32], v[14:15]
	v_mov_b32_dpp v25, v29 row_shr:1 row_mask:0xf bank_mask:0xf
	v_mov_b32_dpp v26, v30 row_shr:1 row_mask:0xf bank_mask:0xf
	v_add_f64 v[25:26], v[29:30], v[25:26]
	v_mov_b32_dpp v19, v10 row_shr:2 row_mask:0xf bank_mask:0xf
	v_mov_b32_dpp v20, v11 row_shr:2 row_mask:0xf bank_mask:0xf
	;; [unrolled: 3-line block ×14, first 2 shown]
	v_mov_b32_dpp v30, v12 row_shr:4 row_mask:0xf bank_mask:0xe
	v_mov_b32_dpp v31, v13 row_shr:4 row_mask:0xf bank_mask:0xe
	;; [unrolled: 1-line block ×14, first 2 shown]
	v_cmp_eq_u32_e32 vcc, 7, v0
	s_and_b64 exec, exec, vcc
	s_cbranch_execz .LBB132_21
; %bb.17:
	v_cmp_eq_f64_e32 vcc, 0, v[5:6]
	v_cmp_eq_f64_e64 s[0:1], 0, v[7:8]
	v_add_f64 v[16:17], v[10:11], v[32:33]
	v_add_f64 v[24:25], v[12:13], v[30:31]
	;; [unrolled: 1-line block ×8, first 2 shown]
	s_load_dwordx2 s[2:3], s[4:5], 0x48
	s_and_b64 s[0:1], vcc, s[0:1]
	s_and_saveexec_b64 s[4:5], s[0:1]
	s_xor_b64 s[0:1], exec, s[4:5]
	s_cbranch_execz .LBB132_19
; %bb.18:
	v_mul_f64 v[5:6], v[24:25], -v[3:4]
	v_mul_f64 v[7:8], v[1:2], v[24:25]
	v_mul_f64 v[26:27], v[22:23], -v[3:4]
	v_mul_f64 v[22:23], v[1:2], v[22:23]
	;; [unrolled: 2-line block ×4, first 2 shown]
	v_fma_f64 v[5:6], v[1:2], v[16:17], v[5:6]
	v_fma_f64 v[7:8], v[3:4], v[16:17], v[7:8]
	;; [unrolled: 1-line block ×4, first 2 shown]
	v_lshlrev_b32_e32 v24, 2, v9
	v_fma_f64 v[9:10], v[1:2], v[12:13], v[28:29]
	v_fma_f64 v[11:12], v[3:4], v[12:13], v[20:21]
	v_ashrrev_i32_e32 v25, 31, v24
	v_fma_f64 v[0:1], v[1:2], v[14:15], v[30:31]
	v_fma_f64 v[2:3], v[3:4], v[14:15], v[32:33]
	v_lshlrev_b64 v[24:25], 4, v[24:25]
	s_waitcnt lgkmcnt(0)
	v_mov_b32_e32 v34, s3
	v_add_co_u32_e32 v13, vcc, s2, v24
	v_addc_co_u32_e32 v14, vcc, v34, v25, vcc
	global_store_dwordx4 v[13:14], v[5:8], off
	global_store_dwordx4 v[13:14], v[16:19], off offset:16
	global_store_dwordx4 v[13:14], v[9:12], off offset:32
	;; [unrolled: 1-line block ×3, first 2 shown]
                                        ; implicit-def: $vgpr9
                                        ; implicit-def: $vgpr16_vgpr17
                                        ; implicit-def: $vgpr24_vgpr25
                                        ; implicit-def: $vgpr10_vgpr11
                                        ; implicit-def: $vgpr22_vgpr23
                                        ; implicit-def: $vgpr12_vgpr13
                                        ; implicit-def: $vgpr20_vgpr21
                                        ; implicit-def: $vgpr14_vgpr15
                                        ; implicit-def: $vgpr18_vgpr19
                                        ; implicit-def: $vgpr7_vgpr8
                                        ; implicit-def: $vgpr3_vgpr4
.LBB132_19:
	s_andn2_saveexec_b64 s[0:1], s[0:1]
	s_cbranch_execz .LBB132_21
; %bb.20:
	v_lshlrev_b32_e32 v26, 2, v9
	v_ashrrev_i32_e32 v27, 31, v26
	v_lshlrev_b64 v[26:27], 4, v[26:27]
	s_waitcnt lgkmcnt(0)
	v_mov_b32_e32 v0, s3
	v_add_co_u32_e32 v42, vcc, s2, v26
	v_addc_co_u32_e32 v43, vcc, v0, v27, vcc
	global_load_dwordx4 v[26:29], v[42:43], off
	global_load_dwordx4 v[30:33], v[42:43], off offset:16
	global_load_dwordx4 v[34:37], v[42:43], off offset:32
	;; [unrolled: 1-line block ×3, first 2 shown]
	v_mul_f64 v[44:45], v[24:25], -v[3:4]
	v_mul_f64 v[24:25], v[1:2], v[24:25]
	v_mul_f64 v[46:47], v[22:23], -v[3:4]
	v_mul_f64 v[22:23], v[1:2], v[22:23]
	;; [unrolled: 2-line block ×4, first 2 shown]
	v_fma_f64 v[44:45], v[1:2], v[16:17], v[44:45]
	v_fma_f64 v[16:17], v[3:4], v[16:17], v[24:25]
	;; [unrolled: 1-line block ×8, first 2 shown]
	s_waitcnt vmcnt(3)
	v_fma_f64 v[13:14], v[5:6], v[26:27], v[44:45]
	v_fma_f64 v[15:16], v[7:8], v[26:27], v[16:17]
	s_waitcnt vmcnt(2)
	v_fma_f64 v[17:18], v[5:6], v[30:31], v[24:25]
	v_fma_f64 v[19:20], v[7:8], v[30:31], v[9:10]
	;; [unrolled: 3-line block ×4, first 2 shown]
	v_fma_f64 v[0:1], -v[7:8], v[28:29], v[13:14]
	v_fma_f64 v[2:3], v[5:6], v[28:29], v[15:16]
	v_fma_f64 v[9:10], -v[7:8], v[32:33], v[17:18]
	v_fma_f64 v[11:12], v[5:6], v[32:33], v[19:20]
	;; [unrolled: 2-line block ×4, first 2 shown]
	global_store_dwordx4 v[42:43], v[0:3], off
	global_store_dwordx4 v[42:43], v[9:12], off offset:16
	global_store_dwordx4 v[42:43], v[13:16], off offset:32
	;; [unrolled: 1-line block ×3, first 2 shown]
.LBB132_21:
	s_endpgm
	.section	.rodata,"a",@progbits
	.p2align	6, 0x0
	.amdhsa_kernel _ZN9rocsparseL19gebsrmvn_4xn_kernelILj128ELj6ELj8E21rocsparse_complex_numIdEEEvi20rocsparse_direction_NS_24const_host_device_scalarIT2_EEPKiS8_PKS5_SA_S6_PS5_21rocsparse_index_base_b
		.amdhsa_group_segment_fixed_size 0
		.amdhsa_private_segment_fixed_size 0
		.amdhsa_kernarg_size 88
		.amdhsa_user_sgpr_count 6
		.amdhsa_user_sgpr_private_segment_buffer 1
		.amdhsa_user_sgpr_dispatch_ptr 0
		.amdhsa_user_sgpr_queue_ptr 0
		.amdhsa_user_sgpr_kernarg_segment_ptr 1
		.amdhsa_user_sgpr_dispatch_id 0
		.amdhsa_user_sgpr_flat_scratch_init 0
		.amdhsa_user_sgpr_private_segment_size 0
		.amdhsa_uses_dynamic_stack 0
		.amdhsa_system_sgpr_private_segment_wavefront_offset 0
		.amdhsa_system_sgpr_workgroup_id_x 1
		.amdhsa_system_sgpr_workgroup_id_y 0
		.amdhsa_system_sgpr_workgroup_id_z 0
		.amdhsa_system_sgpr_workgroup_info 0
		.amdhsa_system_vgpr_workitem_id 0
		.amdhsa_next_free_vgpr 56
		.amdhsa_next_free_sgpr 18
		.amdhsa_reserve_vcc 1
		.amdhsa_reserve_flat_scratch 0
		.amdhsa_float_round_mode_32 0
		.amdhsa_float_round_mode_16_64 0
		.amdhsa_float_denorm_mode_32 3
		.amdhsa_float_denorm_mode_16_64 3
		.amdhsa_dx10_clamp 1
		.amdhsa_ieee_mode 1
		.amdhsa_fp16_overflow 0
		.amdhsa_exception_fp_ieee_invalid_op 0
		.amdhsa_exception_fp_denorm_src 0
		.amdhsa_exception_fp_ieee_div_zero 0
		.amdhsa_exception_fp_ieee_overflow 0
		.amdhsa_exception_fp_ieee_underflow 0
		.amdhsa_exception_fp_ieee_inexact 0
		.amdhsa_exception_int_div_zero 0
	.end_amdhsa_kernel
	.section	.text._ZN9rocsparseL19gebsrmvn_4xn_kernelILj128ELj6ELj8E21rocsparse_complex_numIdEEEvi20rocsparse_direction_NS_24const_host_device_scalarIT2_EEPKiS8_PKS5_SA_S6_PS5_21rocsparse_index_base_b,"axG",@progbits,_ZN9rocsparseL19gebsrmvn_4xn_kernelILj128ELj6ELj8E21rocsparse_complex_numIdEEEvi20rocsparse_direction_NS_24const_host_device_scalarIT2_EEPKiS8_PKS5_SA_S6_PS5_21rocsparse_index_base_b,comdat
.Lfunc_end132:
	.size	_ZN9rocsparseL19gebsrmvn_4xn_kernelILj128ELj6ELj8E21rocsparse_complex_numIdEEEvi20rocsparse_direction_NS_24const_host_device_scalarIT2_EEPKiS8_PKS5_SA_S6_PS5_21rocsparse_index_base_b, .Lfunc_end132-_ZN9rocsparseL19gebsrmvn_4xn_kernelILj128ELj6ELj8E21rocsparse_complex_numIdEEEvi20rocsparse_direction_NS_24const_host_device_scalarIT2_EEPKiS8_PKS5_SA_S6_PS5_21rocsparse_index_base_b
                                        ; -- End function
	.set _ZN9rocsparseL19gebsrmvn_4xn_kernelILj128ELj6ELj8E21rocsparse_complex_numIdEEEvi20rocsparse_direction_NS_24const_host_device_scalarIT2_EEPKiS8_PKS5_SA_S6_PS5_21rocsparse_index_base_b.num_vgpr, 56
	.set _ZN9rocsparseL19gebsrmvn_4xn_kernelILj128ELj6ELj8E21rocsparse_complex_numIdEEEvi20rocsparse_direction_NS_24const_host_device_scalarIT2_EEPKiS8_PKS5_SA_S6_PS5_21rocsparse_index_base_b.num_agpr, 0
	.set _ZN9rocsparseL19gebsrmvn_4xn_kernelILj128ELj6ELj8E21rocsparse_complex_numIdEEEvi20rocsparse_direction_NS_24const_host_device_scalarIT2_EEPKiS8_PKS5_SA_S6_PS5_21rocsparse_index_base_b.numbered_sgpr, 18
	.set _ZN9rocsparseL19gebsrmvn_4xn_kernelILj128ELj6ELj8E21rocsparse_complex_numIdEEEvi20rocsparse_direction_NS_24const_host_device_scalarIT2_EEPKiS8_PKS5_SA_S6_PS5_21rocsparse_index_base_b.num_named_barrier, 0
	.set _ZN9rocsparseL19gebsrmvn_4xn_kernelILj128ELj6ELj8E21rocsparse_complex_numIdEEEvi20rocsparse_direction_NS_24const_host_device_scalarIT2_EEPKiS8_PKS5_SA_S6_PS5_21rocsparse_index_base_b.private_seg_size, 0
	.set _ZN9rocsparseL19gebsrmvn_4xn_kernelILj128ELj6ELj8E21rocsparse_complex_numIdEEEvi20rocsparse_direction_NS_24const_host_device_scalarIT2_EEPKiS8_PKS5_SA_S6_PS5_21rocsparse_index_base_b.uses_vcc, 1
	.set _ZN9rocsparseL19gebsrmvn_4xn_kernelILj128ELj6ELj8E21rocsparse_complex_numIdEEEvi20rocsparse_direction_NS_24const_host_device_scalarIT2_EEPKiS8_PKS5_SA_S6_PS5_21rocsparse_index_base_b.uses_flat_scratch, 0
	.set _ZN9rocsparseL19gebsrmvn_4xn_kernelILj128ELj6ELj8E21rocsparse_complex_numIdEEEvi20rocsparse_direction_NS_24const_host_device_scalarIT2_EEPKiS8_PKS5_SA_S6_PS5_21rocsparse_index_base_b.has_dyn_sized_stack, 0
	.set _ZN9rocsparseL19gebsrmvn_4xn_kernelILj128ELj6ELj8E21rocsparse_complex_numIdEEEvi20rocsparse_direction_NS_24const_host_device_scalarIT2_EEPKiS8_PKS5_SA_S6_PS5_21rocsparse_index_base_b.has_recursion, 0
	.set _ZN9rocsparseL19gebsrmvn_4xn_kernelILj128ELj6ELj8E21rocsparse_complex_numIdEEEvi20rocsparse_direction_NS_24const_host_device_scalarIT2_EEPKiS8_PKS5_SA_S6_PS5_21rocsparse_index_base_b.has_indirect_call, 0
	.section	.AMDGPU.csdata,"",@progbits
; Kernel info:
; codeLenInByte = 4764
; TotalNumSgprs: 22
; NumVgprs: 56
; ScratchSize: 0
; MemoryBound: 1
; FloatMode: 240
; IeeeMode: 1
; LDSByteSize: 0 bytes/workgroup (compile time only)
; SGPRBlocks: 2
; VGPRBlocks: 13
; NumSGPRsForWavesPerEU: 22
; NumVGPRsForWavesPerEU: 56
; Occupancy: 4
; WaveLimiterHint : 1
; COMPUTE_PGM_RSRC2:SCRATCH_EN: 0
; COMPUTE_PGM_RSRC2:USER_SGPR: 6
; COMPUTE_PGM_RSRC2:TRAP_HANDLER: 0
; COMPUTE_PGM_RSRC2:TGID_X_EN: 1
; COMPUTE_PGM_RSRC2:TGID_Y_EN: 0
; COMPUTE_PGM_RSRC2:TGID_Z_EN: 0
; COMPUTE_PGM_RSRC2:TIDIG_COMP_CNT: 0
	.section	.text._ZN9rocsparseL19gebsrmvn_4xn_kernelILj128ELj6ELj16E21rocsparse_complex_numIdEEEvi20rocsparse_direction_NS_24const_host_device_scalarIT2_EEPKiS8_PKS5_SA_S6_PS5_21rocsparse_index_base_b,"axG",@progbits,_ZN9rocsparseL19gebsrmvn_4xn_kernelILj128ELj6ELj16E21rocsparse_complex_numIdEEEvi20rocsparse_direction_NS_24const_host_device_scalarIT2_EEPKiS8_PKS5_SA_S6_PS5_21rocsparse_index_base_b,comdat
	.globl	_ZN9rocsparseL19gebsrmvn_4xn_kernelILj128ELj6ELj16E21rocsparse_complex_numIdEEEvi20rocsparse_direction_NS_24const_host_device_scalarIT2_EEPKiS8_PKS5_SA_S6_PS5_21rocsparse_index_base_b ; -- Begin function _ZN9rocsparseL19gebsrmvn_4xn_kernelILj128ELj6ELj16E21rocsparse_complex_numIdEEEvi20rocsparse_direction_NS_24const_host_device_scalarIT2_EEPKiS8_PKS5_SA_S6_PS5_21rocsparse_index_base_b
	.p2align	8
	.type	_ZN9rocsparseL19gebsrmvn_4xn_kernelILj128ELj6ELj16E21rocsparse_complex_numIdEEEvi20rocsparse_direction_NS_24const_host_device_scalarIT2_EEPKiS8_PKS5_SA_S6_PS5_21rocsparse_index_base_b,@function
_ZN9rocsparseL19gebsrmvn_4xn_kernelILj128ELj6ELj16E21rocsparse_complex_numIdEEEvi20rocsparse_direction_NS_24const_host_device_scalarIT2_EEPKiS8_PKS5_SA_S6_PS5_21rocsparse_index_base_b: ; @_ZN9rocsparseL19gebsrmvn_4xn_kernelILj128ELj6ELj16E21rocsparse_complex_numIdEEEvi20rocsparse_direction_NS_24const_host_device_scalarIT2_EEPKiS8_PKS5_SA_S6_PS5_21rocsparse_index_base_b
; %bb.0:
	s_load_dwordx2 s[0:1], s[4:5], 0x8
	s_load_dwordx2 s[2:3], s[4:5], 0x38
	s_load_dwordx2 s[16:17], s[4:5], 0x50
	s_add_u32 s7, s4, 8
	s_addc_u32 s8, s5, 0
	s_add_u32 s9, s4, 56
	s_addc_u32 s10, s5, 0
	s_waitcnt lgkmcnt(0)
	s_bitcmp1_b32 s17, 0
	s_cselect_b32 s1, s8, s1
	s_cselect_b32 s0, s7, s0
	v_mov_b32_e32 v1, s0
	v_mov_b32_e32 v2, s1
	flat_load_dwordx4 v[1:4], v[1:2]
	s_cselect_b32 s0, s10, s3
	s_cselect_b32 s1, s9, s2
	v_mov_b32_e32 v5, s1
	v_mov_b32_e32 v6, s0
	flat_load_dwordx4 v[5:8], v[5:6]
	s_waitcnt vmcnt(0) lgkmcnt(0)
	v_cmp_eq_f64_e32 vcc, 0, v[1:2]
	v_cmp_eq_f64_e64 s[0:1], 0, v[3:4]
	s_and_b64 s[8:9], vcc, s[0:1]
	s_mov_b64 s[0:1], -1
	s_and_saveexec_b64 s[2:3], s[8:9]
	s_cbranch_execz .LBB133_2
; %bb.1:
	v_cmp_neq_f64_e32 vcc, 1.0, v[5:6]
	v_cmp_neq_f64_e64 s[0:1], 0, v[7:8]
	s_or_b64 s[0:1], vcc, s[0:1]
	s_orn2_b64 s[0:1], s[0:1], exec
.LBB133_2:
	s_or_b64 exec, exec, s[2:3]
	s_and_saveexec_b64 s[2:3], s[0:1]
	s_cbranch_execz .LBB133_21
; %bb.3:
	s_load_dwordx2 s[0:1], s[4:5], 0x0
	v_lshrrev_b32_e32 v9, 4, v0
	v_lshl_or_b32 v9, s6, 3, v9
	s_waitcnt lgkmcnt(0)
	v_cmp_gt_i32_e32 vcc, s0, v9
	s_and_b64 exec, exec, vcc
	s_cbranch_execz .LBB133_21
; %bb.4:
	s_load_dwordx8 s[8:15], s[4:5], 0x18
	v_ashrrev_i32_e32 v10, 31, v9
	v_lshlrev_b64 v[10:11], 2, v[9:10]
	v_and_b32_e32 v0, 15, v0
	s_cmp_lg_u32 s1, 0
	s_waitcnt lgkmcnt(0)
	v_mov_b32_e32 v12, s9
	v_add_co_u32_e32 v10, vcc, s8, v10
	v_addc_co_u32_e32 v11, vcc, v12, v11, vcc
	global_load_dwordx2 v[10:11], v[10:11], off
	s_waitcnt vmcnt(0)
	v_subrev_u32_e32 v10, s16, v10
	v_subrev_u32_e32 v35, s16, v11
	v_add_u32_e32 v10, v10, v0
	v_cmp_lt_i32_e64 s[0:1], v10, v35
	s_cbranch_scc0 .LBB133_10
; %bb.5:
	v_mov_b32_e32 v23, 0
	v_mov_b32_e32 v25, 0
	;; [unrolled: 1-line block ×16, first 2 shown]
	s_and_saveexec_b64 s[6:7], s[0:1]
	s_cbranch_execz .LBB133_9
; %bb.6:
	v_mad_u64_u32 v[11:12], s[2:3], v10, 24, 20
	v_mov_b32_e32 v23, 0
	v_mov_b32_e32 v25, 0
	;; [unrolled: 1-line block ×9, first 2 shown]
	s_mov_b64 s[8:9], 0
	v_mov_b32_e32 v33, s11
	v_mov_b32_e32 v13, 0
	;; [unrolled: 1-line block ×12, first 2 shown]
.LBB133_7:                              ; =>This Inner Loop Header: Depth=1
	v_ashrrev_i32_e32 v15, 31, v14
	v_lshlrev_b64 v[15:16], 2, v[14:15]
	v_subrev_u32_e32 v12, 20, v11
	v_add_co_u32_e32 v15, vcc, s10, v15
	v_addc_co_u32_e32 v16, vcc, v33, v16, vcc
	v_lshlrev_b64 v[37:38], 4, v[12:13]
	global_load_dword v12, v[15:16], off
	v_mov_b32_e32 v46, v13
	v_add_co_u32_e64 v47, s[2:3], s12, v37
	v_addc_co_u32_e64 v48, vcc, v34, v38, s[2:3]
	v_add_u32_e32 v14, 16, v14
	s_waitcnt vmcnt(0)
	v_subrev_u32_e32 v12, s16, v12
	v_mul_lo_u32 v45, v12, 6
	v_add_u32_e32 v12, -12, v11
	v_lshlrev_b64 v[15:16], 4, v[45:46]
	v_add_co_u32_e32 v49, vcc, s14, v15
	v_addc_co_u32_e32 v50, vcc, v36, v16, vcc
	global_load_dwordx4 v[37:40], v[47:48], off
	global_load_dwordx4 v[41:44], v[49:50], off
	s_waitcnt vmcnt(0)
	v_fma_f64 v[23:24], v[39:40], v[41:42], v[23:24]
	v_fma_f64 v[15:16], v[37:38], v[41:42], v[25:26]
	;; [unrolled: 1-line block ×3, first 2 shown]
	global_load_dwordx4 v[23:26], v[47:48], off offset:16
	v_fma_f64 v[39:40], -v[39:40], v[43:44], v[15:16]
	s_waitcnt vmcnt(0)
	v_fma_f64 v[15:16], v[23:24], v[41:42], v[29:30]
	v_fma_f64 v[29:30], v[25:26], v[41:42], v[31:32]
	v_fma_f64 v[31:32], -v[25:26], v[43:44], v[15:16]
	v_fma_f64 v[29:30], v[23:24], v[43:44], v[29:30]
	global_load_dwordx4 v[23:26], v[47:48], off offset:32
	s_waitcnt vmcnt(0)
	v_fma_f64 v[21:22], v[25:26], v[41:42], v[21:22]
	v_fma_f64 v[15:16], v[23:24], v[41:42], v[27:28]
	;; [unrolled: 1-line block ×3, first 2 shown]
	global_load_dwordx4 v[21:24], v[47:48], off offset:48
	v_fma_f64 v[25:26], -v[25:26], v[43:44], v[15:16]
	s_waitcnt vmcnt(0)
	v_fma_f64 v[15:16], v[21:22], v[41:42], v[19:20]
	v_fma_f64 v[17:18], v[23:24], v[41:42], v[17:18]
	v_fma_f64 v[23:24], -v[23:24], v[43:44], v[15:16]
	v_fma_f64 v[41:42], v[21:22], v[43:44], v[17:18]
	global_load_dwordx4 v[15:18], v[47:48], off offset:64
	global_load_dwordx4 v[19:22], v[49:50], off offset:16
	s_waitcnt vmcnt(0)
	v_fma_f64 v[39:40], v[15:16], v[19:20], v[39:40]
	v_fma_f64 v[37:38], v[17:18], v[19:20], v[37:38]
	v_fma_f64 v[39:40], -v[17:18], v[21:22], v[39:40]
	v_fma_f64 v[37:38], v[15:16], v[21:22], v[37:38]
	global_load_dwordx4 v[15:18], v[47:48], off offset:80
	s_waitcnt vmcnt(0)
	v_fma_f64 v[31:32], v[15:16], v[19:20], v[31:32]
	v_fma_f64 v[29:30], v[17:18], v[19:20], v[29:30]
	v_fma_f64 v[31:32], -v[17:18], v[21:22], v[31:32]
	v_fma_f64 v[29:30], v[15:16], v[21:22], v[29:30]
	global_load_dwordx4 v[15:18], v[47:48], off offset:96
	s_waitcnt vmcnt(0)
	v_fma_f64 v[25:26], v[15:16], v[19:20], v[25:26]
	v_fma_f64 v[27:28], v[17:18], v[19:20], v[27:28]
	v_fma_f64 v[25:26], -v[17:18], v[21:22], v[25:26]
	v_fma_f64 v[27:28], v[15:16], v[21:22], v[27:28]
	global_load_dwordx4 v[15:18], v[47:48], off offset:112
	s_waitcnt vmcnt(0)
	v_fma_f64 v[23:24], v[15:16], v[19:20], v[23:24]
	v_fma_f64 v[19:20], v[17:18], v[19:20], v[41:42]
	v_fma_f64 v[23:24], -v[17:18], v[21:22], v[23:24]
	v_fma_f64 v[41:42], v[15:16], v[21:22], v[19:20]
	v_lshlrev_b64 v[15:16], 4, v[12:13]
	v_add_u32_e32 v12, 2, v45
	v_add_co_u32_e32 v43, vcc, s12, v15
	v_addc_co_u32_e32 v44, vcc, v34, v16, vcc
	v_lshlrev_b64 v[15:16], 4, v[12:13]
	v_add_u32_e32 v12, -8, v11
	v_add_co_u32_e32 v46, vcc, s14, v15
	v_addc_co_u32_e32 v47, vcc, v36, v16, vcc
	global_load_dwordx4 v[15:18], v[43:44], off
	global_load_dwordx4 v[19:22], v[46:47], off
	s_waitcnt vmcnt(0)
	v_fma_f64 v[39:40], v[15:16], v[19:20], v[39:40]
	v_fma_f64 v[37:38], v[17:18], v[19:20], v[37:38]
	v_fma_f64 v[39:40], -v[17:18], v[21:22], v[39:40]
	v_fma_f64 v[37:38], v[15:16], v[21:22], v[37:38]
	global_load_dwordx4 v[15:18], v[43:44], off offset:16
	s_waitcnt vmcnt(0)
	v_fma_f64 v[31:32], v[15:16], v[19:20], v[31:32]
	v_fma_f64 v[29:30], v[17:18], v[19:20], v[29:30]
	v_fma_f64 v[31:32], -v[17:18], v[21:22], v[31:32]
	v_fma_f64 v[29:30], v[15:16], v[21:22], v[29:30]
	global_load_dwordx4 v[15:18], v[43:44], off offset:32
	;; [unrolled: 6-line block ×3, first 2 shown]
	s_waitcnt vmcnt(0)
	v_fma_f64 v[23:24], v[15:16], v[19:20], v[23:24]
	v_fma_f64 v[19:20], v[17:18], v[19:20], v[41:42]
	v_fma_f64 v[23:24], -v[17:18], v[21:22], v[23:24]
	v_fma_f64 v[41:42], v[15:16], v[21:22], v[19:20]
	v_lshlrev_b64 v[18:19], 4, v[12:13]
	v_add_u32_e32 v12, -4, v11
	v_add_co_u32_e32 v43, vcc, s12, v18
	v_addc_co_u32_e32 v44, vcc, v34, v19, vcc
	global_load_dwordx4 v[15:18], v[46:47], off offset:16
	global_load_dwordx4 v[19:22], v[43:44], off
	s_waitcnt vmcnt(0)
	v_fma_f64 v[39:40], v[19:20], v[15:16], v[39:40]
	v_fma_f64 v[37:38], v[21:22], v[15:16], v[37:38]
	v_fma_f64 v[39:40], -v[21:22], v[17:18], v[39:40]
	v_fma_f64 v[37:38], v[19:20], v[17:18], v[37:38]
	global_load_dwordx4 v[19:22], v[43:44], off offset:16
	s_waitcnt vmcnt(0)
	v_fma_f64 v[31:32], v[19:20], v[15:16], v[31:32]
	v_fma_f64 v[29:30], v[21:22], v[15:16], v[29:30]
	v_fma_f64 v[46:47], -v[21:22], v[17:18], v[31:32]
	v_fma_f64 v[48:49], v[19:20], v[17:18], v[29:30]
	global_load_dwordx4 v[19:22], v[43:44], off offset:32
	;; [unrolled: 6-line block ×3, first 2 shown]
	v_lshlrev_b64 v[25:26], 4, v[12:13]
	v_add_u32_e32 v12, 4, v45
	v_add_co_u32_e32 v54, vcc, s12, v25
	v_addc_co_u32_e32 v55, vcc, v34, v26, vcc
	s_waitcnt vmcnt(0)
	v_fma_f64 v[23:24], v[19:20], v[15:16], v[23:24]
	v_fma_f64 v[15:16], v[21:22], v[15:16], v[41:42]
	v_fma_f64 v[41:42], -v[21:22], v[17:18], v[23:24]
	v_fma_f64 v[43:44], v[19:20], v[17:18], v[15:16]
	v_lshlrev_b64 v[18:19], 4, v[12:13]
	v_mov_b32_e32 v12, v13
	v_add_co_u32_e32 v23, vcc, s14, v18
	v_addc_co_u32_e32 v24, vcc, v36, v19, vcc
	global_load_dwordx4 v[15:18], v[54:55], off
	global_load_dwordx4 v[29:32], v[23:24], off
	s_waitcnt vmcnt(0)
	v_fma_f64 v[19:20], v[15:16], v[29:30], v[39:40]
	v_fma_f64 v[21:22], v[17:18], v[29:30], v[37:38]
	global_load_dwordx4 v[37:40], v[54:55], off offset:32
	v_fma_f64 v[25:26], -v[17:18], v[31:32], v[19:20]
	v_fma_f64 v[27:28], v[15:16], v[31:32], v[21:22]
	global_load_dwordx4 v[15:18], v[54:55], off offset:16
	s_waitcnt vmcnt(0)
	v_fma_f64 v[19:20], v[15:16], v[29:30], v[46:47]
	v_fma_f64 v[21:22], v[17:18], v[29:30], v[48:49]
	v_fma_f64 v[19:20], -v[17:18], v[31:32], v[19:20]
	v_fma_f64 v[21:22], v[15:16], v[31:32], v[21:22]
	v_fma_f64 v[15:16], v[37:38], v[29:30], v[50:51]
	;; [unrolled: 1-line block ×3, first 2 shown]
	v_fma_f64 v[15:16], -v[39:40], v[31:32], v[15:16]
	v_fma_f64 v[17:18], v[37:38], v[31:32], v[17:18]
	global_load_dwordx4 v[37:40], v[54:55], off offset:48
	s_waitcnt vmcnt(0)
	v_fma_f64 v[41:42], v[37:38], v[29:30], v[41:42]
	v_fma_f64 v[29:30], v[39:40], v[29:30], v[43:44]
	v_fma_f64 v[41:42], -v[39:40], v[31:32], v[41:42]
	v_fma_f64 v[43:44], v[37:38], v[31:32], v[29:30]
	v_lshlrev_b64 v[29:30], 4, v[11:12]
	v_add_u32_e32 v11, 0x180, v11
	v_add_co_u32_e32 v45, vcc, s12, v29
	v_addc_co_u32_e32 v46, vcc, v34, v30, vcc
	global_load_dwordx4 v[29:32], v[45:46], off
	global_load_dwordx4 v[37:40], v[23:24], off offset:16
	v_cmp_ge_i32_e32 vcc, v14, v35
	s_or_b64 s[8:9], vcc, s[8:9]
	s_waitcnt vmcnt(0)
	v_fma_f64 v[23:24], v[29:30], v[37:38], v[25:26]
	v_fma_f64 v[27:28], v[31:32], v[37:38], v[27:28]
	v_fma_f64 v[25:26], -v[31:32], v[39:40], v[23:24]
	v_fma_f64 v[23:24], v[29:30], v[39:40], v[27:28]
	global_load_dwordx4 v[27:30], v[45:46], off offset:16
	s_waitcnt vmcnt(0)
	v_fma_f64 v[19:20], v[27:28], v[37:38], v[19:20]
	v_fma_f64 v[21:22], v[29:30], v[37:38], v[21:22]
	v_fma_f64 v[29:30], -v[29:30], v[39:40], v[19:20]
	v_fma_f64 v[31:32], v[27:28], v[39:40], v[21:22]
	global_load_dwordx4 v[19:22], v[45:46], off offset:32
	;; [unrolled: 6-line block ×3, first 2 shown]
	s_waitcnt vmcnt(0)
	v_fma_f64 v[19:20], v[15:16], v[37:38], v[41:42]
	v_fma_f64 v[37:38], v[17:18], v[37:38], v[43:44]
	v_fma_f64 v[19:20], -v[17:18], v[39:40], v[19:20]
	v_fma_f64 v[17:18], v[15:16], v[39:40], v[37:38]
	s_andn2_b64 exec, exec, s[8:9]
	s_cbranch_execnz .LBB133_7
; %bb.8:
	s_or_b64 exec, exec, s[8:9]
.LBB133_9:
	s_or_b64 exec, exec, s[6:7]
	s_cbranch_execz .LBB133_11
	s_branch .LBB133_16
.LBB133_10:
                                        ; implicit-def: $vgpr23_vgpr24
                                        ; implicit-def: $vgpr25_vgpr26
                                        ; implicit-def: $vgpr19_vgpr20
                                        ; implicit-def: $vgpr17_vgpr18
                                        ; implicit-def: $vgpr27_vgpr28
                                        ; implicit-def: $vgpr21_vgpr22
                                        ; implicit-def: $vgpr29_vgpr30
                                        ; implicit-def: $vgpr31_vgpr32
.LBB133_11:
	v_mov_b32_e32 v23, 0
	v_mov_b32_e32 v25, 0
	;; [unrolled: 1-line block ×16, first 2 shown]
	s_and_saveexec_b64 s[2:3], s[0:1]
	s_cbranch_execz .LBB133_15
; %bb.12:
	v_mad_u64_u32 v[12:13], s[0:1], v10, 24, 23
	v_mov_b32_e32 v23, 0
	v_mov_b32_e32 v25, 0
	;; [unrolled: 1-line block ×9, first 2 shown]
	s_mov_b64 s[6:7], 0
	v_mov_b32_e32 v36, s11
	v_mov_b32_e32 v14, 0
	;; [unrolled: 1-line block ×11, first 2 shown]
.LBB133_13:                             ; =>This Inner Loop Header: Depth=1
	v_ashrrev_i32_e32 v11, 31, v10
	v_lshlrev_b64 v[15:16], 2, v[10:11]
	v_subrev_u32_e32 v13, 23, v12
	v_add_co_u32_e32 v41, vcc, s10, v15
	v_addc_co_u32_e32 v42, vcc, v36, v16, vcc
	global_load_dword v11, v[41:42], off
	v_lshlrev_b64 v[39:40], 4, v[13:14]
	v_mov_b32_e32 v34, v14
	v_add_co_u32_e64 v15, s[0:1], s12, v39
	v_addc_co_u32_e64 v16, vcc, v37, v40, s[0:1]
	v_add_u32_e32 v13, -10, v12
	v_add_u32_e32 v10, 16, v10
	s_waitcnt vmcnt(0)
	v_subrev_u32_e32 v11, s16, v11
	v_mul_lo_u32 v33, v11, 6
	v_lshlrev_b64 v[39:40], 4, v[33:34]
	v_add_co_u32_e32 v47, vcc, s14, v39
	v_addc_co_u32_e32 v48, vcc, v38, v40, vcc
	global_load_dwordx4 v[39:42], v[15:16], off
	global_load_dwordx4 v[43:46], v[47:48], off
	s_waitcnt vmcnt(0)
	v_fma_f64 v[25:26], v[39:40], v[43:44], v[25:26]
	v_fma_f64 v[23:24], v[41:42], v[43:44], v[23:24]
	v_fma_f64 v[41:42], -v[41:42], v[45:46], v[25:26]
	v_fma_f64 v[39:40], v[39:40], v[45:46], v[23:24]
	global_load_dwordx4 v[23:26], v[15:16], off offset:96
	s_waitcnt vmcnt(0)
	v_fma_f64 v[31:32], v[25:26], v[43:44], v[31:32]
	v_fma_f64 v[29:30], v[23:24], v[43:44], v[29:30]
	;; [unrolled: 1-line block ×3, first 2 shown]
	v_add_u32_e32 v23, -11, v12
	v_mov_b32_e32 v24, v14
	v_lshlrev_b64 v[23:24], 4, v[23:24]
	v_fma_f64 v[29:30], -v[25:26], v[45:46], v[29:30]
	v_add_co_u32_e32 v23, vcc, s12, v23
	v_addc_co_u32_e32 v24, vcc, v37, v24, vcc
	global_load_dwordx4 v[23:26], v[23:24], off
	s_waitcnt vmcnt(0)
	v_fma_f64 v[27:28], v[23:24], v[43:44], v[27:28]
	v_fma_f64 v[21:22], v[25:26], v[43:44], v[21:22]
	v_fma_f64 v[25:26], -v[25:26], v[45:46], v[27:28]
	v_fma_f64 v[27:28], v[23:24], v[45:46], v[21:22]
	v_add_u32_e32 v21, -5, v12
	v_mov_b32_e32 v22, v14
	v_lshlrev_b64 v[21:22], 4, v[21:22]
	v_add_co_u32_e32 v21, vcc, s12, v21
	v_addc_co_u32_e32 v22, vcc, v37, v22, vcc
	global_load_dwordx4 v[21:24], v[21:22], off
	s_waitcnt vmcnt(0)
	v_fma_f64 v[19:20], v[21:22], v[43:44], v[19:20]
	v_fma_f64 v[17:18], v[23:24], v[43:44], v[17:18]
	v_fma_f64 v[43:44], -v[23:24], v[45:46], v[19:20]
	v_fma_f64 v[45:46], v[21:22], v[45:46], v[17:18]
	global_load_dwordx4 v[17:20], v[15:16], off offset:16
	global_load_dwordx4 v[21:24], v[47:48], off offset:16
	s_waitcnt vmcnt(0)
	v_fma_f64 v[41:42], v[17:18], v[21:22], v[41:42]
	v_fma_f64 v[39:40], v[19:20], v[21:22], v[39:40]
	v_fma_f64 v[41:42], -v[19:20], v[23:24], v[41:42]
	v_fma_f64 v[39:40], v[17:18], v[23:24], v[39:40]
	global_load_dwordx4 v[17:20], v[15:16], off offset:112
	s_waitcnt vmcnt(0)
	v_fma_f64 v[31:32], v[19:20], v[21:22], v[31:32]
	v_fma_f64 v[29:30], v[17:18], v[21:22], v[29:30]
	v_fma_f64 v[31:32], v[17:18], v[23:24], v[31:32]
	v_lshlrev_b64 v[17:18], 4, v[13:14]
	v_fma_f64 v[29:30], -v[19:20], v[23:24], v[29:30]
	v_add_co_u32_e32 v17, vcc, s12, v17
	v_addc_co_u32_e32 v18, vcc, v37, v18, vcc
	global_load_dwordx4 v[17:20], v[17:18], off
	v_add_u32_e32 v13, -4, v12
	s_waitcnt vmcnt(0)
	v_fma_f64 v[27:28], v[19:20], v[21:22], v[27:28]
	v_fma_f64 v[25:26], v[17:18], v[21:22], v[25:26]
	;; [unrolled: 1-line block ×3, first 2 shown]
	v_lshlrev_b64 v[17:18], 4, v[13:14]
	v_fma_f64 v[25:26], -v[19:20], v[23:24], v[25:26]
	v_add_co_u32_e32 v17, vcc, s12, v17
	v_addc_co_u32_e32 v18, vcc, v37, v18, vcc
	global_load_dwordx4 v[17:20], v[17:18], off
	v_add_u32_e32 v13, 2, v33
	s_waitcnt vmcnt(0)
	v_fma_f64 v[43:44], v[17:18], v[21:22], v[43:44]
	v_fma_f64 v[21:22], v[19:20], v[21:22], v[45:46]
	v_fma_f64 v[43:44], -v[19:20], v[23:24], v[43:44]
	v_fma_f64 v[45:46], v[17:18], v[23:24], v[21:22]
	v_lshlrev_b64 v[17:18], 4, v[13:14]
	v_add_u32_e32 v13, -15, v12
	v_add_co_u32_e32 v47, vcc, s14, v17
	v_addc_co_u32_e32 v48, vcc, v38, v18, vcc
	global_load_dwordx4 v[17:20], v[15:16], off offset:32
	global_load_dwordx4 v[21:24], v[47:48], off
	s_waitcnt vmcnt(0)
	v_fma_f64 v[39:40], v[19:20], v[21:22], v[39:40]
	v_fma_f64 v[41:42], v[17:18], v[21:22], v[41:42]
	v_fma_f64 v[39:40], v[17:18], v[23:24], v[39:40]
	v_lshlrev_b64 v[17:18], 4, v[13:14]
	v_fma_f64 v[41:42], -v[19:20], v[23:24], v[41:42]
	v_add_co_u32_e32 v17, vcc, s12, v17
	v_addc_co_u32_e32 v18, vcc, v37, v18, vcc
	global_load_dwordx4 v[17:20], v[17:18], off
	v_add_u32_e32 v13, -9, v12
	s_waitcnt vmcnt(0)
	v_fma_f64 v[31:32], v[19:20], v[21:22], v[31:32]
	v_fma_f64 v[29:30], v[17:18], v[21:22], v[29:30]
	v_fma_f64 v[31:32], v[17:18], v[23:24], v[31:32]
	v_lshlrev_b64 v[17:18], 4, v[13:14]
	v_fma_f64 v[29:30], -v[19:20], v[23:24], v[29:30]
	v_add_co_u32_e32 v17, vcc, s12, v17
	v_addc_co_u32_e32 v18, vcc, v37, v18, vcc
	global_load_dwordx4 v[17:20], v[17:18], off
	v_add_u32_e32 v13, -3, v12
	;; [unrolled: 10-line block ×3, first 2 shown]
	s_waitcnt vmcnt(0)
	v_fma_f64 v[43:44], v[17:18], v[21:22], v[43:44]
	v_fma_f64 v[21:22], v[19:20], v[21:22], v[45:46]
	v_fma_f64 v[43:44], -v[19:20], v[23:24], v[43:44]
	v_fma_f64 v[45:46], v[17:18], v[23:24], v[21:22]
	global_load_dwordx4 v[17:20], v[15:16], off offset:48
	global_load_dwordx4 v[21:24], v[47:48], off offset:16
	s_waitcnt vmcnt(0)
	v_fma_f64 v[39:40], v[19:20], v[21:22], v[39:40]
	v_fma_f64 v[41:42], v[17:18], v[21:22], v[41:42]
	;; [unrolled: 1-line block ×3, first 2 shown]
	v_lshlrev_b64 v[17:18], 4, v[13:14]
	v_fma_f64 v[47:48], -v[19:20], v[23:24], v[41:42]
	v_add_co_u32_e32 v17, vcc, s12, v17
	v_addc_co_u32_e32 v18, vcc, v37, v18, vcc
	global_load_dwordx4 v[17:20], v[17:18], off
	v_add_u32_e32 v13, -8, v12
	s_waitcnt vmcnt(0)
	v_fma_f64 v[31:32], v[19:20], v[21:22], v[31:32]
	v_fma_f64 v[29:30], v[17:18], v[21:22], v[29:30]
	;; [unrolled: 1-line block ×3, first 2 shown]
	v_lshlrev_b64 v[17:18], 4, v[13:14]
	v_fma_f64 v[29:30], -v[19:20], v[23:24], v[29:30]
	v_add_co_u32_e32 v17, vcc, s12, v17
	v_addc_co_u32_e32 v18, vcc, v37, v18, vcc
	global_load_dwordx4 v[17:20], v[17:18], off
	v_add_u32_e32 v13, -2, v12
	s_waitcnt vmcnt(0)
	v_fma_f64 v[27:28], v[19:20], v[21:22], v[27:28]
	v_fma_f64 v[25:26], v[17:18], v[21:22], v[25:26]
	;; [unrolled: 1-line block ×3, first 2 shown]
	v_lshlrev_b64 v[17:18], 4, v[13:14]
	v_fma_f64 v[51:52], -v[19:20], v[23:24], v[25:26]
	v_add_co_u32_e32 v17, vcc, s12, v17
	v_addc_co_u32_e32 v18, vcc, v37, v18, vcc
	global_load_dwordx4 v[17:20], v[17:18], off
	v_add_u32_e32 v13, 4, v33
	s_waitcnt vmcnt(0)
	v_fma_f64 v[25:26], v[17:18], v[21:22], v[43:44]
	v_fma_f64 v[21:22], v[19:20], v[21:22], v[45:46]
	v_fma_f64 v[43:44], -v[19:20], v[23:24], v[25:26]
	v_fma_f64 v[45:46], v[17:18], v[23:24], v[21:22]
	v_lshlrev_b64 v[21:22], 4, v[13:14]
	global_load_dwordx4 v[17:20], v[15:16], off offset:64
	v_add_co_u32_e32 v23, vcc, s14, v21
	v_addc_co_u32_e32 v24, vcc, v38, v22, vcc
	global_load_dwordx4 v[39:42], v[23:24], off
	v_add_u32_e32 v13, -13, v12
	s_waitcnt vmcnt(0)
	v_fma_f64 v[33:34], v[19:20], v[39:40], v[49:50]
	v_fma_f64 v[21:22], v[17:18], v[39:40], v[47:48]
	v_fma_f64 v[33:34], v[17:18], v[41:42], v[33:34]
	v_lshlrev_b64 v[17:18], 4, v[13:14]
	v_fma_f64 v[25:26], -v[19:20], v[41:42], v[21:22]
	v_add_co_u32_e32 v17, vcc, s12, v17
	v_addc_co_u32_e32 v18, vcc, v37, v18, vcc
	global_load_dwordx4 v[17:20], v[17:18], off
	v_add_u32_e32 v13, -7, v12
	s_waitcnt vmcnt(0)
	v_fma_f64 v[31:32], v[19:20], v[39:40], v[31:32]
	v_fma_f64 v[21:22], v[17:18], v[39:40], v[29:30]
	v_fma_f64 v[31:32], v[17:18], v[41:42], v[31:32]
	v_lshlrev_b64 v[17:18], 4, v[13:14]
	v_fma_f64 v[29:30], -v[19:20], v[41:42], v[21:22]
	;; [unrolled: 10-line block ×3, first 2 shown]
	v_add_co_u32_e32 v17, vcc, s12, v17
	v_addc_co_u32_e32 v18, vcc, v37, v18, vcc
	global_load_dwordx4 v[17:20], v[17:18], off
	v_mov_b32_e32 v13, v14
	s_waitcnt vmcnt(0)
	v_fma_f64 v[43:44], v[17:18], v[39:40], v[43:44]
	v_fma_f64 v[39:40], v[19:20], v[39:40], v[45:46]
	v_fma_f64 v[19:20], -v[19:20], v[41:42], v[43:44]
	v_fma_f64 v[17:18], v[17:18], v[41:42], v[39:40]
	v_lshlrev_b64 v[39:40], 4, v[12:13]
	global_load_dwordx4 v[43:46], v[23:24], off offset:16
	v_add_co_u32_e32 v47, vcc, s12, v39
	v_addc_co_u32_e32 v48, vcc, v37, v40, vcc
	global_load_dwordx4 v[39:42], v[15:16], off offset:80
	v_add_u32_e32 v13, -12, v12
	s_waitcnt vmcnt(0)
	v_fma_f64 v[15:16], v[39:40], v[43:44], v[25:26]
	v_fma_f64 v[23:24], v[41:42], v[43:44], v[33:34]
	v_fma_f64 v[25:26], -v[41:42], v[45:46], v[15:16]
	v_lshlrev_b64 v[15:16], 4, v[13:14]
	v_fma_f64 v[23:24], v[39:40], v[45:46], v[23:24]
	v_add_co_u32_e32 v15, vcc, s12, v15
	v_addc_co_u32_e32 v16, vcc, v37, v16, vcc
	global_load_dwordx4 v[39:42], v[15:16], off
	v_add_u32_e32 v13, -6, v12
	v_add_u32_e32 v12, 0x180, v12
	s_waitcnt vmcnt(0)
	v_fma_f64 v[15:16], v[39:40], v[43:44], v[29:30]
	v_fma_f64 v[31:32], v[41:42], v[43:44], v[31:32]
	v_fma_f64 v[29:30], -v[41:42], v[45:46], v[15:16]
	v_lshlrev_b64 v[15:16], 4, v[13:14]
	v_fma_f64 v[31:32], v[39:40], v[45:46], v[31:32]
	v_add_co_u32_e32 v15, vcc, s12, v15
	v_addc_co_u32_e32 v16, vcc, v37, v16, vcc
	global_load_dwordx4 v[39:42], v[15:16], off
	v_cmp_ge_i32_e32 vcc, v10, v35
	s_or_b64 s[6:7], vcc, s[6:7]
	s_waitcnt vmcnt(0)
	v_fma_f64 v[15:16], v[39:40], v[43:44], v[21:22]
	v_fma_f64 v[21:22], v[41:42], v[43:44], v[27:28]
	v_fma_f64 v[27:28], -v[41:42], v[45:46], v[15:16]
	v_fma_f64 v[21:22], v[39:40], v[45:46], v[21:22]
	global_load_dwordx4 v[39:42], v[47:48], off
	s_waitcnt vmcnt(0)
	v_fma_f64 v[15:16], v[39:40], v[43:44], v[19:20]
	v_fma_f64 v[17:18], v[41:42], v[43:44], v[17:18]
	v_fma_f64 v[19:20], -v[41:42], v[45:46], v[15:16]
	v_fma_f64 v[17:18], v[39:40], v[45:46], v[17:18]
	s_andn2_b64 exec, exec, s[6:7]
	s_cbranch_execnz .LBB133_13
; %bb.14:
	s_or_b64 exec, exec, s[6:7]
.LBB133_15:
	s_or_b64 exec, exec, s[2:3]
.LBB133_16:
	v_mov_b32_dpp v10, v25 row_shr:1 row_mask:0xf bank_mask:0xf
	v_mov_b32_dpp v11, v26 row_shr:1 row_mask:0xf bank_mask:0xf
	v_add_f64 v[10:11], v[25:26], v[10:11]
	v_mov_b32_dpp v12, v23 row_shr:1 row_mask:0xf bank_mask:0xf
	v_mov_b32_dpp v13, v24 row_shr:1 row_mask:0xf bank_mask:0xf
	v_add_f64 v[12:13], v[23:24], v[12:13]
	;; [unrolled: 3-line block ×3, first 2 shown]
	v_mov_b32_dpp v36, v21 row_shr:1 row_mask:0xf bank_mask:0xf
	v_mov_b32_dpp v23, v10 row_shr:2 row_mask:0xf bank_mask:0xf
	;; [unrolled: 1-line block ×3, first 2 shown]
	v_add_f64 v[10:11], v[10:11], v[23:24]
	v_mov_b32_dpp v23, v12 row_shr:2 row_mask:0xf bank_mask:0xf
	v_mov_b32_dpp v24, v13 row_shr:2 row_mask:0xf bank_mask:0xf
	v_add_f64 v[12:13], v[12:13], v[23:24]
	v_mov_b32_dpp v23, v31 row_shr:1 row_mask:0xf bank_mask:0xf
	v_mov_b32_dpp v24, v32 row_shr:1 row_mask:0xf bank_mask:0xf
	;; [unrolled: 3-line block ×3, first 2 shown]
	v_add_f64 v[14:15], v[14:15], v[29:30]
	v_mov_b32_dpp v37, v22 row_shr:1 row_mask:0xf bank_mask:0xf
	v_add_f64 v[21:22], v[21:22], v[36:37]
	v_mov_b32_dpp v36, v19 row_shr:1 row_mask:0xf bank_mask:0xf
	v_mov_b32_dpp v37, v20 row_shr:1 row_mask:0xf bank_mask:0xf
	;; [unrolled: 1-line block ×4, first 2 shown]
	v_add_f64 v[23:24], v[23:24], v[29:30]
	v_mov_b32_dpp v29, v27 row_shr:1 row_mask:0xf bank_mask:0xf
	v_mov_b32_dpp v30, v28 row_shr:1 row_mask:0xf bank_mask:0xf
	v_add_f64 v[28:29], v[27:28], v[29:30]
	v_add_f64 v[19:20], v[19:20], v[36:37]
	v_mov_b32_dpp v36, v17 row_shr:1 row_mask:0xf bank_mask:0xf
	v_mov_b32_dpp v37, v18 row_shr:1 row_mask:0xf bank_mask:0xf
	v_add_f64 v[36:37], v[17:18], v[36:37]
	v_mov_b32_dpp v25, v10 row_shr:4 row_mask:0xf bank_mask:0xe
	v_mov_b32_dpp v26, v11 row_shr:4 row_mask:0xf bank_mask:0xe
	;; [unrolled: 3-line block ×14, first 2 shown]
	v_mov_b32_dpp v23, v12 row_shr:8 row_mask:0xf bank_mask:0xc
	v_mov_b32_dpp v24, v13 row_shr:8 row_mask:0xf bank_mask:0xc
	;; [unrolled: 1-line block ×14, first 2 shown]
	v_cmp_eq_u32_e32 vcc, 15, v0
	s_and_b64 exec, exec, vcc
	s_cbranch_execz .LBB133_21
; %bb.17:
	v_cmp_eq_f64_e32 vcc, 0, v[5:6]
	v_cmp_eq_f64_e64 s[0:1], 0, v[7:8]
	v_add_f64 v[16:17], v[10:11], v[32:33]
	v_add_f64 v[24:25], v[12:13], v[23:24]
	v_add_f64 v[10:11], v[14:15], v[30:31]
	v_add_f64 v[22:23], v[26:27], v[28:29]
	v_add_f64 v[12:13], v[20:21], v[44:45]
	v_add_f64 v[20:21], v[34:35], v[42:43]
	v_add_f64 v[14:15], v[36:37], v[40:41]
	v_add_f64 v[18:19], v[18:19], v[38:39]
	s_load_dwordx2 s[2:3], s[4:5], 0x48
	s_and_b64 s[0:1], vcc, s[0:1]
	s_and_saveexec_b64 s[4:5], s[0:1]
	s_xor_b64 s[0:1], exec, s[4:5]
	s_cbranch_execz .LBB133_19
; %bb.18:
	v_mul_f64 v[5:6], v[24:25], -v[3:4]
	v_mul_f64 v[7:8], v[1:2], v[24:25]
	v_mul_f64 v[26:27], v[22:23], -v[3:4]
	v_mul_f64 v[22:23], v[1:2], v[22:23]
	;; [unrolled: 2-line block ×4, first 2 shown]
	v_fma_f64 v[5:6], v[1:2], v[16:17], v[5:6]
	v_fma_f64 v[7:8], v[3:4], v[16:17], v[7:8]
	;; [unrolled: 1-line block ×4, first 2 shown]
	v_lshlrev_b32_e32 v24, 2, v9
	v_fma_f64 v[9:10], v[1:2], v[12:13], v[28:29]
	v_fma_f64 v[11:12], v[3:4], v[12:13], v[20:21]
	v_ashrrev_i32_e32 v25, 31, v24
	v_fma_f64 v[0:1], v[1:2], v[14:15], v[30:31]
	v_fma_f64 v[2:3], v[3:4], v[14:15], v[32:33]
	v_lshlrev_b64 v[24:25], 4, v[24:25]
	s_waitcnt lgkmcnt(0)
	v_mov_b32_e32 v34, s3
	v_add_co_u32_e32 v13, vcc, s2, v24
	v_addc_co_u32_e32 v14, vcc, v34, v25, vcc
	global_store_dwordx4 v[13:14], v[5:8], off
	global_store_dwordx4 v[13:14], v[16:19], off offset:16
	global_store_dwordx4 v[13:14], v[9:12], off offset:32
	;; [unrolled: 1-line block ×3, first 2 shown]
                                        ; implicit-def: $vgpr9
                                        ; implicit-def: $vgpr16_vgpr17
                                        ; implicit-def: $vgpr24_vgpr25
                                        ; implicit-def: $vgpr10_vgpr11
                                        ; implicit-def: $vgpr22_vgpr23
                                        ; implicit-def: $vgpr12_vgpr13
                                        ; implicit-def: $vgpr20_vgpr21
                                        ; implicit-def: $vgpr14_vgpr15
                                        ; implicit-def: $vgpr18_vgpr19
                                        ; implicit-def: $vgpr7_vgpr8
                                        ; implicit-def: $vgpr3_vgpr4
.LBB133_19:
	s_andn2_saveexec_b64 s[0:1], s[0:1]
	s_cbranch_execz .LBB133_21
; %bb.20:
	v_lshlrev_b32_e32 v26, 2, v9
	v_ashrrev_i32_e32 v27, 31, v26
	v_lshlrev_b64 v[26:27], 4, v[26:27]
	s_waitcnt lgkmcnt(0)
	v_mov_b32_e32 v0, s3
	v_add_co_u32_e32 v42, vcc, s2, v26
	v_addc_co_u32_e32 v43, vcc, v0, v27, vcc
	global_load_dwordx4 v[26:29], v[42:43], off
	global_load_dwordx4 v[30:33], v[42:43], off offset:16
	global_load_dwordx4 v[34:37], v[42:43], off offset:32
	;; [unrolled: 1-line block ×3, first 2 shown]
	v_mul_f64 v[44:45], v[24:25], -v[3:4]
	v_mul_f64 v[24:25], v[1:2], v[24:25]
	v_mul_f64 v[46:47], v[22:23], -v[3:4]
	v_mul_f64 v[22:23], v[1:2], v[22:23]
	;; [unrolled: 2-line block ×4, first 2 shown]
	v_fma_f64 v[44:45], v[1:2], v[16:17], v[44:45]
	v_fma_f64 v[16:17], v[3:4], v[16:17], v[24:25]
	;; [unrolled: 1-line block ×8, first 2 shown]
	s_waitcnt vmcnt(3)
	v_fma_f64 v[13:14], v[5:6], v[26:27], v[44:45]
	v_fma_f64 v[15:16], v[7:8], v[26:27], v[16:17]
	s_waitcnt vmcnt(2)
	v_fma_f64 v[17:18], v[5:6], v[30:31], v[24:25]
	v_fma_f64 v[19:20], v[7:8], v[30:31], v[9:10]
	;; [unrolled: 3-line block ×4, first 2 shown]
	v_fma_f64 v[0:1], -v[7:8], v[28:29], v[13:14]
	v_fma_f64 v[2:3], v[5:6], v[28:29], v[15:16]
	v_fma_f64 v[9:10], -v[7:8], v[32:33], v[17:18]
	v_fma_f64 v[11:12], v[5:6], v[32:33], v[19:20]
	;; [unrolled: 2-line block ×4, first 2 shown]
	global_store_dwordx4 v[42:43], v[0:3], off
	global_store_dwordx4 v[42:43], v[9:12], off offset:16
	global_store_dwordx4 v[42:43], v[13:16], off offset:32
	;; [unrolled: 1-line block ×3, first 2 shown]
.LBB133_21:
	s_endpgm
	.section	.rodata,"a",@progbits
	.p2align	6, 0x0
	.amdhsa_kernel _ZN9rocsparseL19gebsrmvn_4xn_kernelILj128ELj6ELj16E21rocsparse_complex_numIdEEEvi20rocsparse_direction_NS_24const_host_device_scalarIT2_EEPKiS8_PKS5_SA_S6_PS5_21rocsparse_index_base_b
		.amdhsa_group_segment_fixed_size 0
		.amdhsa_private_segment_fixed_size 0
		.amdhsa_kernarg_size 88
		.amdhsa_user_sgpr_count 6
		.amdhsa_user_sgpr_private_segment_buffer 1
		.amdhsa_user_sgpr_dispatch_ptr 0
		.amdhsa_user_sgpr_queue_ptr 0
		.amdhsa_user_sgpr_kernarg_segment_ptr 1
		.amdhsa_user_sgpr_dispatch_id 0
		.amdhsa_user_sgpr_flat_scratch_init 0
		.amdhsa_user_sgpr_private_segment_size 0
		.amdhsa_uses_dynamic_stack 0
		.amdhsa_system_sgpr_private_segment_wavefront_offset 0
		.amdhsa_system_sgpr_workgroup_id_x 1
		.amdhsa_system_sgpr_workgroup_id_y 0
		.amdhsa_system_sgpr_workgroup_id_z 0
		.amdhsa_system_sgpr_workgroup_info 0
		.amdhsa_system_vgpr_workitem_id 0
		.amdhsa_next_free_vgpr 56
		.amdhsa_next_free_sgpr 18
		.amdhsa_reserve_vcc 1
		.amdhsa_reserve_flat_scratch 0
		.amdhsa_float_round_mode_32 0
		.amdhsa_float_round_mode_16_64 0
		.amdhsa_float_denorm_mode_32 3
		.amdhsa_float_denorm_mode_16_64 3
		.amdhsa_dx10_clamp 1
		.amdhsa_ieee_mode 1
		.amdhsa_fp16_overflow 0
		.amdhsa_exception_fp_ieee_invalid_op 0
		.amdhsa_exception_fp_denorm_src 0
		.amdhsa_exception_fp_ieee_div_zero 0
		.amdhsa_exception_fp_ieee_overflow 0
		.amdhsa_exception_fp_ieee_underflow 0
		.amdhsa_exception_fp_ieee_inexact 0
		.amdhsa_exception_int_div_zero 0
	.end_amdhsa_kernel
	.section	.text._ZN9rocsparseL19gebsrmvn_4xn_kernelILj128ELj6ELj16E21rocsparse_complex_numIdEEEvi20rocsparse_direction_NS_24const_host_device_scalarIT2_EEPKiS8_PKS5_SA_S6_PS5_21rocsparse_index_base_b,"axG",@progbits,_ZN9rocsparseL19gebsrmvn_4xn_kernelILj128ELj6ELj16E21rocsparse_complex_numIdEEEvi20rocsparse_direction_NS_24const_host_device_scalarIT2_EEPKiS8_PKS5_SA_S6_PS5_21rocsparse_index_base_b,comdat
.Lfunc_end133:
	.size	_ZN9rocsparseL19gebsrmvn_4xn_kernelILj128ELj6ELj16E21rocsparse_complex_numIdEEEvi20rocsparse_direction_NS_24const_host_device_scalarIT2_EEPKiS8_PKS5_SA_S6_PS5_21rocsparse_index_base_b, .Lfunc_end133-_ZN9rocsparseL19gebsrmvn_4xn_kernelILj128ELj6ELj16E21rocsparse_complex_numIdEEEvi20rocsparse_direction_NS_24const_host_device_scalarIT2_EEPKiS8_PKS5_SA_S6_PS5_21rocsparse_index_base_b
                                        ; -- End function
	.set _ZN9rocsparseL19gebsrmvn_4xn_kernelILj128ELj6ELj16E21rocsparse_complex_numIdEEEvi20rocsparse_direction_NS_24const_host_device_scalarIT2_EEPKiS8_PKS5_SA_S6_PS5_21rocsparse_index_base_b.num_vgpr, 56
	.set _ZN9rocsparseL19gebsrmvn_4xn_kernelILj128ELj6ELj16E21rocsparse_complex_numIdEEEvi20rocsparse_direction_NS_24const_host_device_scalarIT2_EEPKiS8_PKS5_SA_S6_PS5_21rocsparse_index_base_b.num_agpr, 0
	.set _ZN9rocsparseL19gebsrmvn_4xn_kernelILj128ELj6ELj16E21rocsparse_complex_numIdEEEvi20rocsparse_direction_NS_24const_host_device_scalarIT2_EEPKiS8_PKS5_SA_S6_PS5_21rocsparse_index_base_b.numbered_sgpr, 18
	.set _ZN9rocsparseL19gebsrmvn_4xn_kernelILj128ELj6ELj16E21rocsparse_complex_numIdEEEvi20rocsparse_direction_NS_24const_host_device_scalarIT2_EEPKiS8_PKS5_SA_S6_PS5_21rocsparse_index_base_b.num_named_barrier, 0
	.set _ZN9rocsparseL19gebsrmvn_4xn_kernelILj128ELj6ELj16E21rocsparse_complex_numIdEEEvi20rocsparse_direction_NS_24const_host_device_scalarIT2_EEPKiS8_PKS5_SA_S6_PS5_21rocsparse_index_base_b.private_seg_size, 0
	.set _ZN9rocsparseL19gebsrmvn_4xn_kernelILj128ELj6ELj16E21rocsparse_complex_numIdEEEvi20rocsparse_direction_NS_24const_host_device_scalarIT2_EEPKiS8_PKS5_SA_S6_PS5_21rocsparse_index_base_b.uses_vcc, 1
	.set _ZN9rocsparseL19gebsrmvn_4xn_kernelILj128ELj6ELj16E21rocsparse_complex_numIdEEEvi20rocsparse_direction_NS_24const_host_device_scalarIT2_EEPKiS8_PKS5_SA_S6_PS5_21rocsparse_index_base_b.uses_flat_scratch, 0
	.set _ZN9rocsparseL19gebsrmvn_4xn_kernelILj128ELj6ELj16E21rocsparse_complex_numIdEEEvi20rocsparse_direction_NS_24const_host_device_scalarIT2_EEPKiS8_PKS5_SA_S6_PS5_21rocsparse_index_base_b.has_dyn_sized_stack, 0
	.set _ZN9rocsparseL19gebsrmvn_4xn_kernelILj128ELj6ELj16E21rocsparse_complex_numIdEEEvi20rocsparse_direction_NS_24const_host_device_scalarIT2_EEPKiS8_PKS5_SA_S6_PS5_21rocsparse_index_base_b.has_recursion, 0
	.set _ZN9rocsparseL19gebsrmvn_4xn_kernelILj128ELj6ELj16E21rocsparse_complex_numIdEEEvi20rocsparse_direction_NS_24const_host_device_scalarIT2_EEPKiS8_PKS5_SA_S6_PS5_21rocsparse_index_base_b.has_indirect_call, 0
	.section	.AMDGPU.csdata,"",@progbits
; Kernel info:
; codeLenInByte = 4952
; TotalNumSgprs: 22
; NumVgprs: 56
; ScratchSize: 0
; MemoryBound: 1
; FloatMode: 240
; IeeeMode: 1
; LDSByteSize: 0 bytes/workgroup (compile time only)
; SGPRBlocks: 2
; VGPRBlocks: 13
; NumSGPRsForWavesPerEU: 22
; NumVGPRsForWavesPerEU: 56
; Occupancy: 4
; WaveLimiterHint : 1
; COMPUTE_PGM_RSRC2:SCRATCH_EN: 0
; COMPUTE_PGM_RSRC2:USER_SGPR: 6
; COMPUTE_PGM_RSRC2:TRAP_HANDLER: 0
; COMPUTE_PGM_RSRC2:TGID_X_EN: 1
; COMPUTE_PGM_RSRC2:TGID_Y_EN: 0
; COMPUTE_PGM_RSRC2:TGID_Z_EN: 0
; COMPUTE_PGM_RSRC2:TIDIG_COMP_CNT: 0
	.section	.text._ZN9rocsparseL19gebsrmvn_4xn_kernelILj128ELj6ELj32E21rocsparse_complex_numIdEEEvi20rocsparse_direction_NS_24const_host_device_scalarIT2_EEPKiS8_PKS5_SA_S6_PS5_21rocsparse_index_base_b,"axG",@progbits,_ZN9rocsparseL19gebsrmvn_4xn_kernelILj128ELj6ELj32E21rocsparse_complex_numIdEEEvi20rocsparse_direction_NS_24const_host_device_scalarIT2_EEPKiS8_PKS5_SA_S6_PS5_21rocsparse_index_base_b,comdat
	.globl	_ZN9rocsparseL19gebsrmvn_4xn_kernelILj128ELj6ELj32E21rocsparse_complex_numIdEEEvi20rocsparse_direction_NS_24const_host_device_scalarIT2_EEPKiS8_PKS5_SA_S6_PS5_21rocsparse_index_base_b ; -- Begin function _ZN9rocsparseL19gebsrmvn_4xn_kernelILj128ELj6ELj32E21rocsparse_complex_numIdEEEvi20rocsparse_direction_NS_24const_host_device_scalarIT2_EEPKiS8_PKS5_SA_S6_PS5_21rocsparse_index_base_b
	.p2align	8
	.type	_ZN9rocsparseL19gebsrmvn_4xn_kernelILj128ELj6ELj32E21rocsparse_complex_numIdEEEvi20rocsparse_direction_NS_24const_host_device_scalarIT2_EEPKiS8_PKS5_SA_S6_PS5_21rocsparse_index_base_b,@function
_ZN9rocsparseL19gebsrmvn_4xn_kernelILj128ELj6ELj32E21rocsparse_complex_numIdEEEvi20rocsparse_direction_NS_24const_host_device_scalarIT2_EEPKiS8_PKS5_SA_S6_PS5_21rocsparse_index_base_b: ; @_ZN9rocsparseL19gebsrmvn_4xn_kernelILj128ELj6ELj32E21rocsparse_complex_numIdEEEvi20rocsparse_direction_NS_24const_host_device_scalarIT2_EEPKiS8_PKS5_SA_S6_PS5_21rocsparse_index_base_b
; %bb.0:
	s_load_dwordx2 s[0:1], s[4:5], 0x8
	s_load_dwordx2 s[2:3], s[4:5], 0x38
	;; [unrolled: 1-line block ×3, first 2 shown]
	s_add_u32 s7, s4, 8
	s_addc_u32 s8, s5, 0
	s_add_u32 s9, s4, 56
	s_addc_u32 s10, s5, 0
	s_waitcnt lgkmcnt(0)
	s_bitcmp1_b32 s17, 0
	s_cselect_b32 s1, s8, s1
	s_cselect_b32 s0, s7, s0
	v_mov_b32_e32 v1, s0
	v_mov_b32_e32 v2, s1
	flat_load_dwordx4 v[1:4], v[1:2]
	s_cselect_b32 s0, s10, s3
	s_cselect_b32 s1, s9, s2
	v_mov_b32_e32 v5, s1
	v_mov_b32_e32 v6, s0
	flat_load_dwordx4 v[5:8], v[5:6]
	s_waitcnt vmcnt(0) lgkmcnt(0)
	v_cmp_eq_f64_e32 vcc, 0, v[1:2]
	v_cmp_eq_f64_e64 s[0:1], 0, v[3:4]
	s_and_b64 s[8:9], vcc, s[0:1]
	s_mov_b64 s[0:1], -1
	s_and_saveexec_b64 s[2:3], s[8:9]
	s_cbranch_execz .LBB134_2
; %bb.1:
	v_cmp_neq_f64_e32 vcc, 1.0, v[5:6]
	v_cmp_neq_f64_e64 s[0:1], 0, v[7:8]
	s_or_b64 s[0:1], vcc, s[0:1]
	s_orn2_b64 s[0:1], s[0:1], exec
.LBB134_2:
	s_or_b64 exec, exec, s[2:3]
	s_and_saveexec_b64 s[2:3], s[0:1]
	s_cbranch_execz .LBB134_21
; %bb.3:
	s_load_dwordx2 s[0:1], s[4:5], 0x0
	v_lshrrev_b32_e32 v9, 5, v0
	v_lshl_or_b32 v9, s6, 2, v9
	s_waitcnt lgkmcnt(0)
	v_cmp_gt_i32_e32 vcc, s0, v9
	s_and_b64 exec, exec, vcc
	s_cbranch_execz .LBB134_21
; %bb.4:
	s_load_dwordx8 s[8:15], s[4:5], 0x18
	v_ashrrev_i32_e32 v10, 31, v9
	v_lshlrev_b64 v[10:11], 2, v[9:10]
	v_and_b32_e32 v0, 31, v0
	s_cmp_lg_u32 s1, 0
	s_waitcnt lgkmcnt(0)
	v_mov_b32_e32 v12, s9
	v_add_co_u32_e32 v10, vcc, s8, v10
	v_addc_co_u32_e32 v11, vcc, v12, v11, vcc
	global_load_dwordx2 v[10:11], v[10:11], off
	s_waitcnt vmcnt(0)
	v_subrev_u32_e32 v10, s16, v10
	v_subrev_u32_e32 v35, s16, v11
	v_add_u32_e32 v10, v10, v0
	v_cmp_lt_i32_e64 s[0:1], v10, v35
	s_cbranch_scc0 .LBB134_10
; %bb.5:
	v_mov_b32_e32 v19, 0
	v_mov_b32_e32 v25, 0
	;; [unrolled: 1-line block ×16, first 2 shown]
	s_and_saveexec_b64 s[6:7], s[0:1]
	s_cbranch_execz .LBB134_9
; %bb.6:
	v_mad_u64_u32 v[11:12], s[2:3], v10, 24, 20
	v_mov_b32_e32 v19, 0
	v_mov_b32_e32 v25, 0
	;; [unrolled: 1-line block ×9, first 2 shown]
	s_mov_b64 s[8:9], 0
	v_mov_b32_e32 v33, s11
	v_mov_b32_e32 v13, 0
	;; [unrolled: 1-line block ×12, first 2 shown]
.LBB134_7:                              ; =>This Inner Loop Header: Depth=1
	v_ashrrev_i32_e32 v15, 31, v14
	v_lshlrev_b64 v[15:16], 2, v[14:15]
	v_subrev_u32_e32 v12, 20, v11
	v_add_co_u32_e32 v15, vcc, s10, v15
	v_addc_co_u32_e32 v16, vcc, v33, v16, vcc
	v_lshlrev_b64 v[37:38], 4, v[12:13]
	global_load_dword v12, v[15:16], off
	v_mov_b32_e32 v46, v13
	v_add_co_u32_e64 v47, s[2:3], s12, v37
	v_addc_co_u32_e64 v48, vcc, v34, v38, s[2:3]
	v_add_u32_e32 v14, 32, v14
	s_waitcnt vmcnt(0)
	v_subrev_u32_e32 v12, s16, v12
	v_mul_lo_u32 v45, v12, 6
	v_add_u32_e32 v12, -12, v11
	v_lshlrev_b64 v[15:16], 4, v[45:46]
	v_add_co_u32_e32 v49, vcc, s14, v15
	v_addc_co_u32_e32 v50, vcc, v36, v16, vcc
	global_load_dwordx4 v[37:40], v[47:48], off
	global_load_dwordx4 v[41:44], v[49:50], off
	s_waitcnt vmcnt(0)
	v_fma_f64 v[15:16], v[37:38], v[41:42], v[25:26]
	v_fma_f64 v[19:20], v[39:40], v[41:42], v[19:20]
	v_fma_f64 v[51:52], -v[39:40], v[43:44], v[15:16]
	v_fma_f64 v[53:54], v[37:38], v[43:44], v[19:20]
	global_load_dwordx4 v[37:40], v[47:48], off offset:16
	s_waitcnt vmcnt(0)
	v_fma_f64 v[15:16], v[37:38], v[41:42], v[31:32]
	v_fma_f64 v[19:20], v[39:40], v[41:42], v[29:30]
	global_load_dwordx4 v[29:32], v[47:48], off offset:32
	v_fma_f64 v[39:40], -v[39:40], v[43:44], v[15:16]
	v_fma_f64 v[37:38], v[37:38], v[43:44], v[19:20]
	s_waitcnt vmcnt(0)
	v_fma_f64 v[19:20], v[31:32], v[41:42], v[23:24]
	global_load_dwordx4 v[23:26], v[47:48], off offset:48
	v_fma_f64 v[15:16], v[29:30], v[41:42], v[27:28]
	v_fma_f64 v[29:30], v[29:30], v[43:44], v[19:20]
	v_fma_f64 v[27:28], -v[31:32], v[43:44], v[15:16]
	s_waitcnt vmcnt(0)
	v_fma_f64 v[15:16], v[23:24], v[41:42], v[21:22]
	v_fma_f64 v[17:18], v[25:26], v[41:42], v[17:18]
	v_fma_f64 v[25:26], -v[25:26], v[43:44], v[15:16]
	v_fma_f64 v[23:24], v[23:24], v[43:44], v[17:18]
	global_load_dwordx4 v[15:18], v[47:48], off offset:64
	global_load_dwordx4 v[19:22], v[49:50], off offset:16
	s_waitcnt vmcnt(0)
	v_fma_f64 v[31:32], v[15:16], v[19:20], v[51:52]
	v_fma_f64 v[41:42], v[17:18], v[19:20], v[53:54]
	v_fma_f64 v[31:32], -v[17:18], v[21:22], v[31:32]
	v_fma_f64 v[41:42], v[15:16], v[21:22], v[41:42]
	global_load_dwordx4 v[15:18], v[47:48], off offset:80
	s_waitcnt vmcnt(0)
	v_fma_f64 v[39:40], v[15:16], v[19:20], v[39:40]
	v_fma_f64 v[37:38], v[17:18], v[19:20], v[37:38]
	v_fma_f64 v[39:40], -v[17:18], v[21:22], v[39:40]
	v_fma_f64 v[37:38], v[15:16], v[21:22], v[37:38]
	;; [unrolled: 6-line block ×4, first 2 shown]
	v_lshlrev_b64 v[15:16], 4, v[12:13]
	v_add_u32_e32 v12, 2, v45
	v_add_co_u32_e32 v43, vcc, s12, v15
	v_addc_co_u32_e32 v44, vcc, v34, v16, vcc
	v_lshlrev_b64 v[15:16], 4, v[12:13]
	v_add_u32_e32 v12, -8, v11
	v_add_co_u32_e32 v46, vcc, s14, v15
	v_addc_co_u32_e32 v47, vcc, v36, v16, vcc
	global_load_dwordx4 v[15:18], v[43:44], off
	global_load_dwordx4 v[19:22], v[46:47], off
	s_waitcnt vmcnt(0)
	v_fma_f64 v[31:32], v[15:16], v[19:20], v[31:32]
	v_fma_f64 v[41:42], v[17:18], v[19:20], v[41:42]
	v_fma_f64 v[31:32], -v[17:18], v[21:22], v[31:32]
	v_fma_f64 v[41:42], v[15:16], v[21:22], v[41:42]
	global_load_dwordx4 v[15:18], v[43:44], off offset:16
	s_waitcnt vmcnt(0)
	v_fma_f64 v[39:40], v[15:16], v[19:20], v[39:40]
	v_fma_f64 v[37:38], v[17:18], v[19:20], v[37:38]
	v_fma_f64 v[39:40], -v[17:18], v[21:22], v[39:40]
	v_fma_f64 v[37:38], v[15:16], v[21:22], v[37:38]
	global_load_dwordx4 v[15:18], v[43:44], off offset:32
	;; [unrolled: 6-line block ×3, first 2 shown]
	s_waitcnt vmcnt(0)
	v_fma_f64 v[23:24], v[15:16], v[19:20], v[23:24]
	v_fma_f64 v[19:20], v[17:18], v[19:20], v[25:26]
	v_fma_f64 v[23:24], -v[17:18], v[21:22], v[23:24]
	v_fma_f64 v[25:26], v[15:16], v[21:22], v[19:20]
	v_lshlrev_b64 v[18:19], 4, v[12:13]
	v_add_u32_e32 v12, -4, v11
	v_add_co_u32_e32 v43, vcc, s12, v18
	v_addc_co_u32_e32 v44, vcc, v34, v19, vcc
	global_load_dwordx4 v[15:18], v[46:47], off offset:16
	global_load_dwordx4 v[19:22], v[43:44], off
	s_waitcnt vmcnt(0)
	v_fma_f64 v[31:32], v[19:20], v[15:16], v[31:32]
	v_fma_f64 v[41:42], v[21:22], v[15:16], v[41:42]
	v_fma_f64 v[46:47], -v[21:22], v[17:18], v[31:32]
	v_fma_f64 v[41:42], v[19:20], v[17:18], v[41:42]
	global_load_dwordx4 v[19:22], v[43:44], off offset:16
	s_waitcnt vmcnt(0)
	v_fma_f64 v[31:32], v[19:20], v[15:16], v[39:40]
	v_fma_f64 v[37:38], v[21:22], v[15:16], v[37:38]
	v_fma_f64 v[39:40], -v[21:22], v[17:18], v[31:32]
	v_fma_f64 v[37:38], v[19:20], v[17:18], v[37:38]
	global_load_dwordx4 v[19:22], v[43:44], off offset:32
	;; [unrolled: 6-line block ×3, first 2 shown]
	v_lshlrev_b64 v[27:28], 4, v[12:13]
	v_add_u32_e32 v12, 4, v45
	v_add_co_u32_e32 v54, vcc, s12, v27
	v_addc_co_u32_e32 v55, vcc, v34, v28, vcc
	s_waitcnt vmcnt(0)
	v_fma_f64 v[23:24], v[19:20], v[15:16], v[23:24]
	v_fma_f64 v[15:16], v[21:22], v[15:16], v[25:26]
	v_fma_f64 v[43:44], -v[21:22], v[17:18], v[23:24]
	v_fma_f64 v[52:53], v[19:20], v[17:18], v[15:16]
	v_lshlrev_b64 v[19:20], 4, v[12:13]
	global_load_dwordx4 v[15:18], v[54:55], off
	v_add_co_u32_e32 v19, vcc, s14, v19
	v_addc_co_u32_e32 v20, vcc, v36, v20, vcc
	global_load_dwordx4 v[29:32], v[19:20], off
	v_mov_b32_e32 v12, v13
	s_waitcnt vmcnt(0)
	v_fma_f64 v[21:22], v[15:16], v[29:30], v[46:47]
	v_fma_f64 v[23:24], v[17:18], v[29:30], v[41:42]
	v_fma_f64 v[25:26], -v[17:18], v[31:32], v[21:22]
	v_fma_f64 v[27:28], v[15:16], v[31:32], v[23:24]
	global_load_dwordx4 v[15:18], v[54:55], off offset:16
	s_waitcnt vmcnt(0)
	v_fma_f64 v[21:22], v[15:16], v[29:30], v[39:40]
	v_fma_f64 v[23:24], v[17:18], v[29:30], v[37:38]
	global_load_dwordx4 v[37:40], v[54:55], off offset:32
	v_fma_f64 v[21:22], -v[17:18], v[31:32], v[21:22]
	v_fma_f64 v[23:24], v[15:16], v[31:32], v[23:24]
	s_waitcnt vmcnt(0)
	v_fma_f64 v[15:16], v[37:38], v[29:30], v[48:49]
	v_fma_f64 v[17:18], v[39:40], v[29:30], v[50:51]
	v_fma_f64 v[15:16], -v[39:40], v[31:32], v[15:16]
	v_fma_f64 v[17:18], v[37:38], v[31:32], v[17:18]
	global_load_dwordx4 v[37:40], v[54:55], off offset:48
	s_waitcnt vmcnt(0)
	v_fma_f64 v[41:42], v[37:38], v[29:30], v[43:44]
	v_fma_f64 v[29:30], v[39:40], v[29:30], v[52:53]
	v_fma_f64 v[41:42], -v[39:40], v[31:32], v[41:42]
	v_fma_f64 v[43:44], v[37:38], v[31:32], v[29:30]
	v_lshlrev_b64 v[29:30], 4, v[11:12]
	v_add_u32_e32 v11, 0x300, v11
	v_add_co_u32_e32 v45, vcc, s12, v29
	v_addc_co_u32_e32 v46, vcc, v34, v30, vcc
	global_load_dwordx4 v[29:32], v[45:46], off
	global_load_dwordx4 v[37:40], v[19:20], off offset:16
	v_cmp_ge_i32_e32 vcc, v14, v35
	s_or_b64 s[8:9], vcc, s[8:9]
	s_waitcnt vmcnt(0)
	v_fma_f64 v[19:20], v[29:30], v[37:38], v[25:26]
	v_fma_f64 v[27:28], v[31:32], v[37:38], v[27:28]
	v_fma_f64 v[25:26], -v[31:32], v[39:40], v[19:20]
	v_fma_f64 v[19:20], v[29:30], v[39:40], v[27:28]
	global_load_dwordx4 v[27:30], v[45:46], off offset:16
	s_waitcnt vmcnt(0)
	v_fma_f64 v[21:22], v[27:28], v[37:38], v[21:22]
	v_fma_f64 v[23:24], v[29:30], v[37:38], v[23:24]
	v_fma_f64 v[31:32], -v[29:30], v[39:40], v[21:22]
	v_fma_f64 v[29:30], v[27:28], v[39:40], v[23:24]
	global_load_dwordx4 v[21:24], v[45:46], off offset:32
	;; [unrolled: 6-line block ×3, first 2 shown]
	s_waitcnt vmcnt(0)
	v_fma_f64 v[21:22], v[15:16], v[37:38], v[41:42]
	v_fma_f64 v[37:38], v[17:18], v[37:38], v[43:44]
	v_fma_f64 v[21:22], -v[17:18], v[39:40], v[21:22]
	v_fma_f64 v[17:18], v[15:16], v[39:40], v[37:38]
	s_andn2_b64 exec, exec, s[8:9]
	s_cbranch_execnz .LBB134_7
; %bb.8:
	s_or_b64 exec, exec, s[8:9]
.LBB134_9:
	s_or_b64 exec, exec, s[6:7]
	s_cbranch_execz .LBB134_11
	s_branch .LBB134_16
.LBB134_10:
                                        ; implicit-def: $vgpr19_vgpr20
                                        ; implicit-def: $vgpr25_vgpr26
                                        ; implicit-def: $vgpr21_vgpr22
                                        ; implicit-def: $vgpr17_vgpr18
                                        ; implicit-def: $vgpr27_vgpr28
                                        ; implicit-def: $vgpr23_vgpr24
                                        ; implicit-def: $vgpr31_vgpr32
                                        ; implicit-def: $vgpr29_vgpr30
.LBB134_11:
	v_mov_b32_e32 v19, 0
	v_mov_b32_e32 v25, 0
	;; [unrolled: 1-line block ×16, first 2 shown]
	s_and_saveexec_b64 s[2:3], s[0:1]
	s_cbranch_execz .LBB134_15
; %bb.12:
	v_mad_u64_u32 v[12:13], s[0:1], v10, 24, 23
	v_mov_b32_e32 v19, 0
	v_mov_b32_e32 v25, 0
	;; [unrolled: 1-line block ×9, first 2 shown]
	s_mov_b64 s[6:7], 0
	v_mov_b32_e32 v36, s11
	v_mov_b32_e32 v14, 0
	;; [unrolled: 1-line block ×11, first 2 shown]
.LBB134_13:                             ; =>This Inner Loop Header: Depth=1
	v_ashrrev_i32_e32 v11, 31, v10
	v_lshlrev_b64 v[15:16], 2, v[10:11]
	v_subrev_u32_e32 v13, 23, v12
	v_add_co_u32_e32 v41, vcc, s10, v15
	v_addc_co_u32_e32 v42, vcc, v36, v16, vcc
	global_load_dword v11, v[41:42], off
	v_lshlrev_b64 v[39:40], 4, v[13:14]
	v_mov_b32_e32 v34, v14
	v_add_co_u32_e64 v15, s[0:1], s12, v39
	v_addc_co_u32_e64 v16, vcc, v37, v40, s[0:1]
	v_add_u32_e32 v13, -10, v12
	v_add_u32_e32 v10, 32, v10
	s_waitcnt vmcnt(0)
	v_subrev_u32_e32 v11, s16, v11
	v_mul_lo_u32 v33, v11, 6
	v_lshlrev_b64 v[39:40], 4, v[33:34]
	v_add_co_u32_e32 v47, vcc, s14, v39
	v_addc_co_u32_e32 v48, vcc, v38, v40, vcc
	global_load_dwordx4 v[39:42], v[15:16], off
	global_load_dwordx4 v[43:46], v[47:48], off
	s_waitcnt vmcnt(0)
	v_fma_f64 v[25:26], v[39:40], v[43:44], v[25:26]
	v_fma_f64 v[19:20], v[41:42], v[43:44], v[19:20]
	v_fma_f64 v[49:50], -v[41:42], v[45:46], v[25:26]
	v_fma_f64 v[51:52], v[39:40], v[45:46], v[19:20]
	global_load_dwordx4 v[39:42], v[15:16], off offset:96
	s_waitcnt vmcnt(0)
	v_fma_f64 v[19:20], v[39:40], v[43:44], v[31:32]
	v_fma_f64 v[25:26], v[41:42], v[43:44], v[29:30]
	v_fma_f64 v[41:42], -v[41:42], v[45:46], v[19:20]
	v_add_u32_e32 v19, -11, v12
	v_mov_b32_e32 v20, v14
	v_lshlrev_b64 v[19:20], 4, v[19:20]
	v_fma_f64 v[39:40], v[39:40], v[45:46], v[25:26]
	v_add_co_u32_e32 v19, vcc, s12, v19
	v_addc_co_u32_e32 v20, vcc, v37, v20, vcc
	global_load_dwordx4 v[29:32], v[19:20], off
	s_waitcnt vmcnt(0)
	v_fma_f64 v[19:20], v[29:30], v[43:44], v[27:28]
	v_fma_f64 v[23:24], v[31:32], v[43:44], v[23:24]
	v_fma_f64 v[27:28], -v[31:32], v[45:46], v[19:20]
	v_add_u32_e32 v19, -5, v12
	v_mov_b32_e32 v20, v14
	v_lshlrev_b64 v[19:20], 4, v[19:20]
	v_fma_f64 v[29:30], v[29:30], v[45:46], v[23:24]
	v_add_co_u32_e32 v19, vcc, s12, v19
	v_addc_co_u32_e32 v20, vcc, v37, v20, vcc
	global_load_dwordx4 v[23:26], v[19:20], off
	s_waitcnt vmcnt(0)
	v_fma_f64 v[19:20], v[23:24], v[43:44], v[21:22]
	v_fma_f64 v[17:18], v[25:26], v[43:44], v[17:18]
	v_fma_f64 v[25:26], -v[25:26], v[45:46], v[19:20]
	v_fma_f64 v[31:32], v[23:24], v[45:46], v[17:18]
	global_load_dwordx4 v[17:20], v[15:16], off offset:16
	global_load_dwordx4 v[21:24], v[47:48], off offset:16
	s_waitcnt vmcnt(0)
	v_fma_f64 v[43:44], v[17:18], v[21:22], v[49:50]
	v_fma_f64 v[45:46], v[19:20], v[21:22], v[51:52]
	v_fma_f64 v[43:44], -v[19:20], v[23:24], v[43:44]
	v_fma_f64 v[45:46], v[17:18], v[23:24], v[45:46]
	global_load_dwordx4 v[17:20], v[15:16], off offset:112
	s_waitcnt vmcnt(0)
	v_fma_f64 v[39:40], v[19:20], v[21:22], v[39:40]
	v_fma_f64 v[41:42], v[17:18], v[21:22], v[41:42]
	;; [unrolled: 1-line block ×3, first 2 shown]
	v_lshlrev_b64 v[17:18], 4, v[13:14]
	v_fma_f64 v[41:42], -v[19:20], v[23:24], v[41:42]
	v_add_co_u32_e32 v17, vcc, s12, v17
	v_addc_co_u32_e32 v18, vcc, v37, v18, vcc
	global_load_dwordx4 v[17:20], v[17:18], off
	v_add_u32_e32 v13, -4, v12
	s_waitcnt vmcnt(0)
	v_fma_f64 v[29:30], v[19:20], v[21:22], v[29:30]
	v_fma_f64 v[27:28], v[17:18], v[21:22], v[27:28]
	;; [unrolled: 1-line block ×3, first 2 shown]
	v_lshlrev_b64 v[17:18], 4, v[13:14]
	v_fma_f64 v[27:28], -v[19:20], v[23:24], v[27:28]
	v_add_co_u32_e32 v17, vcc, s12, v17
	v_addc_co_u32_e32 v18, vcc, v37, v18, vcc
	global_load_dwordx4 v[17:20], v[17:18], off
	v_add_u32_e32 v13, 2, v33
	s_waitcnt vmcnt(0)
	v_fma_f64 v[25:26], v[17:18], v[21:22], v[25:26]
	v_fma_f64 v[21:22], v[19:20], v[21:22], v[31:32]
	v_fma_f64 v[25:26], -v[19:20], v[23:24], v[25:26]
	v_fma_f64 v[31:32], v[17:18], v[23:24], v[21:22]
	v_lshlrev_b64 v[17:18], 4, v[13:14]
	v_add_u32_e32 v13, -15, v12
	v_add_co_u32_e32 v47, vcc, s14, v17
	v_addc_co_u32_e32 v48, vcc, v38, v18, vcc
	global_load_dwordx4 v[17:20], v[15:16], off offset:32
	global_load_dwordx4 v[21:24], v[47:48], off
	s_waitcnt vmcnt(0)
	v_fma_f64 v[45:46], v[19:20], v[21:22], v[45:46]
	v_fma_f64 v[43:44], v[17:18], v[21:22], v[43:44]
	v_fma_f64 v[45:46], v[17:18], v[23:24], v[45:46]
	v_lshlrev_b64 v[17:18], 4, v[13:14]
	v_fma_f64 v[43:44], -v[19:20], v[23:24], v[43:44]
	v_add_co_u32_e32 v17, vcc, s12, v17
	v_addc_co_u32_e32 v18, vcc, v37, v18, vcc
	global_load_dwordx4 v[17:20], v[17:18], off
	v_add_u32_e32 v13, -9, v12
	s_waitcnt vmcnt(0)
	v_fma_f64 v[39:40], v[19:20], v[21:22], v[39:40]
	v_fma_f64 v[41:42], v[17:18], v[21:22], v[41:42]
	v_fma_f64 v[39:40], v[17:18], v[23:24], v[39:40]
	v_lshlrev_b64 v[17:18], 4, v[13:14]
	v_fma_f64 v[41:42], -v[19:20], v[23:24], v[41:42]
	v_add_co_u32_e32 v17, vcc, s12, v17
	v_addc_co_u32_e32 v18, vcc, v37, v18, vcc
	global_load_dwordx4 v[17:20], v[17:18], off
	v_add_u32_e32 v13, -3, v12
	;; [unrolled: 10-line block ×3, first 2 shown]
	s_waitcnt vmcnt(0)
	v_fma_f64 v[25:26], v[17:18], v[21:22], v[25:26]
	v_fma_f64 v[21:22], v[19:20], v[21:22], v[31:32]
	v_fma_f64 v[25:26], -v[19:20], v[23:24], v[25:26]
	v_fma_f64 v[31:32], v[17:18], v[23:24], v[21:22]
	global_load_dwordx4 v[17:20], v[15:16], off offset:48
	global_load_dwordx4 v[21:24], v[47:48], off offset:16
	s_waitcnt vmcnt(0)
	v_fma_f64 v[45:46], v[19:20], v[21:22], v[45:46]
	v_fma_f64 v[43:44], v[17:18], v[21:22], v[43:44]
	v_fma_f64 v[45:46], v[17:18], v[23:24], v[45:46]
	v_lshlrev_b64 v[17:18], 4, v[13:14]
	v_fma_f64 v[43:44], -v[19:20], v[23:24], v[43:44]
	v_add_co_u32_e32 v17, vcc, s12, v17
	v_addc_co_u32_e32 v18, vcc, v37, v18, vcc
	global_load_dwordx4 v[17:20], v[17:18], off
	v_add_u32_e32 v13, -8, v12
	s_waitcnt vmcnt(0)
	v_fma_f64 v[39:40], v[19:20], v[21:22], v[39:40]
	v_fma_f64 v[41:42], v[17:18], v[21:22], v[41:42]
	;; [unrolled: 1-line block ×3, first 2 shown]
	v_lshlrev_b64 v[17:18], 4, v[13:14]
	v_fma_f64 v[47:48], -v[19:20], v[23:24], v[41:42]
	v_add_co_u32_e32 v17, vcc, s12, v17
	v_addc_co_u32_e32 v18, vcc, v37, v18, vcc
	global_load_dwordx4 v[17:20], v[17:18], off
	v_add_u32_e32 v13, -2, v12
	s_waitcnt vmcnt(0)
	v_fma_f64 v[29:30], v[19:20], v[21:22], v[29:30]
	v_fma_f64 v[27:28], v[17:18], v[21:22], v[27:28]
	;; [unrolled: 1-line block ×3, first 2 shown]
	v_lshlrev_b64 v[17:18], 4, v[13:14]
	v_fma_f64 v[27:28], -v[19:20], v[23:24], v[27:28]
	v_add_co_u32_e32 v17, vcc, s12, v17
	v_addc_co_u32_e32 v18, vcc, v37, v18, vcc
	global_load_dwordx4 v[17:20], v[17:18], off
	v_add_u32_e32 v13, 4, v33
	s_waitcnt vmcnt(0)
	v_fma_f64 v[25:26], v[17:18], v[21:22], v[25:26]
	v_fma_f64 v[21:22], v[19:20], v[21:22], v[31:32]
	v_fma_f64 v[53:54], -v[19:20], v[23:24], v[25:26]
	v_lshlrev_b64 v[19:20], 4, v[13:14]
	v_fma_f64 v[17:18], v[17:18], v[23:24], v[21:22]
	v_add_co_u32_e32 v19, vcc, s14, v19
	v_addc_co_u32_e32 v20, vcc, v38, v20, vcc
	global_load_dwordx4 v[21:24], v[15:16], off offset:64
	global_load_dwordx4 v[39:42], v[19:20], off
	v_add_u32_e32 v13, -13, v12
	s_waitcnt vmcnt(0)
	v_fma_f64 v[29:30], v[23:24], v[39:40], v[45:46]
	v_fma_f64 v[25:26], v[21:22], v[39:40], v[43:44]
	;; [unrolled: 1-line block ×3, first 2 shown]
	v_lshlrev_b64 v[21:22], 4, v[13:14]
	v_fma_f64 v[25:26], -v[23:24], v[41:42], v[25:26]
	v_add_co_u32_e32 v21, vcc, s12, v21
	v_addc_co_u32_e32 v22, vcc, v37, v22, vcc
	global_load_dwordx4 v[21:24], v[21:22], off
	v_add_u32_e32 v13, -7, v12
	s_waitcnt vmcnt(0)
	v_fma_f64 v[31:32], v[23:24], v[39:40], v[49:50]
	v_fma_f64 v[29:30], v[21:22], v[39:40], v[47:48]
	;; [unrolled: 1-line block ×3, first 2 shown]
	v_lshlrev_b64 v[21:22], 4, v[13:14]
	v_fma_f64 v[29:30], -v[23:24], v[41:42], v[29:30]
	v_add_co_u32_e32 v21, vcc, s12, v21
	v_addc_co_u32_e32 v22, vcc, v37, v22, vcc
	global_load_dwordx4 v[21:24], v[21:22], off
	v_add_u32_e32 v13, -1, v12
	s_waitcnt vmcnt(0)
	v_fma_f64 v[27:28], v[21:22], v[39:40], v[27:28]
	v_fma_f64 v[43:44], v[23:24], v[39:40], v[51:52]
	v_fma_f64 v[23:24], -v[23:24], v[41:42], v[27:28]
	v_fma_f64 v[27:28], v[21:22], v[41:42], v[43:44]
	v_lshlrev_b64 v[21:22], 4, v[13:14]
	v_mov_b32_e32 v13, v14
	v_add_co_u32_e32 v21, vcc, s12, v21
	v_addc_co_u32_e32 v22, vcc, v37, v22, vcc
	global_load_dwordx4 v[43:46], v[21:22], off
	s_waitcnt vmcnt(0)
	v_fma_f64 v[21:22], v[43:44], v[39:40], v[53:54]
	v_fma_f64 v[17:18], v[45:46], v[39:40], v[17:18]
	v_lshlrev_b64 v[39:40], 4, v[12:13]
	v_add_u32_e32 v13, -12, v12
	v_add_co_u32_e32 v47, vcc, s12, v39
	v_addc_co_u32_e32 v48, vcc, v37, v40, vcc
	v_fma_f64 v[21:22], -v[45:46], v[41:42], v[21:22]
	v_fma_f64 v[17:18], v[43:44], v[41:42], v[17:18]
	global_load_dwordx4 v[39:42], v[15:16], off offset:80
	global_load_dwordx4 v[43:46], v[19:20], off offset:16
	s_waitcnt vmcnt(0)
	v_fma_f64 v[15:16], v[39:40], v[43:44], v[25:26]
	v_fma_f64 v[19:20], v[41:42], v[43:44], v[33:34]
	v_fma_f64 v[25:26], -v[41:42], v[45:46], v[15:16]
	v_lshlrev_b64 v[15:16], 4, v[13:14]
	v_fma_f64 v[19:20], v[39:40], v[45:46], v[19:20]
	v_add_co_u32_e32 v15, vcc, s12, v15
	v_addc_co_u32_e32 v16, vcc, v37, v16, vcc
	global_load_dwordx4 v[39:42], v[15:16], off
	v_add_u32_e32 v13, -6, v12
	v_add_u32_e32 v12, 0x300, v12
	s_waitcnt vmcnt(0)
	v_fma_f64 v[15:16], v[39:40], v[43:44], v[29:30]
	v_fma_f64 v[29:30], v[41:42], v[43:44], v[31:32]
	v_fma_f64 v[31:32], -v[41:42], v[45:46], v[15:16]
	v_lshlrev_b64 v[15:16], 4, v[13:14]
	v_fma_f64 v[29:30], v[39:40], v[45:46], v[29:30]
	v_add_co_u32_e32 v15, vcc, s12, v15
	v_addc_co_u32_e32 v16, vcc, v37, v16, vcc
	global_load_dwordx4 v[39:42], v[15:16], off
	v_cmp_ge_i32_e32 vcc, v10, v35
	s_or_b64 s[6:7], vcc, s[6:7]
	s_waitcnt vmcnt(0)
	v_fma_f64 v[15:16], v[39:40], v[43:44], v[23:24]
	v_fma_f64 v[23:24], v[41:42], v[43:44], v[27:28]
	v_fma_f64 v[27:28], -v[41:42], v[45:46], v[15:16]
	v_fma_f64 v[23:24], v[39:40], v[45:46], v[23:24]
	global_load_dwordx4 v[39:42], v[47:48], off
	s_waitcnt vmcnt(0)
	v_fma_f64 v[15:16], v[39:40], v[43:44], v[21:22]
	v_fma_f64 v[17:18], v[41:42], v[43:44], v[17:18]
	v_fma_f64 v[21:22], -v[41:42], v[45:46], v[15:16]
	v_fma_f64 v[17:18], v[39:40], v[45:46], v[17:18]
	s_andn2_b64 exec, exec, s[6:7]
	s_cbranch_execnz .LBB134_13
; %bb.14:
	s_or_b64 exec, exec, s[6:7]
.LBB134_15:
	s_or_b64 exec, exec, s[2:3]
.LBB134_16:
	v_mov_b32_dpp v10, v25 row_shr:1 row_mask:0xf bank_mask:0xf
	v_mov_b32_dpp v11, v26 row_shr:1 row_mask:0xf bank_mask:0xf
	v_add_f64 v[10:11], v[25:26], v[10:11]
	v_mov_b32_dpp v12, v19 row_shr:1 row_mask:0xf bank_mask:0xf
	v_mov_b32_dpp v13, v20 row_shr:1 row_mask:0xf bank_mask:0xf
	v_add_f64 v[12:13], v[19:20], v[12:13]
	v_mov_b32_dpp v14, v31 row_shr:1 row_mask:0xf bank_mask:0xf
	v_mov_b32_dpp v19, v29 row_shr:1 row_mask:0xf bank_mask:0xf
	;; [unrolled: 1-line block ×3, first 2 shown]
	v_add_f64 v[19:20], v[29:30], v[19:20]
	v_mov_b32_dpp v15, v10 row_shr:2 row_mask:0xf bank_mask:0xf
	v_mov_b32_dpp v16, v11 row_shr:2 row_mask:0xf bank_mask:0xf
	v_add_f64 v[10:11], v[10:11], v[15:16]
	v_mov_b32_dpp v15, v32 row_shr:1 row_mask:0xf bank_mask:0xf
	v_mov_b32_dpp v25, v12 row_shr:2 row_mask:0xf bank_mask:0xf
	;; [unrolled: 1-line block ×3, first 2 shown]
	v_add_f64 v[14:15], v[31:32], v[14:15]
	v_add_f64 v[12:13], v[12:13], v[25:26]
	v_cmp_eq_u32_e32 vcc, 31, v0
	v_mov_b32_dpp v25, v10 row_shr:4 row_mask:0xf bank_mask:0xe
	v_mov_b32_dpp v26, v11 row_shr:4 row_mask:0xf bank_mask:0xe
	v_add_f64 v[10:11], v[10:11], v[25:26]
	v_mov_b32_dpp v25, v14 row_shr:2 row_mask:0xf bank_mask:0xf
	v_mov_b32_dpp v26, v15 row_shr:2 row_mask:0xf bank_mask:0xf
	;; [unrolled: 1-line block ×4, first 2 shown]
	v_add_f64 v[12:13], v[12:13], v[29:30]
	v_add_f64 v[14:15], v[14:15], v[25:26]
	v_mov_b32_dpp v29, v19 row_shr:2 row_mask:0xf bank_mask:0xf
	v_mov_b32_dpp v30, v20 row_shr:2 row_mask:0xf bank_mask:0xf
	v_add_f64 v[19:20], v[19:20], v[29:30]
	v_mov_b32_dpp v25, v10 row_shr:8 row_mask:0xf bank_mask:0xc
	v_mov_b32_dpp v26, v11 row_shr:8 row_mask:0xf bank_mask:0xc
	;; [unrolled: 3-line block ×3, first 2 shown]
	v_mov_b32_dpp v30, v15 row_shr:4 row_mask:0xf bank_mask:0xe
	v_add_f64 v[14:15], v[14:15], v[29:30]
	v_mov_b32_dpp v29, v19 row_shr:4 row_mask:0xf bank_mask:0xe
	v_mov_b32_dpp v30, v20 row_shr:4 row_mask:0xf bank_mask:0xe
	v_add_f64 v[19:20], v[19:20], v[29:30]
	v_mov_b32_dpp v29, v27 row_shr:1 row_mask:0xf bank_mask:0xf
	;; [unrolled: 3-line block ×3, first 2 shown]
	v_add_f64 v[12:13], v[12:13], v[25:26]
	v_mov_b32_dpp v25, v14 row_shr:8 row_mask:0xf bank_mask:0xc
	v_mov_b32_dpp v26, v15 row_shr:8 row_mask:0xf bank_mask:0xc
	v_add_f64 v[14:15], v[14:15], v[25:26]
	v_mov_b32_dpp v25, v19 row_shr:8 row_mask:0xf bank_mask:0xc
	v_mov_b32_dpp v26, v20 row_shr:8 row_mask:0xf bank_mask:0xc
	;; [unrolled: 3-line block ×3, first 2 shown]
	v_add_f64 v[33:34], v[27:28], v[25:26]
	v_mov_b32_dpp v31, v10 row_bcast:15 row_mask:0xa bank_mask:0xf
	v_mov_b32_dpp v32, v11 row_bcast:15 row_mask:0xa bank_mask:0xf
	;; [unrolled: 1-line block ×7, first 2 shown]
	v_mov_b32_dpp v35, v33 row_shr:4 row_mask:0xf bank_mask:0xe
	v_mov_b32_dpp v36, v34 row_shr:4 row_mask:0xf bank_mask:0xe
	v_add_f64 v[33:34], v[33:34], v[35:36]
	v_mov_b32_dpp v35, v23 row_shr:1 row_mask:0xf bank_mask:0xf
	v_mov_b32_dpp v36, v24 row_shr:1 row_mask:0xf bank_mask:0xf
	v_add_f64 v[23:24], v[23:24], v[35:36]
	;; [unrolled: 3-line block ×4, first 2 shown]
	v_mov_b32_dpp v35, v33 row_shr:8 row_mask:0xf bank_mask:0xc
	v_mov_b32_dpp v36, v23 row_shr:2 row_mask:0xf bank_mask:0xf
	;; [unrolled: 1-line block ×3, first 2 shown]
	v_add_f64 v[23:24], v[23:24], v[36:37]
	v_mov_b32_dpp v36, v21 row_shr:2 row_mask:0xf bank_mask:0xf
	v_mov_b32_dpp v37, v22 row_shr:2 row_mask:0xf bank_mask:0xf
	v_add_f64 v[21:22], v[21:22], v[36:37]
	v_mov_b32_dpp v36, v16 row_shr:2 row_mask:0xf bank_mask:0xf
	v_mov_b32_dpp v37, v17 row_shr:2 row_mask:0xf bank_mask:0xf
	;; [unrolled: 3-line block ×3, first 2 shown]
	v_mov_b32_dpp v38, v24 row_shr:4 row_mask:0xf bank_mask:0xe
	v_add_f64 v[23:24], v[23:24], v[37:38]
	v_mov_b32_dpp v37, v21 row_shr:4 row_mask:0xf bank_mask:0xe
	v_mov_b32_dpp v38, v22 row_shr:4 row_mask:0xf bank_mask:0xe
	v_add_f64 v[21:22], v[21:22], v[37:38]
	v_mov_b32_dpp v37, v16 row_shr:4 row_mask:0xf bank_mask:0xe
	v_mov_b32_dpp v38, v17 row_shr:4 row_mask:0xf bank_mask:0xe
	v_add_f64 v[16:17], v[16:17], v[37:38]
	v_add_f64 v[35:36], v[33:34], v[35:36]
	v_mov_b32_dpp v33, v23 row_shr:8 row_mask:0xf bank_mask:0xc
	v_mov_b32_dpp v34, v24 row_shr:8 row_mask:0xf bank_mask:0xc
	v_add_f64 v[37:38], v[23:24], v[33:34]
	v_mov_b32_dpp v23, v21 row_shr:8 row_mask:0xf bank_mask:0xc
	v_mov_b32_dpp v24, v22 row_shr:8 row_mask:0xf bank_mask:0xc
	;; [unrolled: 3-line block ×3, first 2 shown]
	v_add_f64 v[33:34], v[16:17], v[21:22]
	v_mov_b32_dpp v26, v20 row_bcast:15 row_mask:0xa bank_mask:0xf
	v_mov_b32_dpp v47, v35 row_bcast:15 row_mask:0xa bank_mask:0xf
	v_mov_b32_dpp v48, v36 row_bcast:15 row_mask:0xa bank_mask:0xf
	v_mov_b32_dpp v45, v37 row_bcast:15 row_mask:0xa bank_mask:0xf
	v_mov_b32_dpp v46, v38 row_bcast:15 row_mask:0xa bank_mask:0xf
	v_mov_b32_dpp v43, v39 row_bcast:15 row_mask:0xa bank_mask:0xf
	v_mov_b32_dpp v44, v40 row_bcast:15 row_mask:0xa bank_mask:0xf
	v_mov_b32_dpp v41, v33 row_bcast:15 row_mask:0xa bank_mask:0xf
	v_mov_b32_dpp v42, v34 row_bcast:15 row_mask:0xa bank_mask:0xf
	s_and_b64 exec, exec, vcc
	s_cbranch_execz .LBB134_21
; %bb.17:
	v_cmp_eq_f64_e32 vcc, 0, v[5:6]
	v_cmp_eq_f64_e64 s[0:1], 0, v[7:8]
	v_add_f64 v[16:17], v[10:11], v[31:32]
	v_add_f64 v[29:30], v[12:13], v[29:30]
	v_add_f64 v[10:11], v[14:15], v[27:28]
	v_add_f64 v[22:23], v[19:20], v[25:26]
	v_add_f64 v[12:13], v[35:36], v[47:48]
	v_add_f64 v[20:21], v[37:38], v[45:46]
	v_add_f64 v[14:15], v[39:40], v[43:44]
	v_add_f64 v[18:19], v[33:34], v[41:42]
	s_load_dwordx2 s[2:3], s[4:5], 0x48
	s_and_b64 s[0:1], vcc, s[0:1]
	s_and_saveexec_b64 s[4:5], s[0:1]
	s_xor_b64 s[0:1], exec, s[4:5]
	s_cbranch_execz .LBB134_19
; %bb.18:
	v_mul_f64 v[5:6], v[29:30], -v[3:4]
	v_mul_f64 v[7:8], v[1:2], v[29:30]
	v_mul_f64 v[26:27], v[22:23], -v[3:4]
	v_mul_f64 v[22:23], v[1:2], v[22:23]
	;; [unrolled: 2-line block ×4, first 2 shown]
	v_fma_f64 v[5:6], v[1:2], v[16:17], v[5:6]
	v_fma_f64 v[7:8], v[3:4], v[16:17], v[7:8]
	;; [unrolled: 1-line block ×4, first 2 shown]
	v_lshlrev_b32_e32 v24, 2, v9
	v_fma_f64 v[9:10], v[1:2], v[12:13], v[28:29]
	v_fma_f64 v[11:12], v[3:4], v[12:13], v[20:21]
	v_ashrrev_i32_e32 v25, 31, v24
	v_fma_f64 v[0:1], v[1:2], v[14:15], v[30:31]
	v_fma_f64 v[2:3], v[3:4], v[14:15], v[32:33]
	v_lshlrev_b64 v[24:25], 4, v[24:25]
	s_waitcnt lgkmcnt(0)
	v_mov_b32_e32 v34, s3
	v_add_co_u32_e32 v13, vcc, s2, v24
	v_addc_co_u32_e32 v14, vcc, v34, v25, vcc
	global_store_dwordx4 v[13:14], v[5:8], off
	global_store_dwordx4 v[13:14], v[16:19], off offset:16
	global_store_dwordx4 v[13:14], v[9:12], off offset:32
	;; [unrolled: 1-line block ×3, first 2 shown]
                                        ; implicit-def: $vgpr9
                                        ; implicit-def: $vgpr16_vgpr17
                                        ; implicit-def: $vgpr29_vgpr30
                                        ; implicit-def: $vgpr10_vgpr11
                                        ; implicit-def: $vgpr22_vgpr23
                                        ; implicit-def: $vgpr12_vgpr13
                                        ; implicit-def: $vgpr20_vgpr21
                                        ; implicit-def: $vgpr14_vgpr15
                                        ; implicit-def: $vgpr18_vgpr19
                                        ; implicit-def: $vgpr7_vgpr8
                                        ; implicit-def: $vgpr3_vgpr4
.LBB134_19:
	s_andn2_saveexec_b64 s[0:1], s[0:1]
	s_cbranch_execz .LBB134_21
; %bb.20:
	v_lshlrev_b32_e32 v24, 2, v9
	v_ashrrev_i32_e32 v25, 31, v24
	v_lshlrev_b64 v[24:25], 4, v[24:25]
	s_waitcnt lgkmcnt(0)
	v_mov_b32_e32 v0, s3
	v_add_co_u32_e32 v43, vcc, s2, v24
	v_addc_co_u32_e32 v44, vcc, v0, v25, vcc
	global_load_dwordx4 v[24:27], v[43:44], off
	global_load_dwordx4 v[31:34], v[43:44], off offset:16
	global_load_dwordx4 v[35:38], v[43:44], off offset:32
	;; [unrolled: 1-line block ×3, first 2 shown]
	v_mul_f64 v[45:46], v[29:30], -v[3:4]
	v_mul_f64 v[28:29], v[1:2], v[29:30]
	v_mul_f64 v[47:48], v[22:23], -v[3:4]
	v_mul_f64 v[22:23], v[1:2], v[22:23]
	;; [unrolled: 2-line block ×4, first 2 shown]
	v_fma_f64 v[45:46], v[1:2], v[16:17], v[45:46]
	v_fma_f64 v[16:17], v[3:4], v[16:17], v[28:29]
	;; [unrolled: 1-line block ×8, first 2 shown]
	s_waitcnt vmcnt(3)
	v_fma_f64 v[13:14], v[5:6], v[24:25], v[45:46]
	v_fma_f64 v[15:16], v[7:8], v[24:25], v[16:17]
	s_waitcnt vmcnt(2)
	v_fma_f64 v[17:18], v[5:6], v[31:32], v[28:29]
	v_fma_f64 v[19:20], v[7:8], v[31:32], v[9:10]
	;; [unrolled: 3-line block ×4, first 2 shown]
	v_fma_f64 v[0:1], -v[7:8], v[26:27], v[13:14]
	v_fma_f64 v[2:3], v[5:6], v[26:27], v[15:16]
	v_fma_f64 v[9:10], -v[7:8], v[33:34], v[17:18]
	v_fma_f64 v[11:12], v[5:6], v[33:34], v[19:20]
	;; [unrolled: 2-line block ×4, first 2 shown]
	global_store_dwordx4 v[43:44], v[0:3], off
	global_store_dwordx4 v[43:44], v[9:12], off offset:16
	global_store_dwordx4 v[43:44], v[13:16], off offset:32
	global_store_dwordx4 v[43:44], v[17:20], off offset:48
.LBB134_21:
	s_endpgm
	.section	.rodata,"a",@progbits
	.p2align	6, 0x0
	.amdhsa_kernel _ZN9rocsparseL19gebsrmvn_4xn_kernelILj128ELj6ELj32E21rocsparse_complex_numIdEEEvi20rocsparse_direction_NS_24const_host_device_scalarIT2_EEPKiS8_PKS5_SA_S6_PS5_21rocsparse_index_base_b
		.amdhsa_group_segment_fixed_size 0
		.amdhsa_private_segment_fixed_size 0
		.amdhsa_kernarg_size 88
		.amdhsa_user_sgpr_count 6
		.amdhsa_user_sgpr_private_segment_buffer 1
		.amdhsa_user_sgpr_dispatch_ptr 0
		.amdhsa_user_sgpr_queue_ptr 0
		.amdhsa_user_sgpr_kernarg_segment_ptr 1
		.amdhsa_user_sgpr_dispatch_id 0
		.amdhsa_user_sgpr_flat_scratch_init 0
		.amdhsa_user_sgpr_private_segment_size 0
		.amdhsa_uses_dynamic_stack 0
		.amdhsa_system_sgpr_private_segment_wavefront_offset 0
		.amdhsa_system_sgpr_workgroup_id_x 1
		.amdhsa_system_sgpr_workgroup_id_y 0
		.amdhsa_system_sgpr_workgroup_id_z 0
		.amdhsa_system_sgpr_workgroup_info 0
		.amdhsa_system_vgpr_workitem_id 0
		.amdhsa_next_free_vgpr 56
		.amdhsa_next_free_sgpr 18
		.amdhsa_reserve_vcc 1
		.amdhsa_reserve_flat_scratch 0
		.amdhsa_float_round_mode_32 0
		.amdhsa_float_round_mode_16_64 0
		.amdhsa_float_denorm_mode_32 3
		.amdhsa_float_denorm_mode_16_64 3
		.amdhsa_dx10_clamp 1
		.amdhsa_ieee_mode 1
		.amdhsa_fp16_overflow 0
		.amdhsa_exception_fp_ieee_invalid_op 0
		.amdhsa_exception_fp_denorm_src 0
		.amdhsa_exception_fp_ieee_div_zero 0
		.amdhsa_exception_fp_ieee_overflow 0
		.amdhsa_exception_fp_ieee_underflow 0
		.amdhsa_exception_fp_ieee_inexact 0
		.amdhsa_exception_int_div_zero 0
	.end_amdhsa_kernel
	.section	.text._ZN9rocsparseL19gebsrmvn_4xn_kernelILj128ELj6ELj32E21rocsparse_complex_numIdEEEvi20rocsparse_direction_NS_24const_host_device_scalarIT2_EEPKiS8_PKS5_SA_S6_PS5_21rocsparse_index_base_b,"axG",@progbits,_ZN9rocsparseL19gebsrmvn_4xn_kernelILj128ELj6ELj32E21rocsparse_complex_numIdEEEvi20rocsparse_direction_NS_24const_host_device_scalarIT2_EEPKiS8_PKS5_SA_S6_PS5_21rocsparse_index_base_b,comdat
.Lfunc_end134:
	.size	_ZN9rocsparseL19gebsrmvn_4xn_kernelILj128ELj6ELj32E21rocsparse_complex_numIdEEEvi20rocsparse_direction_NS_24const_host_device_scalarIT2_EEPKiS8_PKS5_SA_S6_PS5_21rocsparse_index_base_b, .Lfunc_end134-_ZN9rocsparseL19gebsrmvn_4xn_kernelILj128ELj6ELj32E21rocsparse_complex_numIdEEEvi20rocsparse_direction_NS_24const_host_device_scalarIT2_EEPKiS8_PKS5_SA_S6_PS5_21rocsparse_index_base_b
                                        ; -- End function
	.set _ZN9rocsparseL19gebsrmvn_4xn_kernelILj128ELj6ELj32E21rocsparse_complex_numIdEEEvi20rocsparse_direction_NS_24const_host_device_scalarIT2_EEPKiS8_PKS5_SA_S6_PS5_21rocsparse_index_base_b.num_vgpr, 56
	.set _ZN9rocsparseL19gebsrmvn_4xn_kernelILj128ELj6ELj32E21rocsparse_complex_numIdEEEvi20rocsparse_direction_NS_24const_host_device_scalarIT2_EEPKiS8_PKS5_SA_S6_PS5_21rocsparse_index_base_b.num_agpr, 0
	.set _ZN9rocsparseL19gebsrmvn_4xn_kernelILj128ELj6ELj32E21rocsparse_complex_numIdEEEvi20rocsparse_direction_NS_24const_host_device_scalarIT2_EEPKiS8_PKS5_SA_S6_PS5_21rocsparse_index_base_b.numbered_sgpr, 18
	.set _ZN9rocsparseL19gebsrmvn_4xn_kernelILj128ELj6ELj32E21rocsparse_complex_numIdEEEvi20rocsparse_direction_NS_24const_host_device_scalarIT2_EEPKiS8_PKS5_SA_S6_PS5_21rocsparse_index_base_b.num_named_barrier, 0
	.set _ZN9rocsparseL19gebsrmvn_4xn_kernelILj128ELj6ELj32E21rocsparse_complex_numIdEEEvi20rocsparse_direction_NS_24const_host_device_scalarIT2_EEPKiS8_PKS5_SA_S6_PS5_21rocsparse_index_base_b.private_seg_size, 0
	.set _ZN9rocsparseL19gebsrmvn_4xn_kernelILj128ELj6ELj32E21rocsparse_complex_numIdEEEvi20rocsparse_direction_NS_24const_host_device_scalarIT2_EEPKiS8_PKS5_SA_S6_PS5_21rocsparse_index_base_b.uses_vcc, 1
	.set _ZN9rocsparseL19gebsrmvn_4xn_kernelILj128ELj6ELj32E21rocsparse_complex_numIdEEEvi20rocsparse_direction_NS_24const_host_device_scalarIT2_EEPKiS8_PKS5_SA_S6_PS5_21rocsparse_index_base_b.uses_flat_scratch, 0
	.set _ZN9rocsparseL19gebsrmvn_4xn_kernelILj128ELj6ELj32E21rocsparse_complex_numIdEEEvi20rocsparse_direction_NS_24const_host_device_scalarIT2_EEPKiS8_PKS5_SA_S6_PS5_21rocsparse_index_base_b.has_dyn_sized_stack, 0
	.set _ZN9rocsparseL19gebsrmvn_4xn_kernelILj128ELj6ELj32E21rocsparse_complex_numIdEEEvi20rocsparse_direction_NS_24const_host_device_scalarIT2_EEPKiS8_PKS5_SA_S6_PS5_21rocsparse_index_base_b.has_recursion, 0
	.set _ZN9rocsparseL19gebsrmvn_4xn_kernelILj128ELj6ELj32E21rocsparse_complex_numIdEEEvi20rocsparse_direction_NS_24const_host_device_scalarIT2_EEPKiS8_PKS5_SA_S6_PS5_21rocsparse_index_base_b.has_indirect_call, 0
	.section	.AMDGPU.csdata,"",@progbits
; Kernel info:
; codeLenInByte = 5148
; TotalNumSgprs: 22
; NumVgprs: 56
; ScratchSize: 0
; MemoryBound: 1
; FloatMode: 240
; IeeeMode: 1
; LDSByteSize: 0 bytes/workgroup (compile time only)
; SGPRBlocks: 2
; VGPRBlocks: 13
; NumSGPRsForWavesPerEU: 22
; NumVGPRsForWavesPerEU: 56
; Occupancy: 4
; WaveLimiterHint : 1
; COMPUTE_PGM_RSRC2:SCRATCH_EN: 0
; COMPUTE_PGM_RSRC2:USER_SGPR: 6
; COMPUTE_PGM_RSRC2:TRAP_HANDLER: 0
; COMPUTE_PGM_RSRC2:TGID_X_EN: 1
; COMPUTE_PGM_RSRC2:TGID_Y_EN: 0
; COMPUTE_PGM_RSRC2:TGID_Z_EN: 0
; COMPUTE_PGM_RSRC2:TIDIG_COMP_CNT: 0
	.section	.text._ZN9rocsparseL19gebsrmvn_4xn_kernelILj128ELj6ELj64E21rocsparse_complex_numIdEEEvi20rocsparse_direction_NS_24const_host_device_scalarIT2_EEPKiS8_PKS5_SA_S6_PS5_21rocsparse_index_base_b,"axG",@progbits,_ZN9rocsparseL19gebsrmvn_4xn_kernelILj128ELj6ELj64E21rocsparse_complex_numIdEEEvi20rocsparse_direction_NS_24const_host_device_scalarIT2_EEPKiS8_PKS5_SA_S6_PS5_21rocsparse_index_base_b,comdat
	.globl	_ZN9rocsparseL19gebsrmvn_4xn_kernelILj128ELj6ELj64E21rocsparse_complex_numIdEEEvi20rocsparse_direction_NS_24const_host_device_scalarIT2_EEPKiS8_PKS5_SA_S6_PS5_21rocsparse_index_base_b ; -- Begin function _ZN9rocsparseL19gebsrmvn_4xn_kernelILj128ELj6ELj64E21rocsparse_complex_numIdEEEvi20rocsparse_direction_NS_24const_host_device_scalarIT2_EEPKiS8_PKS5_SA_S6_PS5_21rocsparse_index_base_b
	.p2align	8
	.type	_ZN9rocsparseL19gebsrmvn_4xn_kernelILj128ELj6ELj64E21rocsparse_complex_numIdEEEvi20rocsparse_direction_NS_24const_host_device_scalarIT2_EEPKiS8_PKS5_SA_S6_PS5_21rocsparse_index_base_b,@function
_ZN9rocsparseL19gebsrmvn_4xn_kernelILj128ELj6ELj64E21rocsparse_complex_numIdEEEvi20rocsparse_direction_NS_24const_host_device_scalarIT2_EEPKiS8_PKS5_SA_S6_PS5_21rocsparse_index_base_b: ; @_ZN9rocsparseL19gebsrmvn_4xn_kernelILj128ELj6ELj64E21rocsparse_complex_numIdEEEvi20rocsparse_direction_NS_24const_host_device_scalarIT2_EEPKiS8_PKS5_SA_S6_PS5_21rocsparse_index_base_b
; %bb.0:
	s_load_dwordx2 s[0:1], s[4:5], 0x8
	s_load_dwordx2 s[2:3], s[4:5], 0x38
	;; [unrolled: 1-line block ×3, first 2 shown]
	s_add_u32 s7, s4, 8
	s_addc_u32 s8, s5, 0
	s_add_u32 s9, s4, 56
	s_addc_u32 s10, s5, 0
	s_waitcnt lgkmcnt(0)
	s_bitcmp1_b32 s17, 0
	s_cselect_b32 s1, s8, s1
	s_cselect_b32 s0, s7, s0
	v_mov_b32_e32 v1, s0
	v_mov_b32_e32 v2, s1
	flat_load_dwordx4 v[1:4], v[1:2]
	s_cselect_b32 s0, s10, s3
	s_cselect_b32 s1, s9, s2
	v_mov_b32_e32 v5, s1
	v_mov_b32_e32 v6, s0
	flat_load_dwordx4 v[5:8], v[5:6]
	s_waitcnt vmcnt(0) lgkmcnt(0)
	v_cmp_eq_f64_e32 vcc, 0, v[1:2]
	v_cmp_eq_f64_e64 s[0:1], 0, v[3:4]
	s_and_b64 s[8:9], vcc, s[0:1]
	s_mov_b64 s[0:1], -1
	s_and_saveexec_b64 s[2:3], s[8:9]
	s_cbranch_execz .LBB135_2
; %bb.1:
	v_cmp_neq_f64_e32 vcc, 1.0, v[5:6]
	v_cmp_neq_f64_e64 s[0:1], 0, v[7:8]
	s_or_b64 s[0:1], vcc, s[0:1]
	s_orn2_b64 s[0:1], s[0:1], exec
.LBB135_2:
	s_or_b64 exec, exec, s[2:3]
	s_and_saveexec_b64 s[2:3], s[0:1]
	s_cbranch_execz .LBB135_21
; %bb.3:
	s_load_dwordx2 s[0:1], s[4:5], 0x0
	v_lshrrev_b32_e32 v9, 6, v0
	v_lshl_or_b32 v9, s6, 1, v9
	s_waitcnt lgkmcnt(0)
	v_cmp_gt_i32_e32 vcc, s0, v9
	s_and_b64 exec, exec, vcc
	s_cbranch_execz .LBB135_21
; %bb.4:
	s_load_dwordx8 s[8:15], s[4:5], 0x18
	v_ashrrev_i32_e32 v10, 31, v9
	v_lshlrev_b64 v[10:11], 2, v[9:10]
	v_and_b32_e32 v0, 63, v0
	s_cmp_lg_u32 s1, 0
	s_waitcnt lgkmcnt(0)
	v_mov_b32_e32 v12, s9
	v_add_co_u32_e32 v10, vcc, s8, v10
	v_addc_co_u32_e32 v11, vcc, v12, v11, vcc
	global_load_dwordx2 v[10:11], v[10:11], off
	s_waitcnt vmcnt(0)
	v_subrev_u32_e32 v10, s16, v10
	v_subrev_u32_e32 v35, s16, v11
	v_add_u32_e32 v10, v10, v0
	v_cmp_lt_i32_e64 s[0:1], v10, v35
	s_cbranch_scc0 .LBB135_10
; %bb.5:
	v_mov_b32_e32 v23, 0
	v_mov_b32_e32 v31, 0
	;; [unrolled: 1-line block ×16, first 2 shown]
	s_and_saveexec_b64 s[6:7], s[0:1]
	s_cbranch_execz .LBB135_9
; %bb.6:
	v_mad_u64_u32 v[11:12], s[2:3], v10, 24, 20
	v_mov_b32_e32 v23, 0
	v_mov_b32_e32 v31, 0
	;; [unrolled: 1-line block ×9, first 2 shown]
	s_mov_b64 s[8:9], 0
	v_mov_b32_e32 v33, s11
	v_mov_b32_e32 v13, 0
	;; [unrolled: 1-line block ×12, first 2 shown]
.LBB135_7:                              ; =>This Inner Loop Header: Depth=1
	v_ashrrev_i32_e32 v15, 31, v14
	v_lshlrev_b64 v[15:16], 2, v[14:15]
	v_subrev_u32_e32 v12, 20, v11
	v_add_co_u32_e32 v15, vcc, s10, v15
	v_addc_co_u32_e32 v16, vcc, v33, v16, vcc
	v_lshlrev_b64 v[37:38], 4, v[12:13]
	global_load_dword v12, v[15:16], off
	v_mov_b32_e32 v46, v13
	v_add_co_u32_e64 v47, s[2:3], s12, v37
	v_addc_co_u32_e64 v48, vcc, v34, v38, s[2:3]
	v_add_u32_e32 v14, 64, v14
	s_waitcnt vmcnt(0)
	v_subrev_u32_e32 v12, s16, v12
	v_mul_lo_u32 v45, v12, 6
	v_add_u32_e32 v12, -12, v11
	v_lshlrev_b64 v[15:16], 4, v[45:46]
	v_add_co_u32_e32 v49, vcc, s14, v15
	v_addc_co_u32_e32 v50, vcc, v36, v16, vcc
	global_load_dwordx4 v[37:40], v[47:48], off
	global_load_dwordx4 v[41:44], v[49:50], off
	s_waitcnt vmcnt(0)
	v_fma_f64 v[15:16], v[37:38], v[41:42], v[31:32]
	v_fma_f64 v[23:24], v[39:40], v[41:42], v[23:24]
	v_fma_f64 v[31:32], -v[39:40], v[43:44], v[15:16]
	v_fma_f64 v[51:52], v[37:38], v[43:44], v[23:24]
	global_load_dwordx4 v[37:40], v[47:48], off offset:16
	s_waitcnt vmcnt(0)
	v_fma_f64 v[15:16], v[37:38], v[41:42], v[29:30]
	v_fma_f64 v[23:24], v[39:40], v[41:42], v[27:28]
	global_load_dwordx4 v[27:30], v[47:48], off offset:32
	v_fma_f64 v[39:40], -v[39:40], v[43:44], v[15:16]
	v_fma_f64 v[37:38], v[37:38], v[43:44], v[23:24]
	s_waitcnt vmcnt(0)
	v_fma_f64 v[21:22], v[29:30], v[41:42], v[21:22]
	v_fma_f64 v[15:16], v[27:28], v[41:42], v[25:26]
	v_fma_f64 v[27:28], v[27:28], v[43:44], v[21:22]
	global_load_dwordx4 v[21:24], v[47:48], off offset:48
	v_fma_f64 v[25:26], -v[29:30], v[43:44], v[15:16]
	s_waitcnt vmcnt(0)
	v_fma_f64 v[15:16], v[21:22], v[41:42], v[19:20]
	v_fma_f64 v[17:18], v[23:24], v[41:42], v[17:18]
	v_fma_f64 v[23:24], -v[23:24], v[43:44], v[15:16]
	v_fma_f64 v[29:30], v[21:22], v[43:44], v[17:18]
	global_load_dwordx4 v[15:18], v[47:48], off offset:64
	global_load_dwordx4 v[19:22], v[49:50], off offset:16
	s_waitcnt vmcnt(0)
	v_fma_f64 v[31:32], v[15:16], v[19:20], v[31:32]
	v_fma_f64 v[41:42], v[17:18], v[19:20], v[51:52]
	v_fma_f64 v[31:32], -v[17:18], v[21:22], v[31:32]
	v_fma_f64 v[41:42], v[15:16], v[21:22], v[41:42]
	global_load_dwordx4 v[15:18], v[47:48], off offset:80
	s_waitcnt vmcnt(0)
	v_fma_f64 v[39:40], v[15:16], v[19:20], v[39:40]
	v_fma_f64 v[37:38], v[17:18], v[19:20], v[37:38]
	v_fma_f64 v[39:40], -v[17:18], v[21:22], v[39:40]
	v_fma_f64 v[37:38], v[15:16], v[21:22], v[37:38]
	;; [unrolled: 6-line block ×4, first 2 shown]
	v_lshlrev_b64 v[15:16], 4, v[12:13]
	v_add_u32_e32 v12, 2, v45
	v_add_co_u32_e32 v43, vcc, s12, v15
	v_addc_co_u32_e32 v44, vcc, v34, v16, vcc
	v_lshlrev_b64 v[15:16], 4, v[12:13]
	v_add_u32_e32 v12, -8, v11
	v_add_co_u32_e32 v46, vcc, s14, v15
	v_addc_co_u32_e32 v47, vcc, v36, v16, vcc
	global_load_dwordx4 v[15:18], v[43:44], off
	global_load_dwordx4 v[19:22], v[46:47], off
	s_waitcnt vmcnt(0)
	v_fma_f64 v[31:32], v[15:16], v[19:20], v[31:32]
	v_fma_f64 v[41:42], v[17:18], v[19:20], v[41:42]
	v_fma_f64 v[31:32], -v[17:18], v[21:22], v[31:32]
	v_fma_f64 v[41:42], v[15:16], v[21:22], v[41:42]
	global_load_dwordx4 v[15:18], v[43:44], off offset:16
	s_waitcnt vmcnt(0)
	v_fma_f64 v[39:40], v[15:16], v[19:20], v[39:40]
	v_fma_f64 v[37:38], v[17:18], v[19:20], v[37:38]
	v_fma_f64 v[39:40], -v[17:18], v[21:22], v[39:40]
	v_fma_f64 v[37:38], v[15:16], v[21:22], v[37:38]
	global_load_dwordx4 v[15:18], v[43:44], off offset:32
	;; [unrolled: 6-line block ×3, first 2 shown]
	s_waitcnt vmcnt(0)
	v_fma_f64 v[23:24], v[15:16], v[19:20], v[23:24]
	v_fma_f64 v[19:20], v[17:18], v[19:20], v[29:30]
	v_fma_f64 v[23:24], -v[17:18], v[21:22], v[23:24]
	v_fma_f64 v[29:30], v[15:16], v[21:22], v[19:20]
	v_lshlrev_b64 v[18:19], 4, v[12:13]
	v_add_u32_e32 v12, -4, v11
	v_add_co_u32_e32 v43, vcc, s12, v18
	v_addc_co_u32_e32 v44, vcc, v34, v19, vcc
	global_load_dwordx4 v[15:18], v[46:47], off offset:16
	global_load_dwordx4 v[19:22], v[43:44], off
	s_waitcnt vmcnt(0)
	v_fma_f64 v[31:32], v[19:20], v[15:16], v[31:32]
	v_fma_f64 v[41:42], v[21:22], v[15:16], v[41:42]
	v_fma_f64 v[46:47], -v[21:22], v[17:18], v[31:32]
	v_fma_f64 v[41:42], v[19:20], v[17:18], v[41:42]
	global_load_dwordx4 v[19:22], v[43:44], off offset:16
	s_waitcnt vmcnt(0)
	v_fma_f64 v[31:32], v[19:20], v[15:16], v[39:40]
	v_fma_f64 v[37:38], v[21:22], v[15:16], v[37:38]
	v_fma_f64 v[39:40], -v[21:22], v[17:18], v[31:32]
	v_fma_f64 v[37:38], v[19:20], v[17:18], v[37:38]
	global_load_dwordx4 v[19:22], v[43:44], off offset:32
	;; [unrolled: 6-line block ×3, first 2 shown]
	v_lshlrev_b64 v[25:26], 4, v[12:13]
	v_add_u32_e32 v12, 4, v45
	v_add_co_u32_e32 v54, vcc, s12, v25
	v_addc_co_u32_e32 v55, vcc, v34, v26, vcc
	s_waitcnt vmcnt(0)
	v_fma_f64 v[23:24], v[19:20], v[15:16], v[23:24]
	v_fma_f64 v[15:16], v[21:22], v[15:16], v[29:30]
	v_fma_f64 v[43:44], -v[21:22], v[17:18], v[23:24]
	v_fma_f64 v[52:53], v[19:20], v[17:18], v[15:16]
	v_lshlrev_b64 v[18:19], 4, v[12:13]
	v_mov_b32_e32 v12, v13
	v_add_co_u32_e32 v23, vcc, s14, v18
	v_addc_co_u32_e32 v24, vcc, v36, v19, vcc
	global_load_dwordx4 v[15:18], v[54:55], off
	global_load_dwordx4 v[29:32], v[23:24], off
	s_waitcnt vmcnt(0)
	v_fma_f64 v[19:20], v[15:16], v[29:30], v[46:47]
	v_fma_f64 v[21:22], v[17:18], v[29:30], v[41:42]
	v_fma_f64 v[25:26], -v[17:18], v[31:32], v[19:20]
	v_fma_f64 v[27:28], v[15:16], v[31:32], v[21:22]
	global_load_dwordx4 v[15:18], v[54:55], off offset:16
	s_waitcnt vmcnt(0)
	v_fma_f64 v[19:20], v[15:16], v[29:30], v[39:40]
	v_fma_f64 v[21:22], v[17:18], v[29:30], v[37:38]
	global_load_dwordx4 v[37:40], v[54:55], off offset:32
	v_fma_f64 v[19:20], -v[17:18], v[31:32], v[19:20]
	v_fma_f64 v[21:22], v[15:16], v[31:32], v[21:22]
	s_waitcnt vmcnt(0)
	v_fma_f64 v[15:16], v[37:38], v[29:30], v[48:49]
	v_fma_f64 v[17:18], v[39:40], v[29:30], v[50:51]
	v_fma_f64 v[15:16], -v[39:40], v[31:32], v[15:16]
	v_fma_f64 v[17:18], v[37:38], v[31:32], v[17:18]
	global_load_dwordx4 v[37:40], v[54:55], off offset:48
	s_waitcnt vmcnt(0)
	v_fma_f64 v[41:42], v[37:38], v[29:30], v[43:44]
	v_fma_f64 v[29:30], v[39:40], v[29:30], v[52:53]
	v_fma_f64 v[41:42], -v[39:40], v[31:32], v[41:42]
	v_fma_f64 v[43:44], v[37:38], v[31:32], v[29:30]
	v_lshlrev_b64 v[29:30], 4, v[11:12]
	v_add_u32_e32 v11, 0x600, v11
	v_add_co_u32_e32 v45, vcc, s12, v29
	v_addc_co_u32_e32 v46, vcc, v34, v30, vcc
	global_load_dwordx4 v[29:32], v[45:46], off
	global_load_dwordx4 v[37:40], v[23:24], off offset:16
	v_cmp_ge_i32_e32 vcc, v14, v35
	s_or_b64 s[8:9], vcc, s[8:9]
	s_waitcnt vmcnt(0)
	v_fma_f64 v[23:24], v[29:30], v[37:38], v[25:26]
	v_fma_f64 v[25:26], v[31:32], v[37:38], v[27:28]
	v_fma_f64 v[31:32], -v[31:32], v[39:40], v[23:24]
	v_fma_f64 v[23:24], v[29:30], v[39:40], v[25:26]
	global_load_dwordx4 v[25:28], v[45:46], off offset:16
	s_waitcnt vmcnt(0)
	v_fma_f64 v[19:20], v[25:26], v[37:38], v[19:20]
	v_fma_f64 v[21:22], v[27:28], v[37:38], v[21:22]
	v_fma_f64 v[29:30], -v[27:28], v[39:40], v[19:20]
	v_fma_f64 v[27:28], v[25:26], v[39:40], v[21:22]
	global_load_dwordx4 v[19:22], v[45:46], off offset:32
	;; [unrolled: 6-line block ×3, first 2 shown]
	s_waitcnt vmcnt(0)
	v_fma_f64 v[19:20], v[15:16], v[37:38], v[41:42]
	v_fma_f64 v[37:38], v[17:18], v[37:38], v[43:44]
	v_fma_f64 v[19:20], -v[17:18], v[39:40], v[19:20]
	v_fma_f64 v[17:18], v[15:16], v[39:40], v[37:38]
	s_andn2_b64 exec, exec, s[8:9]
	s_cbranch_execnz .LBB135_7
; %bb.8:
	s_or_b64 exec, exec, s[8:9]
.LBB135_9:
	s_or_b64 exec, exec, s[6:7]
	s_cbranch_execz .LBB135_11
	s_branch .LBB135_16
.LBB135_10:
                                        ; implicit-def: $vgpr23_vgpr24
                                        ; implicit-def: $vgpr31_vgpr32
                                        ; implicit-def: $vgpr19_vgpr20
                                        ; implicit-def: $vgpr17_vgpr18
                                        ; implicit-def: $vgpr25_vgpr26
                                        ; implicit-def: $vgpr21_vgpr22
                                        ; implicit-def: $vgpr29_vgpr30
                                        ; implicit-def: $vgpr27_vgpr28
.LBB135_11:
	v_mov_b32_e32 v23, 0
	v_mov_b32_e32 v31, 0
	;; [unrolled: 1-line block ×16, first 2 shown]
	s_and_saveexec_b64 s[2:3], s[0:1]
	s_cbranch_execz .LBB135_15
; %bb.12:
	v_mad_u64_u32 v[12:13], s[0:1], v10, 24, 23
	v_mov_b32_e32 v23, 0
	v_mov_b32_e32 v31, 0
	;; [unrolled: 1-line block ×9, first 2 shown]
	s_mov_b64 s[6:7], 0
	v_mov_b32_e32 v36, s11
	v_mov_b32_e32 v14, 0
	;; [unrolled: 1-line block ×11, first 2 shown]
.LBB135_13:                             ; =>This Inner Loop Header: Depth=1
	v_ashrrev_i32_e32 v11, 31, v10
	v_lshlrev_b64 v[15:16], 2, v[10:11]
	v_subrev_u32_e32 v13, 23, v12
	v_add_co_u32_e32 v39, vcc, s10, v15
	v_addc_co_u32_e32 v40, vcc, v36, v16, vcc
	global_load_dword v11, v[39:40], off
	v_lshlrev_b64 v[33:34], 4, v[13:14]
	v_mov_b32_e32 v48, v14
	v_add_co_u32_e64 v15, s[0:1], s12, v33
	v_addc_co_u32_e64 v16, vcc, v37, v34, s[0:1]
	v_add_u32_e32 v13, -10, v12
	v_add_u32_e32 v10, 64, v10
	s_waitcnt vmcnt(0)
	v_subrev_u32_e32 v11, s16, v11
	v_mul_lo_u32 v47, v11, 6
	v_lshlrev_b64 v[33:34], 4, v[47:48]
	v_add_co_u32_e32 v48, vcc, s14, v33
	v_addc_co_u32_e32 v49, vcc, v38, v34, vcc
	global_load_dwordx4 v[39:42], v[15:16], off
	global_load_dwordx4 v[43:46], v[48:49], off
	s_waitcnt vmcnt(0)
	v_fma_f64 v[31:32], v[39:40], v[43:44], v[31:32]
	v_fma_f64 v[23:24], v[41:42], v[43:44], v[23:24]
	v_fma_f64 v[41:42], -v[41:42], v[45:46], v[31:32]
	global_load_dwordx4 v[31:34], v[15:16], off offset:96
	v_fma_f64 v[39:40], v[39:40], v[45:46], v[23:24]
	s_waitcnt vmcnt(0)
	v_fma_f64 v[23:24], v[31:32], v[43:44], v[29:30]
	v_fma_f64 v[27:28], v[33:34], v[43:44], v[27:28]
	v_fma_f64 v[33:34], -v[33:34], v[45:46], v[23:24]
	v_add_u32_e32 v23, -11, v12
	v_mov_b32_e32 v24, v14
	v_lshlrev_b64 v[23:24], 4, v[23:24]
	v_fma_f64 v[31:32], v[31:32], v[45:46], v[27:28]
	v_add_co_u32_e32 v23, vcc, s12, v23
	v_addc_co_u32_e32 v24, vcc, v37, v24, vcc
	global_load_dwordx4 v[27:30], v[23:24], off
	s_waitcnt vmcnt(0)
	v_fma_f64 v[21:22], v[29:30], v[43:44], v[21:22]
	v_fma_f64 v[23:24], v[27:28], v[43:44], v[25:26]
	;; [unrolled: 1-line block ×3, first 2 shown]
	v_add_u32_e32 v21, -5, v12
	v_mov_b32_e32 v22, v14
	v_lshlrev_b64 v[21:22], 4, v[21:22]
	v_fma_f64 v[25:26], -v[29:30], v[45:46], v[23:24]
	v_add_co_u32_e32 v21, vcc, s12, v21
	v_addc_co_u32_e32 v22, vcc, v37, v22, vcc
	global_load_dwordx4 v[21:24], v[21:22], off
	s_waitcnt vmcnt(0)
	v_fma_f64 v[19:20], v[21:22], v[43:44], v[19:20]
	v_fma_f64 v[17:18], v[23:24], v[43:44], v[17:18]
	v_fma_f64 v[29:30], -v[23:24], v[45:46], v[19:20]
	v_fma_f64 v[43:44], v[21:22], v[45:46], v[17:18]
	global_load_dwordx4 v[17:20], v[15:16], off offset:16
	global_load_dwordx4 v[21:24], v[48:49], off offset:16
	s_waitcnt vmcnt(0)
	v_fma_f64 v[41:42], v[17:18], v[21:22], v[41:42]
	v_fma_f64 v[39:40], v[19:20], v[21:22], v[39:40]
	v_fma_f64 v[41:42], -v[19:20], v[23:24], v[41:42]
	v_fma_f64 v[39:40], v[17:18], v[23:24], v[39:40]
	global_load_dwordx4 v[17:20], v[15:16], off offset:112
	s_waitcnt vmcnt(0)
	v_fma_f64 v[31:32], v[19:20], v[21:22], v[31:32]
	v_fma_f64 v[33:34], v[17:18], v[21:22], v[33:34]
	v_fma_f64 v[31:32], v[17:18], v[23:24], v[31:32]
	v_lshlrev_b64 v[17:18], 4, v[13:14]
	v_fma_f64 v[33:34], -v[19:20], v[23:24], v[33:34]
	v_add_co_u32_e32 v17, vcc, s12, v17
	v_addc_co_u32_e32 v18, vcc, v37, v18, vcc
	global_load_dwordx4 v[17:20], v[17:18], off
	v_add_u32_e32 v13, -4, v12
	s_waitcnt vmcnt(0)
	v_fma_f64 v[27:28], v[19:20], v[21:22], v[27:28]
	v_fma_f64 v[25:26], v[17:18], v[21:22], v[25:26]
	;; [unrolled: 1-line block ×3, first 2 shown]
	v_lshlrev_b64 v[17:18], 4, v[13:14]
	v_fma_f64 v[25:26], -v[19:20], v[23:24], v[25:26]
	v_add_co_u32_e32 v17, vcc, s12, v17
	v_addc_co_u32_e32 v18, vcc, v37, v18, vcc
	global_load_dwordx4 v[17:20], v[17:18], off
	v_add_u32_e32 v13, 2, v47
	s_waitcnt vmcnt(0)
	v_fma_f64 v[29:30], v[17:18], v[21:22], v[29:30]
	v_fma_f64 v[21:22], v[19:20], v[21:22], v[43:44]
	v_fma_f64 v[29:30], -v[19:20], v[23:24], v[29:30]
	v_fma_f64 v[43:44], v[17:18], v[23:24], v[21:22]
	v_lshlrev_b64 v[17:18], 4, v[13:14]
	v_add_u32_e32 v13, -15, v12
	v_add_co_u32_e32 v45, vcc, s14, v17
	v_addc_co_u32_e32 v46, vcc, v38, v18, vcc
	global_load_dwordx4 v[17:20], v[15:16], off offset:32
	global_load_dwordx4 v[21:24], v[45:46], off
	s_waitcnt vmcnt(0)
	v_fma_f64 v[39:40], v[19:20], v[21:22], v[39:40]
	v_fma_f64 v[41:42], v[17:18], v[21:22], v[41:42]
	v_fma_f64 v[39:40], v[17:18], v[23:24], v[39:40]
	v_lshlrev_b64 v[17:18], 4, v[13:14]
	v_fma_f64 v[41:42], -v[19:20], v[23:24], v[41:42]
	v_add_co_u32_e32 v17, vcc, s12, v17
	v_addc_co_u32_e32 v18, vcc, v37, v18, vcc
	global_load_dwordx4 v[17:20], v[17:18], off
	v_add_u32_e32 v13, -9, v12
	s_waitcnt vmcnt(0)
	v_fma_f64 v[31:32], v[19:20], v[21:22], v[31:32]
	v_fma_f64 v[33:34], v[17:18], v[21:22], v[33:34]
	v_fma_f64 v[31:32], v[17:18], v[23:24], v[31:32]
	v_lshlrev_b64 v[17:18], 4, v[13:14]
	v_fma_f64 v[33:34], -v[19:20], v[23:24], v[33:34]
	v_add_co_u32_e32 v17, vcc, s12, v17
	v_addc_co_u32_e32 v18, vcc, v37, v18, vcc
	global_load_dwordx4 v[17:20], v[17:18], off
	v_add_u32_e32 v13, -3, v12
	;; [unrolled: 10-line block ×3, first 2 shown]
	s_waitcnt vmcnt(0)
	v_fma_f64 v[29:30], v[17:18], v[21:22], v[29:30]
	v_fma_f64 v[21:22], v[19:20], v[21:22], v[43:44]
	v_fma_f64 v[29:30], -v[19:20], v[23:24], v[29:30]
	v_fma_f64 v[43:44], v[17:18], v[23:24], v[21:22]
	global_load_dwordx4 v[17:20], v[15:16], off offset:48
	global_load_dwordx4 v[21:24], v[45:46], off offset:16
	s_waitcnt vmcnt(0)
	v_fma_f64 v[39:40], v[19:20], v[21:22], v[39:40]
	v_fma_f64 v[41:42], v[17:18], v[21:22], v[41:42]
	;; [unrolled: 1-line block ×3, first 2 shown]
	v_lshlrev_b64 v[17:18], 4, v[13:14]
	v_fma_f64 v[45:46], -v[19:20], v[23:24], v[41:42]
	v_add_co_u32_e32 v17, vcc, s12, v17
	v_addc_co_u32_e32 v18, vcc, v37, v18, vcc
	global_load_dwordx4 v[17:20], v[17:18], off
	v_add_u32_e32 v13, -8, v12
	s_waitcnt vmcnt(0)
	v_fma_f64 v[31:32], v[19:20], v[21:22], v[31:32]
	v_fma_f64 v[33:34], v[17:18], v[21:22], v[33:34]
	;; [unrolled: 1-line block ×3, first 2 shown]
	v_lshlrev_b64 v[17:18], 4, v[13:14]
	v_fma_f64 v[50:51], -v[19:20], v[23:24], v[33:34]
	v_add_co_u32_e32 v17, vcc, s12, v17
	v_addc_co_u32_e32 v18, vcc, v37, v18, vcc
	global_load_dwordx4 v[17:20], v[17:18], off
	v_add_u32_e32 v13, -2, v12
	s_waitcnt vmcnt(0)
	v_fma_f64 v[27:28], v[19:20], v[21:22], v[27:28]
	v_fma_f64 v[25:26], v[17:18], v[21:22], v[25:26]
	v_fma_f64 v[54:55], v[17:18], v[23:24], v[27:28]
	v_lshlrev_b64 v[17:18], 4, v[13:14]
	v_fma_f64 v[25:26], -v[19:20], v[23:24], v[25:26]
	v_add_co_u32_e32 v17, vcc, s12, v17
	v_addc_co_u32_e32 v18, vcc, v37, v18, vcc
	global_load_dwordx4 v[17:20], v[17:18], off
	v_add_u32_e32 v13, 4, v47
	s_waitcnt vmcnt(0)
	v_fma_f64 v[27:28], v[17:18], v[21:22], v[29:30]
	v_fma_f64 v[21:22], v[19:20], v[21:22], v[43:44]
	v_fma_f64 v[43:44], -v[19:20], v[23:24], v[27:28]
	v_fma_f64 v[56:57], v[17:18], v[23:24], v[21:22]
	v_lshlrev_b64 v[21:22], 4, v[13:14]
	global_load_dwordx4 v[17:20], v[15:16], off offset:64
	v_add_co_u32_e32 v23, vcc, s14, v21
	v_addc_co_u32_e32 v24, vcc, v38, v22, vcc
	global_load_dwordx4 v[39:42], v[23:24], off
	v_add_u32_e32 v13, -13, v12
	s_waitcnt vmcnt(0)
	v_fma_f64 v[27:28], v[19:20], v[39:40], v[48:49]
	v_fma_f64 v[21:22], v[17:18], v[39:40], v[45:46]
	v_fma_f64 v[33:34], v[17:18], v[41:42], v[27:28]
	v_lshlrev_b64 v[17:18], 4, v[13:14]
	v_fma_f64 v[31:32], -v[19:20], v[41:42], v[21:22]
	v_add_co_u32_e32 v17, vcc, s12, v17
	v_addc_co_u32_e32 v18, vcc, v37, v18, vcc
	global_load_dwordx4 v[17:20], v[17:18], off
	v_add_u32_e32 v13, -7, v12
	s_waitcnt vmcnt(0)
	v_fma_f64 v[29:30], v[19:20], v[39:40], v[52:53]
	v_fma_f64 v[21:22], v[17:18], v[39:40], v[50:51]
	v_fma_f64 v[29:30], v[17:18], v[41:42], v[29:30]
	v_lshlrev_b64 v[17:18], 4, v[13:14]
	v_fma_f64 v[27:28], -v[19:20], v[41:42], v[21:22]
	v_add_co_u32_e32 v17, vcc, s12, v17
	v_addc_co_u32_e32 v18, vcc, v37, v18, vcc
	global_load_dwordx4 v[17:20], v[17:18], off
	v_add_u32_e32 v13, -1, v12
	s_waitcnt vmcnt(0)
	v_fma_f64 v[21:22], v[17:18], v[39:40], v[25:26]
	v_fma_f64 v[25:26], v[19:20], v[39:40], v[54:55]
	v_fma_f64 v[21:22], -v[19:20], v[41:42], v[21:22]
	v_fma_f64 v[25:26], v[17:18], v[41:42], v[25:26]
	v_lshlrev_b64 v[17:18], 4, v[13:14]
	v_mov_b32_e32 v13, v14
	v_add_co_u32_e32 v17, vcc, s12, v17
	v_addc_co_u32_e32 v18, vcc, v37, v18, vcc
	global_load_dwordx4 v[17:20], v[17:18], off
	s_waitcnt vmcnt(0)
	v_fma_f64 v[43:44], v[17:18], v[39:40], v[43:44]
	v_fma_f64 v[39:40], v[19:20], v[39:40], v[56:57]
	v_fma_f64 v[19:20], -v[19:20], v[41:42], v[43:44]
	v_fma_f64 v[17:18], v[17:18], v[41:42], v[39:40]
	v_lshlrev_b64 v[39:40], 4, v[12:13]
	global_load_dwordx4 v[43:46], v[23:24], off offset:16
	v_add_co_u32_e32 v47, vcc, s12, v39
	v_addc_co_u32_e32 v48, vcc, v37, v40, vcc
	global_load_dwordx4 v[39:42], v[15:16], off offset:80
	v_add_u32_e32 v13, -12, v12
	s_waitcnt vmcnt(0)
	v_fma_f64 v[15:16], v[39:40], v[43:44], v[31:32]
	v_fma_f64 v[23:24], v[41:42], v[43:44], v[33:34]
	v_fma_f64 v[31:32], -v[41:42], v[45:46], v[15:16]
	v_lshlrev_b64 v[15:16], 4, v[13:14]
	v_fma_f64 v[23:24], v[39:40], v[45:46], v[23:24]
	v_add_co_u32_e32 v15, vcc, s12, v15
	v_addc_co_u32_e32 v16, vcc, v37, v16, vcc
	global_load_dwordx4 v[39:42], v[15:16], off
	v_add_u32_e32 v13, -6, v12
	v_add_u32_e32 v12, 0x600, v12
	s_waitcnt vmcnt(0)
	v_fma_f64 v[15:16], v[39:40], v[43:44], v[27:28]
	v_fma_f64 v[27:28], v[41:42], v[43:44], v[29:30]
	v_fma_f64 v[29:30], -v[41:42], v[45:46], v[15:16]
	v_lshlrev_b64 v[15:16], 4, v[13:14]
	v_fma_f64 v[27:28], v[39:40], v[45:46], v[27:28]
	v_add_co_u32_e32 v15, vcc, s12, v15
	v_addc_co_u32_e32 v16, vcc, v37, v16, vcc
	global_load_dwordx4 v[39:42], v[15:16], off
	v_cmp_ge_i32_e32 vcc, v10, v35
	s_or_b64 s[6:7], vcc, s[6:7]
	s_waitcnt vmcnt(0)
	v_fma_f64 v[15:16], v[39:40], v[43:44], v[21:22]
	v_fma_f64 v[21:22], v[41:42], v[43:44], v[25:26]
	v_fma_f64 v[25:26], -v[41:42], v[45:46], v[15:16]
	v_fma_f64 v[21:22], v[39:40], v[45:46], v[21:22]
	global_load_dwordx4 v[39:42], v[47:48], off
	s_waitcnt vmcnt(0)
	v_fma_f64 v[15:16], v[39:40], v[43:44], v[19:20]
	v_fma_f64 v[17:18], v[41:42], v[43:44], v[17:18]
	v_fma_f64 v[19:20], -v[41:42], v[45:46], v[15:16]
	v_fma_f64 v[17:18], v[39:40], v[45:46], v[17:18]
	s_andn2_b64 exec, exec, s[6:7]
	s_cbranch_execnz .LBB135_13
; %bb.14:
	s_or_b64 exec, exec, s[6:7]
.LBB135_15:
	s_or_b64 exec, exec, s[2:3]
.LBB135_16:
	v_mov_b32_dpp v10, v31 row_shr:1 row_mask:0xf bank_mask:0xf
	v_mov_b32_dpp v11, v32 row_shr:1 row_mask:0xf bank_mask:0xf
	v_add_f64 v[10:11], v[31:32], v[10:11]
	v_mov_b32_dpp v12, v23 row_shr:1 row_mask:0xf bank_mask:0xf
	v_mov_b32_dpp v13, v24 row_shr:1 row_mask:0xf bank_mask:0xf
	v_add_f64 v[12:13], v[23:24], v[12:13]
	v_mov_b32_dpp v23, v27 row_shr:1 row_mask:0xf bank_mask:0xf
	v_mov_b32_dpp v24, v28 row_shr:1 row_mask:0xf bank_mask:0xf
	v_add_f64 v[23:24], v[27:28], v[23:24]
	v_mov_b32_dpp v37, v21 row_shr:1 row_mask:0xf bank_mask:0xf
	v_mov_b32_dpp v14, v10 row_shr:2 row_mask:0xf bank_mask:0xf
	v_mov_b32_dpp v15, v11 row_shr:2 row_mask:0xf bank_mask:0xf
	v_add_f64 v[10:11], v[10:11], v[14:15]
	v_mov_b32_dpp v14, v12 row_shr:2 row_mask:0xf bank_mask:0xf
	v_mov_b32_dpp v15, v13 row_shr:2 row_mask:0xf bank_mask:0xf
	v_add_f64 v[12:13], v[12:13], v[14:15]
	v_mov_b32_dpp v14, v29 row_shr:1 row_mask:0xf bank_mask:0xf
	v_mov_b32_dpp v15, v30 row_shr:1 row_mask:0xf bank_mask:0xf
	v_add_f64 v[14:15], v[29:30], v[14:15]
	v_mov_b32_dpp v38, v22 row_shr:1 row_mask:0xf bank_mask:0xf
	;; [unrolled: 10-line block ×3, first 2 shown]
	v_mov_b32_dpp v29, v10 row_shr:8 row_mask:0xf bank_mask:0xc
	v_mov_b32_dpp v30, v11 row_shr:8 row_mask:0xf bank_mask:0xc
	v_add_f64 v[10:11], v[10:11], v[29:30]
	v_mov_b32_dpp v28, v24 row_shr:2 row_mask:0xf bank_mask:0xf
	v_add_f64 v[23:24], v[23:24], v[27:28]
	v_mov_b32_dpp v29, v12 row_shr:8 row_mask:0xf bank_mask:0xc
	v_mov_b32_dpp v30, v13 row_shr:8 row_mask:0xf bank_mask:0xc
	v_add_f64 v[12:13], v[12:13], v[29:30]
	v_mov_b32_dpp v29, v15 row_shr:4 row_mask:0xf bank_mask:0xe
	v_add_f64 v[21:22], v[21:22], v[37:38]
	v_mov_b32_dpp v27, v10 row_bcast:15 row_mask:0xa bank_mask:0xf
	v_mov_b32_dpp v28, v11 row_bcast:15 row_mask:0xa bank_mask:0xf
	v_add_f64 v[10:11], v[10:11], v[27:28]
	v_mov_b32_dpp v37, v19 row_shr:1 row_mask:0xf bank_mask:0xf
	v_mov_b32_dpp v28, v14 row_shr:4 row_mask:0xf bank_mask:0xe
	v_add_f64 v[14:15], v[14:15], v[28:29]
	v_mov_b32_dpp v29, v24 row_shr:4 row_mask:0xf bank_mask:0xe
	v_mov_b32_dpp v28, v23 row_shr:4 row_mask:0xf bank_mask:0xe
	;; [unrolled: 3-line block ×3, first 2 shown]
	v_add_f64 v[25:26], v[25:26], v[28:29]
	v_mov_b32_dpp v27, v12 row_bcast:15 row_mask:0xa bank_mask:0xf
	v_mov_b32_dpp v29, v14 row_shr:8 row_mask:0xf bank_mask:0xc
	v_mov_b32_dpp v30, v15 row_shr:8 row_mask:0xf bank_mask:0xc
	v_add_f64 v[14:15], v[14:15], v[29:30]
	v_mov_b32_dpp v29, v23 row_shr:8 row_mask:0xf bank_mask:0xc
	v_mov_b32_dpp v30, v24 row_shr:8 row_mask:0xf bank_mask:0xc
	v_add_f64 v[23:24], v[23:24], v[29:30]
	;; [unrolled: 3-line block ×3, first 2 shown]
	v_mov_b32_dpp v28, v13 row_bcast:15 row_mask:0xa bank_mask:0xf
	v_add_f64 v[12:13], v[12:13], v[27:28]
	v_mov_b32_dpp v27, v14 row_bcast:15 row_mask:0xa bank_mask:0xf
	v_mov_b32_dpp v28, v15 row_bcast:15 row_mask:0xa bank_mask:0xf
	v_add_f64 v[14:15], v[14:15], v[27:28]
	v_mov_b32_dpp v27, v23 row_bcast:15 row_mask:0xa bank_mask:0xf
	v_mov_b32_dpp v28, v24 row_bcast:15 row_mask:0xa bank_mask:0xf
	v_add_f64 v[23:24], v[23:24], v[27:28]
	v_mov_b32_dpp v27, v25 row_shr:4 row_mask:0xf bank_mask:0xe
	v_mov_b32_dpp v28, v26 row_shr:4 row_mask:0xf bank_mask:0xe
	v_add_f64 v[33:34], v[25:26], v[27:28]
	v_mov_b32_dpp v38, v20 row_shr:1 row_mask:0xf bank_mask:0xf
	v_add_f64 v[19:20], v[19:20], v[37:38]
	v_mov_b32_dpp v37, v17 row_shr:1 row_mask:0xf bank_mask:0xf
	v_mov_b32_dpp v38, v18 row_shr:1 row_mask:0xf bank_mask:0xf
	v_add_f64 v[16:17], v[17:18], v[37:38]
	v_mov_b32_dpp v31, v10 row_bcast:31 row_mask:0xc bank_mask:0xf
	v_mov_b32_dpp v32, v11 row_bcast:31 row_mask:0xc bank_mask:0xf
	v_mov_b32_dpp v35, v33 row_shr:8 row_mask:0xf bank_mask:0xc
	v_mov_b32_dpp v36, v34 row_shr:8 row_mask:0xf bank_mask:0xc
	v_add_f64 v[33:34], v[33:34], v[35:36]
	v_mov_b32_dpp v35, v21 row_shr:2 row_mask:0xf bank_mask:0xf
	v_mov_b32_dpp v36, v22 row_shr:2 row_mask:0xf bank_mask:0xf
	v_add_f64 v[21:22], v[21:22], v[35:36]
	;; [unrolled: 3-line block ×4, first 2 shown]
	v_mov_b32_dpp v20, v33 row_bcast:15 row_mask:0xa bank_mask:0xf
	v_mov_b32_dpp v35, v21 row_shr:4 row_mask:0xf bank_mask:0xe
	v_mov_b32_dpp v36, v22 row_shr:4 row_mask:0xf bank_mask:0xe
	v_add_f64 v[35:36], v[21:22], v[35:36]
	v_mov_b32_dpp v21, v18 row_shr:4 row_mask:0xf bank_mask:0xe
	v_mov_b32_dpp v22, v19 row_shr:4 row_mask:0xf bank_mask:0xe
	v_add_f64 v[18:19], v[18:19], v[21:22]
	;; [unrolled: 3-line block ×3, first 2 shown]
	v_mov_b32_dpp v21, v34 row_bcast:15 row_mask:0xa bank_mask:0xf
	v_mov_b32_dpp v37, v35 row_shr:8 row_mask:0xf bank_mask:0xc
	v_mov_b32_dpp v38, v36 row_shr:8 row_mask:0xf bank_mask:0xc
	v_add_f64 v[35:36], v[35:36], v[37:38]
	v_mov_b32_dpp v37, v18 row_shr:8 row_mask:0xf bank_mask:0xc
	v_mov_b32_dpp v38, v19 row_shr:8 row_mask:0xf bank_mask:0xc
	v_add_f64 v[18:19], v[18:19], v[37:38]
	;; [unrolled: 3-line block ×3, first 2 shown]
	v_add_f64 v[20:21], v[33:34], v[20:21]
	v_mov_b32_dpp v33, v35 row_bcast:15 row_mask:0xa bank_mask:0xf
	v_mov_b32_dpp v34, v36 row_bcast:15 row_mask:0xa bank_mask:0xf
	v_add_f64 v[33:34], v[35:36], v[33:34]
	v_mov_b32_dpp v35, v18 row_bcast:15 row_mask:0xa bank_mask:0xf
	v_mov_b32_dpp v36, v19 row_bcast:15 row_mask:0xa bank_mask:0xf
	;; [unrolled: 3-line block ×4, first 2 shown]
	v_mov_b32_dpp v27, v14 row_bcast:31 row_mask:0xc bank_mask:0xf
	v_mov_b32_dpp v28, v15 row_bcast:31 row_mask:0xc bank_mask:0xf
	;; [unrolled: 1-line block ×12, first 2 shown]
	v_cmp_eq_u32_e32 vcc, 63, v0
	s_and_b64 exec, exec, vcc
	s_cbranch_execz .LBB135_21
; %bb.17:
	v_cmp_eq_f64_e32 vcc, 0, v[5:6]
	v_cmp_eq_f64_e64 s[0:1], 0, v[7:8]
	v_add_f64 v[16:17], v[10:11], v[31:32]
	v_add_f64 v[29:30], v[12:13], v[29:30]
	;; [unrolled: 1-line block ×8, first 2 shown]
	s_load_dwordx2 s[2:3], s[4:5], 0x48
	s_and_b64 s[0:1], vcc, s[0:1]
	s_and_saveexec_b64 s[4:5], s[0:1]
	s_xor_b64 s[0:1], exec, s[4:5]
	s_cbranch_execz .LBB135_19
; %bb.18:
	v_mul_f64 v[5:6], v[29:30], -v[3:4]
	v_mul_f64 v[7:8], v[1:2], v[29:30]
	v_mul_f64 v[26:27], v[22:23], -v[3:4]
	v_mul_f64 v[22:23], v[1:2], v[22:23]
	;; [unrolled: 2-line block ×4, first 2 shown]
	v_fma_f64 v[5:6], v[1:2], v[16:17], v[5:6]
	v_fma_f64 v[7:8], v[3:4], v[16:17], v[7:8]
	;; [unrolled: 1-line block ×4, first 2 shown]
	v_lshlrev_b32_e32 v24, 2, v9
	v_fma_f64 v[9:10], v[1:2], v[12:13], v[28:29]
	v_fma_f64 v[11:12], v[3:4], v[12:13], v[20:21]
	v_ashrrev_i32_e32 v25, 31, v24
	v_fma_f64 v[0:1], v[1:2], v[14:15], v[30:31]
	v_fma_f64 v[2:3], v[3:4], v[14:15], v[32:33]
	v_lshlrev_b64 v[24:25], 4, v[24:25]
	s_waitcnt lgkmcnt(0)
	v_mov_b32_e32 v34, s3
	v_add_co_u32_e32 v13, vcc, s2, v24
	v_addc_co_u32_e32 v14, vcc, v34, v25, vcc
	global_store_dwordx4 v[13:14], v[5:8], off
	global_store_dwordx4 v[13:14], v[16:19], off offset:16
	global_store_dwordx4 v[13:14], v[9:12], off offset:32
	;; [unrolled: 1-line block ×3, first 2 shown]
                                        ; implicit-def: $vgpr9
                                        ; implicit-def: $vgpr16_vgpr17
                                        ; implicit-def: $vgpr29_vgpr30
                                        ; implicit-def: $vgpr10_vgpr11
                                        ; implicit-def: $vgpr22_vgpr23
                                        ; implicit-def: $vgpr12_vgpr13
                                        ; implicit-def: $vgpr20_vgpr21
                                        ; implicit-def: $vgpr14_vgpr15
                                        ; implicit-def: $vgpr18_vgpr19
                                        ; implicit-def: $vgpr7_vgpr8
                                        ; implicit-def: $vgpr3_vgpr4
.LBB135_19:
	s_andn2_saveexec_b64 s[0:1], s[0:1]
	s_cbranch_execz .LBB135_21
; %bb.20:
	v_lshlrev_b32_e32 v24, 2, v9
	v_ashrrev_i32_e32 v25, 31, v24
	v_lshlrev_b64 v[24:25], 4, v[24:25]
	s_waitcnt lgkmcnt(0)
	v_mov_b32_e32 v0, s3
	v_add_co_u32_e32 v43, vcc, s2, v24
	v_addc_co_u32_e32 v44, vcc, v0, v25, vcc
	global_load_dwordx4 v[24:27], v[43:44], off
	global_load_dwordx4 v[31:34], v[43:44], off offset:16
	global_load_dwordx4 v[35:38], v[43:44], off offset:32
	;; [unrolled: 1-line block ×3, first 2 shown]
	v_mul_f64 v[45:46], v[29:30], -v[3:4]
	v_mul_f64 v[28:29], v[1:2], v[29:30]
	v_mul_f64 v[47:48], v[22:23], -v[3:4]
	v_mul_f64 v[22:23], v[1:2], v[22:23]
	v_mul_f64 v[49:50], v[20:21], -v[3:4]
	v_mul_f64 v[20:21], v[1:2], v[20:21]
	v_mul_f64 v[51:52], v[18:19], -v[3:4]
	v_mul_f64 v[18:19], v[1:2], v[18:19]
	v_fma_f64 v[45:46], v[1:2], v[16:17], v[45:46]
	v_fma_f64 v[16:17], v[3:4], v[16:17], v[28:29]
	;; [unrolled: 1-line block ×8, first 2 shown]
	s_waitcnt vmcnt(3)
	v_fma_f64 v[13:14], v[5:6], v[24:25], v[45:46]
	v_fma_f64 v[15:16], v[7:8], v[24:25], v[16:17]
	s_waitcnt vmcnt(2)
	v_fma_f64 v[17:18], v[5:6], v[31:32], v[28:29]
	v_fma_f64 v[19:20], v[7:8], v[31:32], v[9:10]
	;; [unrolled: 3-line block ×4, first 2 shown]
	v_fma_f64 v[0:1], -v[7:8], v[26:27], v[13:14]
	v_fma_f64 v[2:3], v[5:6], v[26:27], v[15:16]
	v_fma_f64 v[9:10], -v[7:8], v[33:34], v[17:18]
	v_fma_f64 v[11:12], v[5:6], v[33:34], v[19:20]
	;; [unrolled: 2-line block ×4, first 2 shown]
	global_store_dwordx4 v[43:44], v[0:3], off
	global_store_dwordx4 v[43:44], v[9:12], off offset:16
	global_store_dwordx4 v[43:44], v[13:16], off offset:32
	global_store_dwordx4 v[43:44], v[17:20], off offset:48
.LBB135_21:
	s_endpgm
	.section	.rodata,"a",@progbits
	.p2align	6, 0x0
	.amdhsa_kernel _ZN9rocsparseL19gebsrmvn_4xn_kernelILj128ELj6ELj64E21rocsparse_complex_numIdEEEvi20rocsparse_direction_NS_24const_host_device_scalarIT2_EEPKiS8_PKS5_SA_S6_PS5_21rocsparse_index_base_b
		.amdhsa_group_segment_fixed_size 0
		.amdhsa_private_segment_fixed_size 0
		.amdhsa_kernarg_size 88
		.amdhsa_user_sgpr_count 6
		.amdhsa_user_sgpr_private_segment_buffer 1
		.amdhsa_user_sgpr_dispatch_ptr 0
		.amdhsa_user_sgpr_queue_ptr 0
		.amdhsa_user_sgpr_kernarg_segment_ptr 1
		.amdhsa_user_sgpr_dispatch_id 0
		.amdhsa_user_sgpr_flat_scratch_init 0
		.amdhsa_user_sgpr_private_segment_size 0
		.amdhsa_uses_dynamic_stack 0
		.amdhsa_system_sgpr_private_segment_wavefront_offset 0
		.amdhsa_system_sgpr_workgroup_id_x 1
		.amdhsa_system_sgpr_workgroup_id_y 0
		.amdhsa_system_sgpr_workgroup_id_z 0
		.amdhsa_system_sgpr_workgroup_info 0
		.amdhsa_system_vgpr_workitem_id 0
		.amdhsa_next_free_vgpr 58
		.amdhsa_next_free_sgpr 18
		.amdhsa_reserve_vcc 1
		.amdhsa_reserve_flat_scratch 0
		.amdhsa_float_round_mode_32 0
		.amdhsa_float_round_mode_16_64 0
		.amdhsa_float_denorm_mode_32 3
		.amdhsa_float_denorm_mode_16_64 3
		.amdhsa_dx10_clamp 1
		.amdhsa_ieee_mode 1
		.amdhsa_fp16_overflow 0
		.amdhsa_exception_fp_ieee_invalid_op 0
		.amdhsa_exception_fp_denorm_src 0
		.amdhsa_exception_fp_ieee_div_zero 0
		.amdhsa_exception_fp_ieee_overflow 0
		.amdhsa_exception_fp_ieee_underflow 0
		.amdhsa_exception_fp_ieee_inexact 0
		.amdhsa_exception_int_div_zero 0
	.end_amdhsa_kernel
	.section	.text._ZN9rocsparseL19gebsrmvn_4xn_kernelILj128ELj6ELj64E21rocsparse_complex_numIdEEEvi20rocsparse_direction_NS_24const_host_device_scalarIT2_EEPKiS8_PKS5_SA_S6_PS5_21rocsparse_index_base_b,"axG",@progbits,_ZN9rocsparseL19gebsrmvn_4xn_kernelILj128ELj6ELj64E21rocsparse_complex_numIdEEEvi20rocsparse_direction_NS_24const_host_device_scalarIT2_EEPKiS8_PKS5_SA_S6_PS5_21rocsparse_index_base_b,comdat
.Lfunc_end135:
	.size	_ZN9rocsparseL19gebsrmvn_4xn_kernelILj128ELj6ELj64E21rocsparse_complex_numIdEEEvi20rocsparse_direction_NS_24const_host_device_scalarIT2_EEPKiS8_PKS5_SA_S6_PS5_21rocsparse_index_base_b, .Lfunc_end135-_ZN9rocsparseL19gebsrmvn_4xn_kernelILj128ELj6ELj64E21rocsparse_complex_numIdEEEvi20rocsparse_direction_NS_24const_host_device_scalarIT2_EEPKiS8_PKS5_SA_S6_PS5_21rocsparse_index_base_b
                                        ; -- End function
	.set _ZN9rocsparseL19gebsrmvn_4xn_kernelILj128ELj6ELj64E21rocsparse_complex_numIdEEEvi20rocsparse_direction_NS_24const_host_device_scalarIT2_EEPKiS8_PKS5_SA_S6_PS5_21rocsparse_index_base_b.num_vgpr, 58
	.set _ZN9rocsparseL19gebsrmvn_4xn_kernelILj128ELj6ELj64E21rocsparse_complex_numIdEEEvi20rocsparse_direction_NS_24const_host_device_scalarIT2_EEPKiS8_PKS5_SA_S6_PS5_21rocsparse_index_base_b.num_agpr, 0
	.set _ZN9rocsparseL19gebsrmvn_4xn_kernelILj128ELj6ELj64E21rocsparse_complex_numIdEEEvi20rocsparse_direction_NS_24const_host_device_scalarIT2_EEPKiS8_PKS5_SA_S6_PS5_21rocsparse_index_base_b.numbered_sgpr, 18
	.set _ZN9rocsparseL19gebsrmvn_4xn_kernelILj128ELj6ELj64E21rocsparse_complex_numIdEEEvi20rocsparse_direction_NS_24const_host_device_scalarIT2_EEPKiS8_PKS5_SA_S6_PS5_21rocsparse_index_base_b.num_named_barrier, 0
	.set _ZN9rocsparseL19gebsrmvn_4xn_kernelILj128ELj6ELj64E21rocsparse_complex_numIdEEEvi20rocsparse_direction_NS_24const_host_device_scalarIT2_EEPKiS8_PKS5_SA_S6_PS5_21rocsparse_index_base_b.private_seg_size, 0
	.set _ZN9rocsparseL19gebsrmvn_4xn_kernelILj128ELj6ELj64E21rocsparse_complex_numIdEEEvi20rocsparse_direction_NS_24const_host_device_scalarIT2_EEPKiS8_PKS5_SA_S6_PS5_21rocsparse_index_base_b.uses_vcc, 1
	.set _ZN9rocsparseL19gebsrmvn_4xn_kernelILj128ELj6ELj64E21rocsparse_complex_numIdEEEvi20rocsparse_direction_NS_24const_host_device_scalarIT2_EEPKiS8_PKS5_SA_S6_PS5_21rocsparse_index_base_b.uses_flat_scratch, 0
	.set _ZN9rocsparseL19gebsrmvn_4xn_kernelILj128ELj6ELj64E21rocsparse_complex_numIdEEEvi20rocsparse_direction_NS_24const_host_device_scalarIT2_EEPKiS8_PKS5_SA_S6_PS5_21rocsparse_index_base_b.has_dyn_sized_stack, 0
	.set _ZN9rocsparseL19gebsrmvn_4xn_kernelILj128ELj6ELj64E21rocsparse_complex_numIdEEEvi20rocsparse_direction_NS_24const_host_device_scalarIT2_EEPKiS8_PKS5_SA_S6_PS5_21rocsparse_index_base_b.has_recursion, 0
	.set _ZN9rocsparseL19gebsrmvn_4xn_kernelILj128ELj6ELj64E21rocsparse_complex_numIdEEEvi20rocsparse_direction_NS_24const_host_device_scalarIT2_EEPKiS8_PKS5_SA_S6_PS5_21rocsparse_index_base_b.has_indirect_call, 0
	.section	.AMDGPU.csdata,"",@progbits
; Kernel info:
; codeLenInByte = 5340
; TotalNumSgprs: 22
; NumVgprs: 58
; ScratchSize: 0
; MemoryBound: 1
; FloatMode: 240
; IeeeMode: 1
; LDSByteSize: 0 bytes/workgroup (compile time only)
; SGPRBlocks: 2
; VGPRBlocks: 14
; NumSGPRsForWavesPerEU: 22
; NumVGPRsForWavesPerEU: 58
; Occupancy: 4
; WaveLimiterHint : 1
; COMPUTE_PGM_RSRC2:SCRATCH_EN: 0
; COMPUTE_PGM_RSRC2:USER_SGPR: 6
; COMPUTE_PGM_RSRC2:TRAP_HANDLER: 0
; COMPUTE_PGM_RSRC2:TGID_X_EN: 1
; COMPUTE_PGM_RSRC2:TGID_Y_EN: 0
; COMPUTE_PGM_RSRC2:TGID_Z_EN: 0
; COMPUTE_PGM_RSRC2:TIDIG_COMP_CNT: 0
	.section	.text._ZN9rocsparseL19gebsrmvn_4xn_kernelILj128ELj7ELj4E21rocsparse_complex_numIdEEEvi20rocsparse_direction_NS_24const_host_device_scalarIT2_EEPKiS8_PKS5_SA_S6_PS5_21rocsparse_index_base_b,"axG",@progbits,_ZN9rocsparseL19gebsrmvn_4xn_kernelILj128ELj7ELj4E21rocsparse_complex_numIdEEEvi20rocsparse_direction_NS_24const_host_device_scalarIT2_EEPKiS8_PKS5_SA_S6_PS5_21rocsparse_index_base_b,comdat
	.globl	_ZN9rocsparseL19gebsrmvn_4xn_kernelILj128ELj7ELj4E21rocsparse_complex_numIdEEEvi20rocsparse_direction_NS_24const_host_device_scalarIT2_EEPKiS8_PKS5_SA_S6_PS5_21rocsparse_index_base_b ; -- Begin function _ZN9rocsparseL19gebsrmvn_4xn_kernelILj128ELj7ELj4E21rocsparse_complex_numIdEEEvi20rocsparse_direction_NS_24const_host_device_scalarIT2_EEPKiS8_PKS5_SA_S6_PS5_21rocsparse_index_base_b
	.p2align	8
	.type	_ZN9rocsparseL19gebsrmvn_4xn_kernelILj128ELj7ELj4E21rocsparse_complex_numIdEEEvi20rocsparse_direction_NS_24const_host_device_scalarIT2_EEPKiS8_PKS5_SA_S6_PS5_21rocsparse_index_base_b,@function
_ZN9rocsparseL19gebsrmvn_4xn_kernelILj128ELj7ELj4E21rocsparse_complex_numIdEEEvi20rocsparse_direction_NS_24const_host_device_scalarIT2_EEPKiS8_PKS5_SA_S6_PS5_21rocsparse_index_base_b: ; @_ZN9rocsparseL19gebsrmvn_4xn_kernelILj128ELj7ELj4E21rocsparse_complex_numIdEEEvi20rocsparse_direction_NS_24const_host_device_scalarIT2_EEPKiS8_PKS5_SA_S6_PS5_21rocsparse_index_base_b
; %bb.0:
	s_load_dwordx2 s[0:1], s[4:5], 0x8
	s_load_dwordx2 s[8:9], s[4:5], 0x38
	;; [unrolled: 1-line block ×3, first 2 shown]
	s_add_u32 s7, s4, 8
	s_addc_u32 s10, s5, 0
	s_add_u32 s11, s4, 56
	s_addc_u32 s12, s5, 0
	s_waitcnt lgkmcnt(0)
	s_bitcmp1_b32 s3, 0
	s_cselect_b32 s1, s10, s1
	s_cselect_b32 s0, s7, s0
	v_mov_b32_e32 v1, s0
	v_mov_b32_e32 v2, s1
	flat_load_dwordx4 v[1:4], v[1:2]
	s_cselect_b32 s0, s12, s9
	s_cselect_b32 s1, s11, s8
	v_mov_b32_e32 v5, s1
	v_mov_b32_e32 v6, s0
	flat_load_dwordx4 v[5:8], v[5:6]
	s_waitcnt vmcnt(0) lgkmcnt(0)
	v_cmp_eq_f64_e32 vcc, 0, v[1:2]
	v_cmp_eq_f64_e64 s[0:1], 0, v[3:4]
	s_and_b64 s[10:11], vcc, s[0:1]
	s_mov_b64 s[0:1], -1
	s_and_saveexec_b64 s[8:9], s[10:11]
	s_cbranch_execz .LBB136_2
; %bb.1:
	v_cmp_neq_f64_e32 vcc, 1.0, v[5:6]
	v_cmp_neq_f64_e64 s[0:1], 0, v[7:8]
	s_or_b64 s[0:1], vcc, s[0:1]
	s_orn2_b64 s[0:1], s[0:1], exec
.LBB136_2:
	s_or_b64 exec, exec, s[8:9]
	s_and_saveexec_b64 s[8:9], s[0:1]
	s_cbranch_execz .LBB136_29
; %bb.3:
	s_load_dwordx2 s[0:1], s[4:5], 0x0
	v_lshrrev_b32_e32 v9, 2, v0
	v_lshl_or_b32 v9, s6, 5, v9
	s_waitcnt lgkmcnt(0)
	v_cmp_gt_i32_e32 vcc, s0, v9
	s_and_b64 exec, exec, vcc
	s_cbranch_execz .LBB136_29
; %bb.4:
	s_load_dwordx8 s[8:15], s[4:5], 0x18
	v_ashrrev_i32_e32 v10, 31, v9
	v_lshlrev_b64 v[10:11], 2, v[9:10]
	v_and_b32_e32 v0, 3, v0
	s_cmp_lg_u32 s1, 0
	s_waitcnt lgkmcnt(0)
	v_mov_b32_e32 v12, s9
	v_add_co_u32_e32 v10, vcc, s8, v10
	v_addc_co_u32_e32 v11, vcc, v12, v11, vcc
	global_load_dwordx2 v[11:12], v[10:11], off
	s_waitcnt vmcnt(0)
	v_subrev_u32_e32 v10, s2, v11
	v_subrev_u32_e32 v49, s2, v12
	v_add_u32_e32 v10, v10, v0
	v_cmp_lt_i32_e64 s[0:1], v10, v49
	s_cbranch_scc0 .LBB136_12
; %bb.5:
	v_mov_b32_e32 v16, 0
	v_mov_b32_e32 v24, 0
	;; [unrolled: 1-line block ×16, first 2 shown]
	s_and_saveexec_b64 s[6:7], s[0:1]
	s_cbranch_execz .LBB136_14
; %bb.6:
	v_mul_lo_u32 v50, v10, 28
	v_mov_b32_e32 v16, 0
	v_mov_b32_e32 v24, 0
	;; [unrolled: 1-line block ×9, first 2 shown]
	s_mov_b64 s[8:9], 0
	v_mov_b32_e32 v51, s11
	v_mov_b32_e32 v29, 0
	;; [unrolled: 1-line block ×11, first 2 shown]
	s_branch .LBB136_8
.LBB136_7:                              ;   in Loop: Header=BB136_8 Depth=1
	v_add_u32_e32 v30, 4, v30
	v_cmp_ge_i32_e32 vcc, v30, v49
	s_or_b64 s[8:9], vcc, s[8:9]
	v_add_u32_e32 v50, 0x70, v50
	s_andn2_b64 exec, exec, s[8:9]
	s_cbranch_execz .LBB136_13
.LBB136_8:                              ; =>This Loop Header: Depth=1
                                        ;     Child Loop BB136_10 Depth 2
	v_ashrrev_i32_e32 v31, 31, v30
	v_lshlrev_b64 v[31:32], 2, v[30:31]
	v_mov_b32_e32 v46, v13
	v_add_co_u32_e32 v31, vcc, s10, v31
	v_addc_co_u32_e32 v32, vcc, v51, v32, vcc
	global_load_dword v35, v[31:32], off
	v_mov_b32_e32 v45, v12
	v_mov_b32_e32 v34, v17
	v_mov_b32_e32 v32, v25
	v_mov_b32_e32 v40, v15
	v_mov_b32_e32 v42, v21
	v_mov_b32_e32 v44, v19
	v_mov_b32_e32 v38, v23
	s_mov_b32 s3, 0
	v_mov_b32_e32 v28, v50
	v_mov_b32_e32 v33, v16
	;; [unrolled: 1-line block ×7, first 2 shown]
	s_waitcnt vmcnt(0)
	v_subrev_u32_e32 v12, s2, v35
	v_mul_lo_u32 v53, v12, 7
	v_mov_b32_e32 v36, v27
	v_mov_b32_e32 v35, v26
	s_branch .LBB136_10
.LBB136_9:                              ;   in Loop: Header=BB136_8 Depth=1
                                        ; implicit-def: $vgpr37_vgpr38
                                        ; implicit-def: $vgpr35_vgpr36
                                        ; implicit-def: $vgpr43_vgpr44
                                        ; implicit-def: $vgpr41_vgpr42
                                        ; implicit-def: $vgpr45_vgpr46
                                        ; implicit-def: $vgpr39_vgpr40
                                        ; implicit-def: $vgpr31_vgpr32
                                        ; implicit-def: $vgpr33_vgpr34
                                        ; implicit-def: $sgpr3
	s_branch .LBB136_7
.LBB136_10:                             ;   Parent Loop BB136_8 Depth=1
                                        ; =>  This Inner Loop Header: Depth=2
	v_lshlrev_b64 v[12:13], 4, v[28:29]
	v_add_u32_e32 v47, s3, v53
	v_add_co_u32_e32 v16, vcc, s12, v12
	v_mov_b32_e32 v48, v29
	v_addc_co_u32_e32 v17, vcc, v52, v13, vcc
	v_lshlrev_b64 v[12:13], 4, v[47:48]
	v_mov_b32_e32 v14, s15
	v_add_co_u32_e32 v22, vcc, s14, v12
	v_addc_co_u32_e32 v23, vcc, v14, v13, vcc
	global_load_dwordx4 v[54:57], v[22:23], off
	global_load_dwordx4 v[12:15], v[16:17], off
	global_load_dwordx4 v[18:21], v[16:17], off offset:16
	global_load_dwordx4 v[58:61], v[16:17], off offset:32
	;; [unrolled: 1-line block ×3, first 2 shown]
	s_cmp_eq_u32 s3, 6
	s_waitcnt vmcnt(3)
	v_fma_f64 v[16:17], v[12:13], v[54:55], v[31:32]
	v_fma_f64 v[22:23], v[14:15], v[54:55], v[33:34]
	s_waitcnt vmcnt(2)
	v_fma_f64 v[26:27], v[18:19], v[54:55], v[35:36]
	v_fma_f64 v[31:32], v[20:21], v[54:55], v[37:38]
	;; [unrolled: 3-line block ×4, first 2 shown]
	v_fma_f64 v[24:25], -v[14:15], v[56:57], v[16:17]
	v_fma_f64 v[16:17], v[12:13], v[56:57], v[22:23]
	v_fma_f64 v[26:27], -v[20:21], v[56:57], v[26:27]
	v_fma_f64 v[22:23], v[18:19], v[56:57], v[31:32]
	;; [unrolled: 2-line block ×4, first 2 shown]
	s_cbranch_scc1 .LBB136_9
; %bb.11:                               ;   in Loop: Header=BB136_10 Depth=2
	v_add_u32_e32 v31, 4, v28
	v_mov_b32_e32 v32, v29
	v_lshlrev_b64 v[31:32], 4, v[31:32]
	v_mov_b32_e32 v33, s13
	v_add_co_u32_e32 v31, vcc, s12, v31
	v_addc_co_u32_e32 v32, vcc, v33, v32, vcc
	global_load_dwordx4 v[54:57], v[31:32], off offset:48
	global_load_dwordx4 v[43:46], v[31:32], off offset:32
	;; [unrolled: 1-line block ×3, first 2 shown]
	global_load_dwordx4 v[33:36], v[31:32], off
	v_add_u32_e32 v31, 1, v47
	v_mov_b32_e32 v32, v29
	v_lshlrev_b64 v[31:32], 4, v[31:32]
	v_mov_b32_e32 v41, s15
	v_add_co_u32_e32 v31, vcc, s14, v31
	v_addc_co_u32_e32 v32, vcc, v41, v32, vcc
	global_load_dwordx4 v[58:61], v[31:32], off
	s_add_i32 s3, s3, 2
	v_add_u32_e32 v28, 8, v28
	s_waitcnt vmcnt(0)
	v_fma_f64 v[31:32], v[33:34], v[58:59], v[24:25]
	v_fma_f64 v[31:32], -v[35:36], v[60:61], v[31:32]
	v_fma_f64 v[35:36], v[35:36], v[58:59], v[16:17]
	v_fma_f64 v[33:34], v[33:34], v[60:61], v[35:36]
	v_fma_f64 v[35:36], v[37:38], v[58:59], v[26:27]
	v_fma_f64 v[35:36], -v[39:40], v[60:61], v[35:36]
	v_fma_f64 v[39:40], v[39:40], v[58:59], v[22:23]
	v_fma_f64 v[37:38], v[37:38], v[60:61], v[39:40]
	v_fma_f64 v[39:40], v[43:44], v[58:59], v[20:21]
	v_fma_f64 v[41:42], -v[45:46], v[60:61], v[39:40]
	v_fma_f64 v[39:40], v[45:46], v[58:59], v[18:19]
	v_fma_f64 v[45:46], v[56:57], v[58:59], v[12:13]
	v_fma_f64 v[43:44], v[43:44], v[60:61], v[39:40]
	v_fma_f64 v[39:40], v[54:55], v[58:59], v[14:15]
	;; [unrolled: 1-line block ×3, first 2 shown]
	v_fma_f64 v[39:40], -v[56:57], v[60:61], v[39:40]
	s_cbranch_execnz .LBB136_10
	s_branch .LBB136_7
.LBB136_12:
                                        ; implicit-def: $vgpr16_vgpr17
                                        ; implicit-def: $vgpr24_vgpr25
                                        ; implicit-def: $vgpr14_vgpr15
                                        ; implicit-def: $vgpr12_vgpr13
                                        ; implicit-def: $vgpr20_vgpr21
                                        ; implicit-def: $vgpr18_vgpr19
                                        ; implicit-def: $vgpr26_vgpr27
                                        ; implicit-def: $vgpr22_vgpr23
	s_branch .LBB136_15
.LBB136_13:
	s_or_b64 exec, exec, s[8:9]
.LBB136_14:
	s_or_b64 exec, exec, s[6:7]
	s_cbranch_execnz .LBB136_24
.LBB136_15:
	v_mov_b32_e32 v16, 0
	v_mov_b32_e32 v24, 0
	;; [unrolled: 1-line block ×16, first 2 shown]
	s_and_saveexec_b64 s[6:7], s[0:1]
	s_cbranch_execz .LBB136_23
; %bb.16:
	v_mul_lo_u32 v11, v11, 28
	v_mul_lo_u32 v46, v10, 28
	s_mul_i32 s0, s2, 28
	v_mov_b32_e32 v16, 0
	v_mad_u32_u24 v11, v0, 28, v11
	v_mov_b32_e32 v24, 0
	v_mov_b32_e32 v14, 0
	;; [unrolled: 1-line block ×8, first 2 shown]
	v_subrev_u32_e32 v47, s0, v11
	s_mov_b64 s[0:1], 0
	v_mov_b32_e32 v48, s11
	v_mov_b32_e32 v25, 0
	;; [unrolled: 1-line block ×9, first 2 shown]
	s_branch .LBB136_18
.LBB136_17:                             ;   in Loop: Header=BB136_18 Depth=1
	v_add_u32_e32 v10, 4, v10
	v_cmp_ge_i32_e32 vcc, v10, v49
	v_add_u32_e32 v46, 0x70, v46
	s_or_b64 s[0:1], vcc, s[0:1]
	v_add_u32_e32 v47, 0x70, v47
	s_andn2_b64 exec, exec, s[0:1]
	s_cbranch_execz .LBB136_22
.LBB136_18:                             ; =>This Loop Header: Depth=1
                                        ;     Child Loop BB136_20 Depth 2
	v_ashrrev_i32_e32 v11, 31, v10
	v_lshlrev_b64 v[30:31], 2, v[10:11]
	v_mov_b32_e32 v33, v17
	v_add_co_u32_e32 v30, vcc, s10, v30
	v_addc_co_u32_e32 v31, vcc, v48, v31, vcc
	global_load_dword v11, v[30:31], off
	v_mov_b32_e32 v31, v25
	v_mov_b32_e32 v43, v15
	;; [unrolled: 1-line block ×7, first 2 shown]
	s_mov_b32 s3, 0
	v_mov_b32_e32 v32, v16
	v_mov_b32_e32 v30, v24
	;; [unrolled: 1-line block ×8, first 2 shown]
	s_waitcnt vmcnt(0)
	v_subrev_u32_e32 v11, s2, v11
	v_mul_lo_u32 v11, v11, 7
	s_branch .LBB136_20
.LBB136_19:                             ;   in Loop: Header=BB136_20 Depth=2
	s_andn2_b64 vcc, exec, s[8:9]
	s_cbranch_vccz .LBB136_17
.LBB136_20:                             ;   Parent Loop BB136_18 Depth=1
                                        ; =>  This Inner Loop Header: Depth=2
	v_add_u32_e32 v28, s3, v47
	v_lshlrev_b64 v[12:13], 4, v[28:29]
	v_add_u32_e32 v28, s3, v11
	v_mov_b32_e32 v24, s13
	v_add_co_u32_e32 v12, vcc, s12, v12
	v_lshlrev_b64 v[16:17], 4, v[28:29]
	v_addc_co_u32_e32 v13, vcc, v24, v13, vcc
	v_mov_b32_e32 v18, s15
	v_add_co_u32_e32 v16, vcc, s14, v16
	v_addc_co_u32_e32 v17, vcc, v18, v17, vcc
	v_add_u32_e32 v50, s3, v46
	global_load_dwordx4 v[51:54], v[16:17], off
	v_add_u32_e32 v16, 7, v50
	v_mov_b32_e32 v17, v29
	v_lshlrev_b64 v[16:17], 4, v[16:17]
	v_add_u32_e32 v18, 14, v50
	v_mov_b32_e32 v19, v29
	v_add_co_u32_e32 v16, vcc, s12, v16
	v_lshlrev_b64 v[18:19], 4, v[18:19]
	v_addc_co_u32_e32 v17, vcc, v24, v17, vcc
	v_add_co_u32_e32 v22, vcc, s12, v18
	global_load_dwordx4 v[12:15], v[12:13], off
	v_addc_co_u32_e32 v23, vcc, v24, v19, vcc
	global_load_dwordx4 v[18:21], v[16:17], off
	global_load_dwordx4 v[55:58], v[22:23], off
	v_add_u32_e32 v16, 21, v50
	v_mov_b32_e32 v17, v29
	v_lshlrev_b64 v[16:17], 4, v[16:17]
	s_cmp_eq_u32 s3, 6
	v_add_co_u32_e32 v16, vcc, s12, v16
	v_addc_co_u32_e32 v17, vcc, v24, v17, vcc
	global_load_dwordx4 v[59:62], v[16:17], off
	s_mov_b64 s[8:9], -1
	s_waitcnt vmcnt(3)
	v_fma_f64 v[16:17], v[12:13], v[51:52], v[30:31]
	v_fma_f64 v[22:23], v[14:15], v[51:52], v[32:33]
	s_waitcnt vmcnt(2)
	v_fma_f64 v[26:27], v[18:19], v[51:52], v[34:35]
	v_fma_f64 v[30:31], v[20:21], v[51:52], v[36:37]
	;; [unrolled: 3-line block ×3, first 2 shown]
                                        ; implicit-def: $vgpr40_vgpr41
	v_fma_f64 v[24:25], -v[14:15], v[53:54], v[16:17]
	v_fma_f64 v[16:17], v[12:13], v[53:54], v[22:23]
	v_fma_f64 v[26:27], -v[20:21], v[53:54], v[26:27]
	v_fma_f64 v[22:23], v[18:19], v[53:54], v[30:31]
	s_waitcnt vmcnt(0)
	v_fma_f64 v[36:37], v[59:60], v[51:52], v[42:43]
	v_fma_f64 v[38:39], v[61:62], v[51:52], v[44:45]
	v_fma_f64 v[20:21], -v[57:58], v[53:54], v[32:33]
	v_fma_f64 v[18:19], v[55:56], v[53:54], v[34:35]
                                        ; implicit-def: $vgpr34_vgpr35
                                        ; implicit-def: $vgpr44_vgpr45
                                        ; implicit-def: $vgpr42_vgpr43
                                        ; implicit-def: $vgpr30_vgpr31
                                        ; implicit-def: $vgpr32_vgpr33
	v_fma_f64 v[14:15], -v[61:62], v[53:54], v[36:37]
	v_fma_f64 v[12:13], v[59:60], v[53:54], v[38:39]
                                        ; implicit-def: $vgpr36_vgpr37
                                        ; implicit-def: $vgpr38_vgpr39
	s_cbranch_scc1 .LBB136_19
; %bb.21:                               ;   in Loop: Header=BB136_20 Depth=2
	v_add_u32_e32 v30, 1, v50
	v_mov_b32_e32 v31, v29
	v_lshlrev_b64 v[30:31], 4, v[30:31]
	v_mov_b32_e32 v44, s13
	v_add_co_u32_e32 v30, vcc, s12, v30
	v_addc_co_u32_e32 v31, vcc, v44, v31, vcc
	v_add_u32_e32 v28, 1, v28
	global_load_dwordx4 v[32:35], v[30:31], off
	v_lshlrev_b64 v[30:31], 4, v[28:29]
	v_mov_b32_e32 v28, s15
	v_add_co_u32_e32 v30, vcc, s14, v30
	v_addc_co_u32_e32 v31, vcc, v28, v31, vcc
	global_load_dwordx4 v[51:54], v[30:31], off
	v_add_u32_e32 v28, 8, v50
	s_add_i32 s3, s3, 2
	s_mov_b64 s[8:9], 0
	s_waitcnt vmcnt(0)
	v_fma_f64 v[30:31], v[32:33], v[51:52], v[24:25]
	v_fma_f64 v[30:31], -v[34:35], v[53:54], v[30:31]
	v_fma_f64 v[34:35], v[34:35], v[51:52], v[16:17]
	v_fma_f64 v[32:33], v[32:33], v[53:54], v[34:35]
	v_lshlrev_b64 v[34:35], 4, v[28:29]
	v_add_u32_e32 v28, 15, v50
	v_add_co_u32_e32 v34, vcc, s12, v34
	v_addc_co_u32_e32 v35, vcc, v44, v35, vcc
	global_load_dwordx4 v[36:39], v[34:35], off
	s_waitcnt vmcnt(0)
	v_fma_f64 v[34:35], v[36:37], v[51:52], v[26:27]
	v_fma_f64 v[34:35], -v[38:39], v[53:54], v[34:35]
	v_fma_f64 v[38:39], v[38:39], v[51:52], v[22:23]
	v_fma_f64 v[36:37], v[36:37], v[53:54], v[38:39]
	v_lshlrev_b64 v[38:39], 4, v[28:29]
	v_add_u32_e32 v28, 22, v50
	v_add_co_u32_e32 v38, vcc, s12, v38
	v_addc_co_u32_e32 v39, vcc, v44, v39, vcc
	global_load_dwordx4 v[40:43], v[38:39], off
	s_waitcnt vmcnt(0)
	v_fma_f64 v[38:39], v[40:41], v[51:52], v[20:21]
	v_fma_f64 v[38:39], -v[42:43], v[53:54], v[38:39]
	v_fma_f64 v[42:43], v[42:43], v[51:52], v[18:19]
	v_fma_f64 v[40:41], v[40:41], v[53:54], v[42:43]
	v_lshlrev_b64 v[42:43], 4, v[28:29]
	v_add_co_u32_e32 v42, vcc, s12, v42
	v_addc_co_u32_e32 v43, vcc, v44, v43, vcc
	global_load_dwordx4 v[55:58], v[42:43], off
	s_waitcnt vmcnt(0)
	v_fma_f64 v[42:43], v[55:56], v[51:52], v[14:15]
	v_fma_f64 v[44:45], v[57:58], v[51:52], v[12:13]
	v_fma_f64 v[42:43], -v[57:58], v[53:54], v[42:43]
	v_fma_f64 v[44:45], v[55:56], v[53:54], v[44:45]
	s_branch .LBB136_19
.LBB136_22:
	s_or_b64 exec, exec, s[0:1]
.LBB136_23:
	s_or_b64 exec, exec, s[6:7]
.LBB136_24:
	v_mov_b32_dpp v10, v24 row_shr:1 row_mask:0xf bank_mask:0xf
	v_mov_b32_dpp v11, v25 row_shr:1 row_mask:0xf bank_mask:0xf
	;; [unrolled: 1-line block ×4, first 2 shown]
	v_add_f64 v[10:11], v[24:25], v[10:11]
	v_mov_b32_dpp v24, v16 row_shr:1 row_mask:0xf bank_mask:0xf
	v_mov_b32_dpp v25, v17 row_shr:1 row_mask:0xf bank_mask:0xf
	v_add_f64 v[20:21], v[20:21], v[34:35]
	v_mov_b32_dpp v34, v18 row_shr:1 row_mask:0xf bank_mask:0xf
	v_mov_b32_dpp v35, v19 row_shr:1 row_mask:0xf bank_mask:0xf
	v_add_f64 v[24:25], v[16:17], v[24:25]
	v_mov_b32_dpp v16, v26 row_shr:1 row_mask:0xf bank_mask:0xf
	v_mov_b32_dpp v17, v27 row_shr:1 row_mask:0xf bank_mask:0xf
	v_add_f64 v[18:19], v[18:19], v[34:35]
	v_mov_b32_dpp v34, v14 row_shr:1 row_mask:0xf bank_mask:0xf
	v_mov_b32_dpp v35, v15 row_shr:1 row_mask:0xf bank_mask:0xf
	v_add_f64 v[26:27], v[26:27], v[16:17]
	v_mov_b32_dpp v16, v22 row_shr:1 row_mask:0xf bank_mask:0xf
	v_mov_b32_dpp v17, v23 row_shr:1 row_mask:0xf bank_mask:0xf
	v_add_f64 v[14:15], v[14:15], v[34:35]
	v_mov_b32_dpp v34, v12 row_shr:1 row_mask:0xf bank_mask:0xf
	v_mov_b32_dpp v35, v13 row_shr:1 row_mask:0xf bank_mask:0xf
	v_add_f64 v[22:23], v[22:23], v[16:17]
	v_add_f64 v[34:35], v[12:13], v[34:35]
	v_mov_b32_dpp v16, v10 row_shr:2 row_mask:0xf bank_mask:0xf
	v_mov_b32_dpp v17, v11 row_shr:2 row_mask:0xf bank_mask:0xf
	;; [unrolled: 1-line block ×16, first 2 shown]
	v_cmp_eq_u32_e32 vcc, 3, v0
	s_and_b64 exec, exec, vcc
	s_cbranch_execz .LBB136_29
; %bb.25:
	v_cmp_eq_f64_e32 vcc, 0, v[5:6]
	v_cmp_eq_f64_e64 s[0:1], 0, v[7:8]
	v_add_f64 v[16:17], v[10:11], v[16:17]
	v_add_f64 v[24:25], v[24:25], v[32:33]
	;; [unrolled: 1-line block ×8, first 2 shown]
	s_load_dwordx2 s[2:3], s[4:5], 0x48
	s_and_b64 s[0:1], vcc, s[0:1]
	s_and_saveexec_b64 s[4:5], s[0:1]
	s_xor_b64 s[0:1], exec, s[4:5]
	s_cbranch_execz .LBB136_27
; %bb.26:
	v_mul_f64 v[5:6], v[24:25], -v[3:4]
	v_mul_f64 v[7:8], v[1:2], v[24:25]
	v_mul_f64 v[26:27], v[22:23], -v[3:4]
	v_mul_f64 v[22:23], v[1:2], v[22:23]
	;; [unrolled: 2-line block ×4, first 2 shown]
	v_fma_f64 v[5:6], v[1:2], v[16:17], v[5:6]
	v_fma_f64 v[7:8], v[3:4], v[16:17], v[7:8]
	v_fma_f64 v[16:17], v[1:2], v[10:11], v[26:27]
	v_fma_f64 v[18:19], v[3:4], v[10:11], v[22:23]
	v_lshlrev_b32_e32 v24, 2, v9
	v_fma_f64 v[9:10], v[1:2], v[12:13], v[28:29]
	v_fma_f64 v[11:12], v[3:4], v[12:13], v[20:21]
	v_ashrrev_i32_e32 v25, 31, v24
	v_fma_f64 v[0:1], v[1:2], v[14:15], v[30:31]
	v_fma_f64 v[2:3], v[3:4], v[14:15], v[32:33]
	v_lshlrev_b64 v[24:25], 4, v[24:25]
	s_waitcnt lgkmcnt(0)
	v_mov_b32_e32 v34, s3
	v_add_co_u32_e32 v13, vcc, s2, v24
	v_addc_co_u32_e32 v14, vcc, v34, v25, vcc
	global_store_dwordx4 v[13:14], v[5:8], off
	global_store_dwordx4 v[13:14], v[16:19], off offset:16
	global_store_dwordx4 v[13:14], v[9:12], off offset:32
	;; [unrolled: 1-line block ×3, first 2 shown]
                                        ; implicit-def: $vgpr9
                                        ; implicit-def: $vgpr16_vgpr17
                                        ; implicit-def: $vgpr24_vgpr25
                                        ; implicit-def: $vgpr10_vgpr11
                                        ; implicit-def: $vgpr22_vgpr23
                                        ; implicit-def: $vgpr12_vgpr13
                                        ; implicit-def: $vgpr20_vgpr21
                                        ; implicit-def: $vgpr14_vgpr15
                                        ; implicit-def: $vgpr18_vgpr19
                                        ; implicit-def: $vgpr7_vgpr8
                                        ; implicit-def: $vgpr3_vgpr4
.LBB136_27:
	s_andn2_saveexec_b64 s[0:1], s[0:1]
	s_cbranch_execz .LBB136_29
; %bb.28:
	v_lshlrev_b32_e32 v26, 2, v9
	v_ashrrev_i32_e32 v27, 31, v26
	v_lshlrev_b64 v[26:27], 4, v[26:27]
	s_waitcnt lgkmcnt(0)
	v_mov_b32_e32 v0, s3
	v_add_co_u32_e32 v42, vcc, s2, v26
	v_addc_co_u32_e32 v43, vcc, v0, v27, vcc
	global_load_dwordx4 v[26:29], v[42:43], off
	global_load_dwordx4 v[30:33], v[42:43], off offset:16
	global_load_dwordx4 v[34:37], v[42:43], off offset:32
	;; [unrolled: 1-line block ×3, first 2 shown]
	v_mul_f64 v[44:45], v[24:25], -v[3:4]
	v_mul_f64 v[24:25], v[1:2], v[24:25]
	v_mul_f64 v[46:47], v[22:23], -v[3:4]
	v_mul_f64 v[22:23], v[1:2], v[22:23]
	;; [unrolled: 2-line block ×4, first 2 shown]
	v_fma_f64 v[44:45], v[1:2], v[16:17], v[44:45]
	v_fma_f64 v[16:17], v[3:4], v[16:17], v[24:25]
	;; [unrolled: 1-line block ×8, first 2 shown]
	s_waitcnt vmcnt(3)
	v_fma_f64 v[13:14], v[5:6], v[26:27], v[44:45]
	v_fma_f64 v[15:16], v[7:8], v[26:27], v[16:17]
	s_waitcnt vmcnt(2)
	v_fma_f64 v[17:18], v[5:6], v[30:31], v[24:25]
	v_fma_f64 v[19:20], v[7:8], v[30:31], v[9:10]
	;; [unrolled: 3-line block ×4, first 2 shown]
	v_fma_f64 v[0:1], -v[7:8], v[28:29], v[13:14]
	v_fma_f64 v[2:3], v[5:6], v[28:29], v[15:16]
	v_fma_f64 v[9:10], -v[7:8], v[32:33], v[17:18]
	v_fma_f64 v[11:12], v[5:6], v[32:33], v[19:20]
	;; [unrolled: 2-line block ×4, first 2 shown]
	global_store_dwordx4 v[42:43], v[0:3], off
	global_store_dwordx4 v[42:43], v[9:12], off offset:16
	global_store_dwordx4 v[42:43], v[13:16], off offset:32
	;; [unrolled: 1-line block ×3, first 2 shown]
.LBB136_29:
	s_endpgm
	.section	.rodata,"a",@progbits
	.p2align	6, 0x0
	.amdhsa_kernel _ZN9rocsparseL19gebsrmvn_4xn_kernelILj128ELj7ELj4E21rocsparse_complex_numIdEEEvi20rocsparse_direction_NS_24const_host_device_scalarIT2_EEPKiS8_PKS5_SA_S6_PS5_21rocsparse_index_base_b
		.amdhsa_group_segment_fixed_size 0
		.amdhsa_private_segment_fixed_size 0
		.amdhsa_kernarg_size 88
		.amdhsa_user_sgpr_count 6
		.amdhsa_user_sgpr_private_segment_buffer 1
		.amdhsa_user_sgpr_dispatch_ptr 0
		.amdhsa_user_sgpr_queue_ptr 0
		.amdhsa_user_sgpr_kernarg_segment_ptr 1
		.amdhsa_user_sgpr_dispatch_id 0
		.amdhsa_user_sgpr_flat_scratch_init 0
		.amdhsa_user_sgpr_private_segment_size 0
		.amdhsa_uses_dynamic_stack 0
		.amdhsa_system_sgpr_private_segment_wavefront_offset 0
		.amdhsa_system_sgpr_workgroup_id_x 1
		.amdhsa_system_sgpr_workgroup_id_y 0
		.amdhsa_system_sgpr_workgroup_id_z 0
		.amdhsa_system_sgpr_workgroup_info 0
		.amdhsa_system_vgpr_workitem_id 0
		.amdhsa_next_free_vgpr 66
		.amdhsa_next_free_sgpr 16
		.amdhsa_reserve_vcc 1
		.amdhsa_reserve_flat_scratch 0
		.amdhsa_float_round_mode_32 0
		.amdhsa_float_round_mode_16_64 0
		.amdhsa_float_denorm_mode_32 3
		.amdhsa_float_denorm_mode_16_64 3
		.amdhsa_dx10_clamp 1
		.amdhsa_ieee_mode 1
		.amdhsa_fp16_overflow 0
		.amdhsa_exception_fp_ieee_invalid_op 0
		.amdhsa_exception_fp_denorm_src 0
		.amdhsa_exception_fp_ieee_div_zero 0
		.amdhsa_exception_fp_ieee_overflow 0
		.amdhsa_exception_fp_ieee_underflow 0
		.amdhsa_exception_fp_ieee_inexact 0
		.amdhsa_exception_int_div_zero 0
	.end_amdhsa_kernel
	.section	.text._ZN9rocsparseL19gebsrmvn_4xn_kernelILj128ELj7ELj4E21rocsparse_complex_numIdEEEvi20rocsparse_direction_NS_24const_host_device_scalarIT2_EEPKiS8_PKS5_SA_S6_PS5_21rocsparse_index_base_b,"axG",@progbits,_ZN9rocsparseL19gebsrmvn_4xn_kernelILj128ELj7ELj4E21rocsparse_complex_numIdEEEvi20rocsparse_direction_NS_24const_host_device_scalarIT2_EEPKiS8_PKS5_SA_S6_PS5_21rocsparse_index_base_b,comdat
.Lfunc_end136:
	.size	_ZN9rocsparseL19gebsrmvn_4xn_kernelILj128ELj7ELj4E21rocsparse_complex_numIdEEEvi20rocsparse_direction_NS_24const_host_device_scalarIT2_EEPKiS8_PKS5_SA_S6_PS5_21rocsparse_index_base_b, .Lfunc_end136-_ZN9rocsparseL19gebsrmvn_4xn_kernelILj128ELj7ELj4E21rocsparse_complex_numIdEEEvi20rocsparse_direction_NS_24const_host_device_scalarIT2_EEPKiS8_PKS5_SA_S6_PS5_21rocsparse_index_base_b
                                        ; -- End function
	.set _ZN9rocsparseL19gebsrmvn_4xn_kernelILj128ELj7ELj4E21rocsparse_complex_numIdEEEvi20rocsparse_direction_NS_24const_host_device_scalarIT2_EEPKiS8_PKS5_SA_S6_PS5_21rocsparse_index_base_b.num_vgpr, 66
	.set _ZN9rocsparseL19gebsrmvn_4xn_kernelILj128ELj7ELj4E21rocsparse_complex_numIdEEEvi20rocsparse_direction_NS_24const_host_device_scalarIT2_EEPKiS8_PKS5_SA_S6_PS5_21rocsparse_index_base_b.num_agpr, 0
	.set _ZN9rocsparseL19gebsrmvn_4xn_kernelILj128ELj7ELj4E21rocsparse_complex_numIdEEEvi20rocsparse_direction_NS_24const_host_device_scalarIT2_EEPKiS8_PKS5_SA_S6_PS5_21rocsparse_index_base_b.numbered_sgpr, 16
	.set _ZN9rocsparseL19gebsrmvn_4xn_kernelILj128ELj7ELj4E21rocsparse_complex_numIdEEEvi20rocsparse_direction_NS_24const_host_device_scalarIT2_EEPKiS8_PKS5_SA_S6_PS5_21rocsparse_index_base_b.num_named_barrier, 0
	.set _ZN9rocsparseL19gebsrmvn_4xn_kernelILj128ELj7ELj4E21rocsparse_complex_numIdEEEvi20rocsparse_direction_NS_24const_host_device_scalarIT2_EEPKiS8_PKS5_SA_S6_PS5_21rocsparse_index_base_b.private_seg_size, 0
	.set _ZN9rocsparseL19gebsrmvn_4xn_kernelILj128ELj7ELj4E21rocsparse_complex_numIdEEEvi20rocsparse_direction_NS_24const_host_device_scalarIT2_EEPKiS8_PKS5_SA_S6_PS5_21rocsparse_index_base_b.uses_vcc, 1
	.set _ZN9rocsparseL19gebsrmvn_4xn_kernelILj128ELj7ELj4E21rocsparse_complex_numIdEEEvi20rocsparse_direction_NS_24const_host_device_scalarIT2_EEPKiS8_PKS5_SA_S6_PS5_21rocsparse_index_base_b.uses_flat_scratch, 0
	.set _ZN9rocsparseL19gebsrmvn_4xn_kernelILj128ELj7ELj4E21rocsparse_complex_numIdEEEvi20rocsparse_direction_NS_24const_host_device_scalarIT2_EEPKiS8_PKS5_SA_S6_PS5_21rocsparse_index_base_b.has_dyn_sized_stack, 0
	.set _ZN9rocsparseL19gebsrmvn_4xn_kernelILj128ELj7ELj4E21rocsparse_complex_numIdEEEvi20rocsparse_direction_NS_24const_host_device_scalarIT2_EEPKiS8_PKS5_SA_S6_PS5_21rocsparse_index_base_b.has_recursion, 0
	.set _ZN9rocsparseL19gebsrmvn_4xn_kernelILj128ELj7ELj4E21rocsparse_complex_numIdEEEvi20rocsparse_direction_NS_24const_host_device_scalarIT2_EEPKiS8_PKS5_SA_S6_PS5_21rocsparse_index_base_b.has_indirect_call, 0
	.section	.AMDGPU.csdata,"",@progbits
; Kernel info:
; codeLenInByte = 3076
; TotalNumSgprs: 20
; NumVgprs: 66
; ScratchSize: 0
; MemoryBound: 0
; FloatMode: 240
; IeeeMode: 1
; LDSByteSize: 0 bytes/workgroup (compile time only)
; SGPRBlocks: 2
; VGPRBlocks: 16
; NumSGPRsForWavesPerEU: 20
; NumVGPRsForWavesPerEU: 66
; Occupancy: 3
; WaveLimiterHint : 1
; COMPUTE_PGM_RSRC2:SCRATCH_EN: 0
; COMPUTE_PGM_RSRC2:USER_SGPR: 6
; COMPUTE_PGM_RSRC2:TRAP_HANDLER: 0
; COMPUTE_PGM_RSRC2:TGID_X_EN: 1
; COMPUTE_PGM_RSRC2:TGID_Y_EN: 0
; COMPUTE_PGM_RSRC2:TGID_Z_EN: 0
; COMPUTE_PGM_RSRC2:TIDIG_COMP_CNT: 0
	.section	.text._ZN9rocsparseL19gebsrmvn_4xn_kernelILj128ELj7ELj8E21rocsparse_complex_numIdEEEvi20rocsparse_direction_NS_24const_host_device_scalarIT2_EEPKiS8_PKS5_SA_S6_PS5_21rocsparse_index_base_b,"axG",@progbits,_ZN9rocsparseL19gebsrmvn_4xn_kernelILj128ELj7ELj8E21rocsparse_complex_numIdEEEvi20rocsparse_direction_NS_24const_host_device_scalarIT2_EEPKiS8_PKS5_SA_S6_PS5_21rocsparse_index_base_b,comdat
	.globl	_ZN9rocsparseL19gebsrmvn_4xn_kernelILj128ELj7ELj8E21rocsparse_complex_numIdEEEvi20rocsparse_direction_NS_24const_host_device_scalarIT2_EEPKiS8_PKS5_SA_S6_PS5_21rocsparse_index_base_b ; -- Begin function _ZN9rocsparseL19gebsrmvn_4xn_kernelILj128ELj7ELj8E21rocsparse_complex_numIdEEEvi20rocsparse_direction_NS_24const_host_device_scalarIT2_EEPKiS8_PKS5_SA_S6_PS5_21rocsparse_index_base_b
	.p2align	8
	.type	_ZN9rocsparseL19gebsrmvn_4xn_kernelILj128ELj7ELj8E21rocsparse_complex_numIdEEEvi20rocsparse_direction_NS_24const_host_device_scalarIT2_EEPKiS8_PKS5_SA_S6_PS5_21rocsparse_index_base_b,@function
_ZN9rocsparseL19gebsrmvn_4xn_kernelILj128ELj7ELj8E21rocsparse_complex_numIdEEEvi20rocsparse_direction_NS_24const_host_device_scalarIT2_EEPKiS8_PKS5_SA_S6_PS5_21rocsparse_index_base_b: ; @_ZN9rocsparseL19gebsrmvn_4xn_kernelILj128ELj7ELj8E21rocsparse_complex_numIdEEEvi20rocsparse_direction_NS_24const_host_device_scalarIT2_EEPKiS8_PKS5_SA_S6_PS5_21rocsparse_index_base_b
; %bb.0:
	s_load_dwordx2 s[0:1], s[4:5], 0x8
	s_load_dwordx2 s[8:9], s[4:5], 0x38
	;; [unrolled: 1-line block ×3, first 2 shown]
	s_add_u32 s7, s4, 8
	s_addc_u32 s10, s5, 0
	s_add_u32 s11, s4, 56
	s_addc_u32 s12, s5, 0
	s_waitcnt lgkmcnt(0)
	s_bitcmp1_b32 s3, 0
	s_cselect_b32 s1, s10, s1
	s_cselect_b32 s0, s7, s0
	v_mov_b32_e32 v1, s0
	v_mov_b32_e32 v2, s1
	flat_load_dwordx4 v[1:4], v[1:2]
	s_cselect_b32 s0, s12, s9
	s_cselect_b32 s1, s11, s8
	v_mov_b32_e32 v5, s1
	v_mov_b32_e32 v6, s0
	flat_load_dwordx4 v[5:8], v[5:6]
	s_waitcnt vmcnt(0) lgkmcnt(0)
	v_cmp_eq_f64_e32 vcc, 0, v[1:2]
	v_cmp_eq_f64_e64 s[0:1], 0, v[3:4]
	s_and_b64 s[10:11], vcc, s[0:1]
	s_mov_b64 s[0:1], -1
	s_and_saveexec_b64 s[8:9], s[10:11]
	s_cbranch_execz .LBB137_2
; %bb.1:
	v_cmp_neq_f64_e32 vcc, 1.0, v[5:6]
	v_cmp_neq_f64_e64 s[0:1], 0, v[7:8]
	s_or_b64 s[0:1], vcc, s[0:1]
	s_orn2_b64 s[0:1], s[0:1], exec
.LBB137_2:
	s_or_b64 exec, exec, s[8:9]
	s_and_saveexec_b64 s[8:9], s[0:1]
	s_cbranch_execz .LBB137_29
; %bb.3:
	s_load_dwordx2 s[0:1], s[4:5], 0x0
	v_lshrrev_b32_e32 v9, 3, v0
	v_lshl_or_b32 v9, s6, 4, v9
	s_waitcnt lgkmcnt(0)
	v_cmp_gt_i32_e32 vcc, s0, v9
	s_and_b64 exec, exec, vcc
	s_cbranch_execz .LBB137_29
; %bb.4:
	s_load_dwordx8 s[8:15], s[4:5], 0x18
	v_ashrrev_i32_e32 v10, 31, v9
	v_lshlrev_b64 v[10:11], 2, v[9:10]
	v_and_b32_e32 v0, 7, v0
	s_cmp_lg_u32 s1, 0
	s_waitcnt lgkmcnt(0)
	v_mov_b32_e32 v12, s9
	v_add_co_u32_e32 v10, vcc, s8, v10
	v_addc_co_u32_e32 v11, vcc, v12, v11, vcc
	global_load_dwordx2 v[11:12], v[10:11], off
	s_waitcnt vmcnt(0)
	v_subrev_u32_e32 v10, s2, v11
	v_subrev_u32_e32 v49, s2, v12
	v_add_u32_e32 v10, v10, v0
	v_cmp_lt_i32_e64 s[0:1], v10, v49
	s_cbranch_scc0 .LBB137_12
; %bb.5:
	v_mov_b32_e32 v20, 0
	v_mov_b32_e32 v26, 0
	;; [unrolled: 1-line block ×16, first 2 shown]
	s_and_saveexec_b64 s[6:7], s[0:1]
	s_cbranch_execz .LBB137_14
; %bb.6:
	v_mul_lo_u32 v50, v10, 28
	v_mov_b32_e32 v20, 0
	v_mov_b32_e32 v26, 0
	v_mov_b32_e32 v14, 0
	v_mov_b32_e32 v12, 0
	v_mov_b32_e32 v18, 0
	v_mov_b32_e32 v16, 0
	v_mov_b32_e32 v24, 0
	v_mov_b32_e32 v22, 0
	v_mov_b32_e32 v21, 0
	s_mov_b64 s[8:9], 0
	v_mov_b32_e32 v51, s11
	v_mov_b32_e32 v29, 0
	;; [unrolled: 1-line block ×11, first 2 shown]
	s_branch .LBB137_8
.LBB137_7:                              ;   in Loop: Header=BB137_8 Depth=1
	v_add_u32_e32 v30, 8, v30
	v_cmp_ge_i32_e32 vcc, v30, v49
	s_or_b64 s[8:9], vcc, s[8:9]
	v_add_u32_e32 v50, 0xe0, v50
	s_andn2_b64 exec, exec, s[8:9]
	s_cbranch_execz .LBB137_13
.LBB137_8:                              ; =>This Loop Header: Depth=1
                                        ;     Child Loop BB137_10 Depth 2
	v_ashrrev_i32_e32 v31, 31, v30
	v_lshlrev_b64 v[31:32], 2, v[30:31]
	v_mov_b32_e32 v46, v13
	v_add_co_u32_e32 v31, vcc, s10, v31
	v_addc_co_u32_e32 v32, vcc, v51, v32, vcc
	global_load_dword v35, v[31:32], off
	v_mov_b32_e32 v45, v12
	v_mov_b32_e32 v34, v21
	;; [unrolled: 1-line block ×7, first 2 shown]
	s_mov_b32 s3, 0
	v_mov_b32_e32 v28, v50
	v_mov_b32_e32 v33, v20
	v_mov_b32_e32 v31, v26
	v_mov_b32_e32 v39, v14
	v_mov_b32_e32 v41, v18
	v_mov_b32_e32 v43, v16
	v_mov_b32_e32 v37, v22
	s_waitcnt vmcnt(0)
	v_subrev_u32_e32 v12, s2, v35
	v_mul_lo_u32 v53, v12, 7
	v_mov_b32_e32 v36, v25
	v_mov_b32_e32 v35, v24
	s_branch .LBB137_10
.LBB137_9:                              ;   in Loop: Header=BB137_8 Depth=1
                                        ; implicit-def: $vgpr37_vgpr38
                                        ; implicit-def: $vgpr35_vgpr36
                                        ; implicit-def: $vgpr43_vgpr44
                                        ; implicit-def: $vgpr41_vgpr42
                                        ; implicit-def: $vgpr45_vgpr46
                                        ; implicit-def: $vgpr39_vgpr40
                                        ; implicit-def: $vgpr31_vgpr32
                                        ; implicit-def: $vgpr33_vgpr34
                                        ; implicit-def: $sgpr3
	s_branch .LBB137_7
.LBB137_10:                             ;   Parent Loop BB137_8 Depth=1
                                        ; =>  This Inner Loop Header: Depth=2
	v_lshlrev_b64 v[12:13], 4, v[28:29]
	v_add_u32_e32 v47, s3, v53
	v_add_co_u32_e32 v20, vcc, s12, v12
	v_mov_b32_e32 v48, v29
	v_addc_co_u32_e32 v21, vcc, v52, v13, vcc
	v_lshlrev_b64 v[12:13], 4, v[47:48]
	v_mov_b32_e32 v14, s15
	v_add_co_u32_e32 v22, vcc, s14, v12
	v_addc_co_u32_e32 v23, vcc, v14, v13, vcc
	global_load_dwordx4 v[54:57], v[22:23], off
	global_load_dwordx4 v[12:15], v[20:21], off
	global_load_dwordx4 v[16:19], v[20:21], off offset:16
	global_load_dwordx4 v[58:61], v[20:21], off offset:32
	;; [unrolled: 1-line block ×3, first 2 shown]
	s_cmp_eq_u32 s3, 6
	s_waitcnt vmcnt(3)
	v_fma_f64 v[20:21], v[12:13], v[54:55], v[31:32]
	v_fma_f64 v[22:23], v[14:15], v[54:55], v[33:34]
	s_waitcnt vmcnt(2)
	v_fma_f64 v[24:25], v[16:17], v[54:55], v[35:36]
	v_fma_f64 v[31:32], v[18:19], v[54:55], v[37:38]
	;; [unrolled: 3-line block ×4, first 2 shown]
	v_fma_f64 v[26:27], -v[14:15], v[56:57], v[20:21]
	v_fma_f64 v[20:21], v[12:13], v[56:57], v[22:23]
	v_fma_f64 v[24:25], -v[18:19], v[56:57], v[24:25]
	v_fma_f64 v[22:23], v[16:17], v[56:57], v[31:32]
	;; [unrolled: 2-line block ×4, first 2 shown]
	s_cbranch_scc1 .LBB137_9
; %bb.11:                               ;   in Loop: Header=BB137_10 Depth=2
	v_add_u32_e32 v31, 4, v28
	v_mov_b32_e32 v32, v29
	v_lshlrev_b64 v[31:32], 4, v[31:32]
	v_mov_b32_e32 v33, s13
	v_add_co_u32_e32 v31, vcc, s12, v31
	v_addc_co_u32_e32 v32, vcc, v33, v32, vcc
	global_load_dwordx4 v[54:57], v[31:32], off offset:48
	global_load_dwordx4 v[43:46], v[31:32], off offset:32
	;; [unrolled: 1-line block ×3, first 2 shown]
	global_load_dwordx4 v[33:36], v[31:32], off
	v_add_u32_e32 v31, 1, v47
	v_mov_b32_e32 v32, v29
	v_lshlrev_b64 v[31:32], 4, v[31:32]
	v_mov_b32_e32 v41, s15
	v_add_co_u32_e32 v31, vcc, s14, v31
	v_addc_co_u32_e32 v32, vcc, v41, v32, vcc
	global_load_dwordx4 v[58:61], v[31:32], off
	s_add_i32 s3, s3, 2
	v_add_u32_e32 v28, 8, v28
	s_waitcnt vmcnt(0)
	v_fma_f64 v[31:32], v[33:34], v[58:59], v[26:27]
	v_fma_f64 v[31:32], -v[35:36], v[60:61], v[31:32]
	v_fma_f64 v[35:36], v[35:36], v[58:59], v[20:21]
	v_fma_f64 v[33:34], v[33:34], v[60:61], v[35:36]
	v_fma_f64 v[35:36], v[37:38], v[58:59], v[24:25]
	v_fma_f64 v[35:36], -v[39:40], v[60:61], v[35:36]
	v_fma_f64 v[39:40], v[39:40], v[58:59], v[22:23]
	v_fma_f64 v[37:38], v[37:38], v[60:61], v[39:40]
	;; [unrolled: 4-line block ×3, first 2 shown]
	v_fma_f64 v[43:44], v[43:44], v[60:61], v[39:40]
	v_fma_f64 v[39:40], v[54:55], v[58:59], v[14:15]
	;; [unrolled: 1-line block ×3, first 2 shown]
	v_fma_f64 v[39:40], -v[56:57], v[60:61], v[39:40]
	s_cbranch_execnz .LBB137_10
	s_branch .LBB137_7
.LBB137_12:
                                        ; implicit-def: $vgpr20_vgpr21
                                        ; implicit-def: $vgpr26_vgpr27
                                        ; implicit-def: $vgpr14_vgpr15
                                        ; implicit-def: $vgpr12_vgpr13
                                        ; implicit-def: $vgpr18_vgpr19
                                        ; implicit-def: $vgpr16_vgpr17
                                        ; implicit-def: $vgpr24_vgpr25
                                        ; implicit-def: $vgpr22_vgpr23
	s_branch .LBB137_15
.LBB137_13:
	s_or_b64 exec, exec, s[8:9]
.LBB137_14:
	s_or_b64 exec, exec, s[6:7]
	s_cbranch_execnz .LBB137_24
.LBB137_15:
	v_mov_b32_e32 v20, 0
	v_mov_b32_e32 v26, 0
	;; [unrolled: 1-line block ×16, first 2 shown]
	s_and_saveexec_b64 s[6:7], s[0:1]
	s_cbranch_execz .LBB137_23
; %bb.16:
	v_mul_lo_u32 v11, v11, 28
	v_mul_lo_u32 v46, v10, 28
	s_mul_i32 s0, s2, 28
	v_mov_b32_e32 v20, 0
	v_mad_u32_u24 v11, v0, 28, v11
	v_mov_b32_e32 v26, 0
	v_mov_b32_e32 v14, 0
	;; [unrolled: 1-line block ×8, first 2 shown]
	v_subrev_u32_e32 v47, s0, v11
	s_mov_b64 s[0:1], 0
	v_mov_b32_e32 v48, s11
	v_mov_b32_e32 v27, 0
	;; [unrolled: 1-line block ×9, first 2 shown]
	s_branch .LBB137_18
.LBB137_17:                             ;   in Loop: Header=BB137_18 Depth=1
	v_add_u32_e32 v10, 8, v10
	v_cmp_ge_i32_e32 vcc, v10, v49
	v_add_u32_e32 v46, 0xe0, v46
	s_or_b64 s[0:1], vcc, s[0:1]
	v_add_u32_e32 v47, 0xe0, v47
	s_andn2_b64 exec, exec, s[0:1]
	s_cbranch_execz .LBB137_22
.LBB137_18:                             ; =>This Loop Header: Depth=1
                                        ;     Child Loop BB137_20 Depth 2
	v_ashrrev_i32_e32 v11, 31, v10
	v_lshlrev_b64 v[30:31], 2, v[10:11]
	v_mov_b32_e32 v33, v21
	v_add_co_u32_e32 v30, vcc, s10, v30
	v_addc_co_u32_e32 v31, vcc, v48, v31, vcc
	global_load_dword v11, v[30:31], off
	v_mov_b32_e32 v31, v27
	v_mov_b32_e32 v43, v15
	;; [unrolled: 1-line block ×7, first 2 shown]
	s_mov_b32 s3, 0
	v_mov_b32_e32 v32, v20
	v_mov_b32_e32 v30, v26
	;; [unrolled: 1-line block ×8, first 2 shown]
	s_waitcnt vmcnt(0)
	v_subrev_u32_e32 v11, s2, v11
	v_mul_lo_u32 v11, v11, 7
	s_branch .LBB137_20
.LBB137_19:                             ;   in Loop: Header=BB137_20 Depth=2
	s_andn2_b64 vcc, exec, s[8:9]
	s_cbranch_vccz .LBB137_17
.LBB137_20:                             ;   Parent Loop BB137_18 Depth=1
                                        ; =>  This Inner Loop Header: Depth=2
	v_add_u32_e32 v28, s3, v47
	v_lshlrev_b64 v[12:13], 4, v[28:29]
	v_add_u32_e32 v28, s3, v11
	v_mov_b32_e32 v24, s13
	v_add_co_u32_e32 v12, vcc, s12, v12
	v_lshlrev_b64 v[16:17], 4, v[28:29]
	v_addc_co_u32_e32 v13, vcc, v24, v13, vcc
	v_mov_b32_e32 v18, s15
	v_add_co_u32_e32 v16, vcc, s14, v16
	v_addc_co_u32_e32 v17, vcc, v18, v17, vcc
	v_add_u32_e32 v50, s3, v46
	global_load_dwordx4 v[51:54], v[16:17], off
	v_add_u32_e32 v16, 7, v50
	v_mov_b32_e32 v17, v29
	v_lshlrev_b64 v[16:17], 4, v[16:17]
	global_load_dwordx4 v[12:15], v[12:13], off
	v_add_co_u32_e32 v20, vcc, s12, v16
	v_addc_co_u32_e32 v21, vcc, v24, v17, vcc
	v_add_u32_e32 v16, 14, v50
	v_mov_b32_e32 v17, v29
	v_lshlrev_b64 v[16:17], 4, v[16:17]
	s_cmp_eq_u32 s3, 6
	v_add_co_u32_e32 v22, vcc, s12, v16
	v_addc_co_u32_e32 v23, vcc, v24, v17, vcc
	global_load_dwordx4 v[16:19], v[20:21], off
	global_load_dwordx4 v[55:58], v[22:23], off
	v_add_u32_e32 v20, 21, v50
	v_mov_b32_e32 v21, v29
	v_lshlrev_b64 v[20:21], 4, v[20:21]
	s_mov_b64 s[8:9], -1
	v_add_co_u32_e32 v20, vcc, s12, v20
	v_addc_co_u32_e32 v21, vcc, v24, v21, vcc
	global_load_dwordx4 v[59:62], v[20:21], off
	s_waitcnt vmcnt(3)
	v_fma_f64 v[20:21], v[12:13], v[51:52], v[30:31]
	v_fma_f64 v[22:23], v[14:15], v[51:52], v[32:33]
	v_fma_f64 v[26:27], -v[14:15], v[53:54], v[20:21]
	v_fma_f64 v[20:21], v[12:13], v[53:54], v[22:23]
	s_waitcnt vmcnt(2)
	v_fma_f64 v[24:25], v[16:17], v[51:52], v[34:35]
	v_fma_f64 v[30:31], v[18:19], v[51:52], v[36:37]
	s_waitcnt vmcnt(1)
	v_fma_f64 v[32:33], v[55:56], v[51:52], v[38:39]
	v_fma_f64 v[34:35], v[57:58], v[51:52], v[40:41]
                                        ; implicit-def: $vgpr40_vgpr41
	v_fma_f64 v[24:25], -v[18:19], v[53:54], v[24:25]
	v_fma_f64 v[22:23], v[16:17], v[53:54], v[30:31]
	s_waitcnt vmcnt(0)
	v_fma_f64 v[36:37], v[59:60], v[51:52], v[42:43]
	v_fma_f64 v[38:39], v[61:62], v[51:52], v[44:45]
	v_fma_f64 v[18:19], -v[57:58], v[53:54], v[32:33]
	v_fma_f64 v[16:17], v[55:56], v[53:54], v[34:35]
                                        ; implicit-def: $vgpr34_vgpr35
                                        ; implicit-def: $vgpr44_vgpr45
                                        ; implicit-def: $vgpr42_vgpr43
                                        ; implicit-def: $vgpr30_vgpr31
                                        ; implicit-def: $vgpr32_vgpr33
	v_fma_f64 v[14:15], -v[61:62], v[53:54], v[36:37]
	v_fma_f64 v[12:13], v[59:60], v[53:54], v[38:39]
                                        ; implicit-def: $vgpr36_vgpr37
                                        ; implicit-def: $vgpr38_vgpr39
	s_cbranch_scc1 .LBB137_19
; %bb.21:                               ;   in Loop: Header=BB137_20 Depth=2
	v_add_u32_e32 v30, 1, v50
	v_mov_b32_e32 v31, v29
	v_lshlrev_b64 v[30:31], 4, v[30:31]
	v_mov_b32_e32 v44, s13
	v_add_co_u32_e32 v30, vcc, s12, v30
	v_addc_co_u32_e32 v31, vcc, v44, v31, vcc
	v_add_u32_e32 v28, 1, v28
	global_load_dwordx4 v[32:35], v[30:31], off
	v_lshlrev_b64 v[30:31], 4, v[28:29]
	v_mov_b32_e32 v28, s15
	v_add_co_u32_e32 v30, vcc, s14, v30
	v_addc_co_u32_e32 v31, vcc, v28, v31, vcc
	global_load_dwordx4 v[51:54], v[30:31], off
	v_add_u32_e32 v28, 8, v50
	s_add_i32 s3, s3, 2
	s_mov_b64 s[8:9], 0
	s_waitcnt vmcnt(0)
	v_fma_f64 v[30:31], v[32:33], v[51:52], v[26:27]
	v_fma_f64 v[30:31], -v[34:35], v[53:54], v[30:31]
	v_fma_f64 v[34:35], v[34:35], v[51:52], v[20:21]
	v_fma_f64 v[32:33], v[32:33], v[53:54], v[34:35]
	v_lshlrev_b64 v[34:35], 4, v[28:29]
	v_add_u32_e32 v28, 15, v50
	v_add_co_u32_e32 v34, vcc, s12, v34
	v_addc_co_u32_e32 v35, vcc, v44, v35, vcc
	global_load_dwordx4 v[36:39], v[34:35], off
	s_waitcnt vmcnt(0)
	v_fma_f64 v[34:35], v[36:37], v[51:52], v[24:25]
	v_fma_f64 v[34:35], -v[38:39], v[53:54], v[34:35]
	v_fma_f64 v[38:39], v[38:39], v[51:52], v[22:23]
	v_fma_f64 v[36:37], v[36:37], v[53:54], v[38:39]
	v_lshlrev_b64 v[38:39], 4, v[28:29]
	v_add_u32_e32 v28, 22, v50
	v_add_co_u32_e32 v38, vcc, s12, v38
	v_addc_co_u32_e32 v39, vcc, v44, v39, vcc
	global_load_dwordx4 v[40:43], v[38:39], off
	s_waitcnt vmcnt(0)
	v_fma_f64 v[38:39], v[40:41], v[51:52], v[18:19]
	v_fma_f64 v[38:39], -v[42:43], v[53:54], v[38:39]
	v_fma_f64 v[42:43], v[42:43], v[51:52], v[16:17]
	v_fma_f64 v[40:41], v[40:41], v[53:54], v[42:43]
	v_lshlrev_b64 v[42:43], 4, v[28:29]
	v_add_co_u32_e32 v42, vcc, s12, v42
	v_addc_co_u32_e32 v43, vcc, v44, v43, vcc
	global_load_dwordx4 v[55:58], v[42:43], off
	s_waitcnt vmcnt(0)
	v_fma_f64 v[42:43], v[55:56], v[51:52], v[14:15]
	v_fma_f64 v[44:45], v[57:58], v[51:52], v[12:13]
	v_fma_f64 v[42:43], -v[57:58], v[53:54], v[42:43]
	v_fma_f64 v[44:45], v[55:56], v[53:54], v[44:45]
	s_branch .LBB137_19
.LBB137_22:
	s_or_b64 exec, exec, s[0:1]
.LBB137_23:
	s_or_b64 exec, exec, s[6:7]
.LBB137_24:
	v_mov_b32_dpp v10, v26 row_shr:1 row_mask:0xf bank_mask:0xf
	v_mov_b32_dpp v11, v27 row_shr:1 row_mask:0xf bank_mask:0xf
	v_add_f64 v[10:11], v[26:27], v[10:11]
	v_mov_b32_dpp v26, v20 row_shr:1 row_mask:0xf bank_mask:0xf
	v_mov_b32_dpp v27, v21 row_shr:1 row_mask:0xf bank_mask:0xf
	;; [unrolled: 1-line block ×4, first 2 shown]
	v_add_f64 v[20:21], v[20:21], v[26:27]
	v_add_f64 v[24:25], v[24:25], v[28:29]
	v_mov_b32_dpp v28, v22 row_shr:1 row_mask:0xf bank_mask:0xf
	v_mov_b32_dpp v29, v23 row_shr:1 row_mask:0xf bank_mask:0xf
	v_add_f64 v[28:29], v[22:23], v[28:29]
	v_mov_b32_dpp v26, v10 row_shr:2 row_mask:0xf bank_mask:0xf
	v_mov_b32_dpp v27, v11 row_shr:2 row_mask:0xf bank_mask:0xf
	;; [unrolled: 1-line block ×5, first 2 shown]
	v_add_f64 v[20:21], v[20:21], v[22:23]
	v_mov_b32_dpp v22, v24 row_shr:2 row_mask:0xf bank_mask:0xf
	v_mov_b32_dpp v23, v25 row_shr:2 row_mask:0xf bank_mask:0xf
	v_add_f64 v[22:23], v[24:25], v[22:23]
	v_mov_b32_dpp v24, v28 row_shr:2 row_mask:0xf bank_mask:0xf
	v_mov_b32_dpp v25, v29 row_shr:2 row_mask:0xf bank_mask:0xf
	;; [unrolled: 1-line block ×3, first 2 shown]
	v_add_f64 v[10:11], v[10:11], v[26:27]
	v_add_f64 v[26:27], v[28:29], v[24:25]
	v_mov_b32_dpp v24, v18 row_shr:1 row_mask:0xf bank_mask:0xf
	v_mov_b32_dpp v25, v19 row_shr:1 row_mask:0xf bank_mask:0xf
	v_add_f64 v[16:17], v[16:17], v[36:37]
	v_mov_b32_dpp v36, v14 row_shr:1 row_mask:0xf bank_mask:0xf
	v_mov_b32_dpp v37, v15 row_shr:1 row_mask:0xf bank_mask:0xf
	v_add_f64 v[32:33], v[18:19], v[24:25]
	v_add_f64 v[36:37], v[14:15], v[36:37]
	v_mov_b32_dpp v14, v12 row_shr:1 row_mask:0xf bank_mask:0xf
	v_mov_b32_dpp v15, v13 row_shr:1 row_mask:0xf bank_mask:0xf
	v_add_f64 v[38:39], v[12:13], v[14:15]
	v_mov_b32_dpp v14, v16 row_shr:2 row_mask:0xf bank_mask:0xf
	v_mov_b32_dpp v15, v17 row_shr:2 row_mask:0xf bank_mask:0xf
	v_add_f64 v[14:15], v[16:17], v[14:15]
	v_mov_b32_dpp v34, v32 row_shr:2 row_mask:0xf bank_mask:0xf
	v_mov_b32_dpp v35, v33 row_shr:2 row_mask:0xf bank_mask:0xf
	v_mov_b32_dpp v16, v36 row_shr:2 row_mask:0xf bank_mask:0xf
	v_mov_b32_dpp v17, v37 row_shr:2 row_mask:0xf bank_mask:0xf
	v_add_f64 v[12:13], v[32:33], v[34:35]
	v_add_f64 v[34:35], v[36:37], v[16:17]
	v_mov_b32_dpp v16, v38 row_shr:2 row_mask:0xf bank_mask:0xf
	v_mov_b32_dpp v17, v39 row_shr:2 row_mask:0xf bank_mask:0xf
	v_add_f64 v[32:33], v[38:39], v[16:17]
	v_mov_b32_dpp v30, v10 row_shr:4 row_mask:0xf bank_mask:0xe
	v_mov_b32_dpp v31, v11 row_shr:4 row_mask:0xf bank_mask:0xe
	v_mov_b32_dpp v24, v20 row_shr:4 row_mask:0xf bank_mask:0xe
	v_mov_b32_dpp v25, v21 row_shr:4 row_mask:0xf bank_mask:0xe
	v_mov_b32_dpp v28, v22 row_shr:4 row_mask:0xf bank_mask:0xe
	v_mov_b32_dpp v29, v23 row_shr:4 row_mask:0xf bank_mask:0xe
	v_mov_b32_dpp v18, v26 row_shr:4 row_mask:0xf bank_mask:0xe
	v_mov_b32_dpp v19, v27 row_shr:4 row_mask:0xf bank_mask:0xe
	v_mov_b32_dpp v42, v12 row_shr:4 row_mask:0xf bank_mask:0xe
	v_mov_b32_dpp v43, v13 row_shr:4 row_mask:0xf bank_mask:0xe
	v_mov_b32_dpp v40, v14 row_shr:4 row_mask:0xf bank_mask:0xe
	v_mov_b32_dpp v41, v15 row_shr:4 row_mask:0xf bank_mask:0xe
	v_mov_b32_dpp v38, v34 row_shr:4 row_mask:0xf bank_mask:0xe
	v_mov_b32_dpp v39, v35 row_shr:4 row_mask:0xf bank_mask:0xe
	v_mov_b32_dpp v36, v32 row_shr:4 row_mask:0xf bank_mask:0xe
	v_mov_b32_dpp v37, v33 row_shr:4 row_mask:0xf bank_mask:0xe
	v_cmp_eq_u32_e32 vcc, 7, v0
	s_and_b64 exec, exec, vcc
	s_cbranch_execz .LBB137_29
; %bb.25:
	v_cmp_eq_f64_e32 vcc, 0, v[5:6]
	v_cmp_eq_f64_e64 s[0:1], 0, v[7:8]
	v_add_f64 v[16:17], v[10:11], v[30:31]
	v_add_f64 v[24:25], v[20:21], v[24:25]
	;; [unrolled: 1-line block ×8, first 2 shown]
	s_load_dwordx2 s[2:3], s[4:5], 0x48
	s_and_b64 s[0:1], vcc, s[0:1]
	s_and_saveexec_b64 s[4:5], s[0:1]
	s_xor_b64 s[0:1], exec, s[4:5]
	s_cbranch_execz .LBB137_27
; %bb.26:
	v_mul_f64 v[5:6], v[24:25], -v[3:4]
	v_mul_f64 v[7:8], v[1:2], v[24:25]
	v_mul_f64 v[26:27], v[22:23], -v[3:4]
	v_mul_f64 v[22:23], v[1:2], v[22:23]
	;; [unrolled: 2-line block ×4, first 2 shown]
	v_fma_f64 v[5:6], v[1:2], v[16:17], v[5:6]
	v_fma_f64 v[7:8], v[3:4], v[16:17], v[7:8]
	;; [unrolled: 1-line block ×4, first 2 shown]
	v_lshlrev_b32_e32 v24, 2, v9
	v_fma_f64 v[9:10], v[1:2], v[12:13], v[28:29]
	v_fma_f64 v[11:12], v[3:4], v[12:13], v[20:21]
	v_ashrrev_i32_e32 v25, 31, v24
	v_fma_f64 v[0:1], v[1:2], v[14:15], v[30:31]
	v_fma_f64 v[2:3], v[3:4], v[14:15], v[32:33]
	v_lshlrev_b64 v[24:25], 4, v[24:25]
	s_waitcnt lgkmcnt(0)
	v_mov_b32_e32 v34, s3
	v_add_co_u32_e32 v13, vcc, s2, v24
	v_addc_co_u32_e32 v14, vcc, v34, v25, vcc
	global_store_dwordx4 v[13:14], v[5:8], off
	global_store_dwordx4 v[13:14], v[16:19], off offset:16
	global_store_dwordx4 v[13:14], v[9:12], off offset:32
	;; [unrolled: 1-line block ×3, first 2 shown]
                                        ; implicit-def: $vgpr9
                                        ; implicit-def: $vgpr16_vgpr17
                                        ; implicit-def: $vgpr24_vgpr25
                                        ; implicit-def: $vgpr10_vgpr11
                                        ; implicit-def: $vgpr22_vgpr23
                                        ; implicit-def: $vgpr12_vgpr13
                                        ; implicit-def: $vgpr20_vgpr21
                                        ; implicit-def: $vgpr14_vgpr15
                                        ; implicit-def: $vgpr18_vgpr19
                                        ; implicit-def: $vgpr7_vgpr8
                                        ; implicit-def: $vgpr3_vgpr4
.LBB137_27:
	s_andn2_saveexec_b64 s[0:1], s[0:1]
	s_cbranch_execz .LBB137_29
; %bb.28:
	v_lshlrev_b32_e32 v26, 2, v9
	v_ashrrev_i32_e32 v27, 31, v26
	v_lshlrev_b64 v[26:27], 4, v[26:27]
	s_waitcnt lgkmcnt(0)
	v_mov_b32_e32 v0, s3
	v_add_co_u32_e32 v42, vcc, s2, v26
	v_addc_co_u32_e32 v43, vcc, v0, v27, vcc
	global_load_dwordx4 v[26:29], v[42:43], off
	global_load_dwordx4 v[30:33], v[42:43], off offset:16
	global_load_dwordx4 v[34:37], v[42:43], off offset:32
	;; [unrolled: 1-line block ×3, first 2 shown]
	v_mul_f64 v[44:45], v[24:25], -v[3:4]
	v_mul_f64 v[24:25], v[1:2], v[24:25]
	v_mul_f64 v[46:47], v[22:23], -v[3:4]
	v_mul_f64 v[22:23], v[1:2], v[22:23]
	;; [unrolled: 2-line block ×4, first 2 shown]
	v_fma_f64 v[44:45], v[1:2], v[16:17], v[44:45]
	v_fma_f64 v[16:17], v[3:4], v[16:17], v[24:25]
	;; [unrolled: 1-line block ×8, first 2 shown]
	s_waitcnt vmcnt(3)
	v_fma_f64 v[13:14], v[5:6], v[26:27], v[44:45]
	v_fma_f64 v[15:16], v[7:8], v[26:27], v[16:17]
	s_waitcnt vmcnt(2)
	v_fma_f64 v[17:18], v[5:6], v[30:31], v[24:25]
	v_fma_f64 v[19:20], v[7:8], v[30:31], v[9:10]
	;; [unrolled: 3-line block ×4, first 2 shown]
	v_fma_f64 v[0:1], -v[7:8], v[28:29], v[13:14]
	v_fma_f64 v[2:3], v[5:6], v[28:29], v[15:16]
	v_fma_f64 v[9:10], -v[7:8], v[32:33], v[17:18]
	v_fma_f64 v[11:12], v[5:6], v[32:33], v[19:20]
	;; [unrolled: 2-line block ×4, first 2 shown]
	global_store_dwordx4 v[42:43], v[0:3], off
	global_store_dwordx4 v[42:43], v[9:12], off offset:16
	global_store_dwordx4 v[42:43], v[13:16], off offset:32
	;; [unrolled: 1-line block ×3, first 2 shown]
.LBB137_29:
	s_endpgm
	.section	.rodata,"a",@progbits
	.p2align	6, 0x0
	.amdhsa_kernel _ZN9rocsparseL19gebsrmvn_4xn_kernelILj128ELj7ELj8E21rocsparse_complex_numIdEEEvi20rocsparse_direction_NS_24const_host_device_scalarIT2_EEPKiS8_PKS5_SA_S6_PS5_21rocsparse_index_base_b
		.amdhsa_group_segment_fixed_size 0
		.amdhsa_private_segment_fixed_size 0
		.amdhsa_kernarg_size 88
		.amdhsa_user_sgpr_count 6
		.amdhsa_user_sgpr_private_segment_buffer 1
		.amdhsa_user_sgpr_dispatch_ptr 0
		.amdhsa_user_sgpr_queue_ptr 0
		.amdhsa_user_sgpr_kernarg_segment_ptr 1
		.amdhsa_user_sgpr_dispatch_id 0
		.amdhsa_user_sgpr_flat_scratch_init 0
		.amdhsa_user_sgpr_private_segment_size 0
		.amdhsa_uses_dynamic_stack 0
		.amdhsa_system_sgpr_private_segment_wavefront_offset 0
		.amdhsa_system_sgpr_workgroup_id_x 1
		.amdhsa_system_sgpr_workgroup_id_y 0
		.amdhsa_system_sgpr_workgroup_id_z 0
		.amdhsa_system_sgpr_workgroup_info 0
		.amdhsa_system_vgpr_workitem_id 0
		.amdhsa_next_free_vgpr 66
		.amdhsa_next_free_sgpr 16
		.amdhsa_reserve_vcc 1
		.amdhsa_reserve_flat_scratch 0
		.amdhsa_float_round_mode_32 0
		.amdhsa_float_round_mode_16_64 0
		.amdhsa_float_denorm_mode_32 3
		.amdhsa_float_denorm_mode_16_64 3
		.amdhsa_dx10_clamp 1
		.amdhsa_ieee_mode 1
		.amdhsa_fp16_overflow 0
		.amdhsa_exception_fp_ieee_invalid_op 0
		.amdhsa_exception_fp_denorm_src 0
		.amdhsa_exception_fp_ieee_div_zero 0
		.amdhsa_exception_fp_ieee_overflow 0
		.amdhsa_exception_fp_ieee_underflow 0
		.amdhsa_exception_fp_ieee_inexact 0
		.amdhsa_exception_int_div_zero 0
	.end_amdhsa_kernel
	.section	.text._ZN9rocsparseL19gebsrmvn_4xn_kernelILj128ELj7ELj8E21rocsparse_complex_numIdEEEvi20rocsparse_direction_NS_24const_host_device_scalarIT2_EEPKiS8_PKS5_SA_S6_PS5_21rocsparse_index_base_b,"axG",@progbits,_ZN9rocsparseL19gebsrmvn_4xn_kernelILj128ELj7ELj8E21rocsparse_complex_numIdEEEvi20rocsparse_direction_NS_24const_host_device_scalarIT2_EEPKiS8_PKS5_SA_S6_PS5_21rocsparse_index_base_b,comdat
.Lfunc_end137:
	.size	_ZN9rocsparseL19gebsrmvn_4xn_kernelILj128ELj7ELj8E21rocsparse_complex_numIdEEEvi20rocsparse_direction_NS_24const_host_device_scalarIT2_EEPKiS8_PKS5_SA_S6_PS5_21rocsparse_index_base_b, .Lfunc_end137-_ZN9rocsparseL19gebsrmvn_4xn_kernelILj128ELj7ELj8E21rocsparse_complex_numIdEEEvi20rocsparse_direction_NS_24const_host_device_scalarIT2_EEPKiS8_PKS5_SA_S6_PS5_21rocsparse_index_base_b
                                        ; -- End function
	.set _ZN9rocsparseL19gebsrmvn_4xn_kernelILj128ELj7ELj8E21rocsparse_complex_numIdEEEvi20rocsparse_direction_NS_24const_host_device_scalarIT2_EEPKiS8_PKS5_SA_S6_PS5_21rocsparse_index_base_b.num_vgpr, 66
	.set _ZN9rocsparseL19gebsrmvn_4xn_kernelILj128ELj7ELj8E21rocsparse_complex_numIdEEEvi20rocsparse_direction_NS_24const_host_device_scalarIT2_EEPKiS8_PKS5_SA_S6_PS5_21rocsparse_index_base_b.num_agpr, 0
	.set _ZN9rocsparseL19gebsrmvn_4xn_kernelILj128ELj7ELj8E21rocsparse_complex_numIdEEEvi20rocsparse_direction_NS_24const_host_device_scalarIT2_EEPKiS8_PKS5_SA_S6_PS5_21rocsparse_index_base_b.numbered_sgpr, 16
	.set _ZN9rocsparseL19gebsrmvn_4xn_kernelILj128ELj7ELj8E21rocsparse_complex_numIdEEEvi20rocsparse_direction_NS_24const_host_device_scalarIT2_EEPKiS8_PKS5_SA_S6_PS5_21rocsparse_index_base_b.num_named_barrier, 0
	.set _ZN9rocsparseL19gebsrmvn_4xn_kernelILj128ELj7ELj8E21rocsparse_complex_numIdEEEvi20rocsparse_direction_NS_24const_host_device_scalarIT2_EEPKiS8_PKS5_SA_S6_PS5_21rocsparse_index_base_b.private_seg_size, 0
	.set _ZN9rocsparseL19gebsrmvn_4xn_kernelILj128ELj7ELj8E21rocsparse_complex_numIdEEEvi20rocsparse_direction_NS_24const_host_device_scalarIT2_EEPKiS8_PKS5_SA_S6_PS5_21rocsparse_index_base_b.uses_vcc, 1
	.set _ZN9rocsparseL19gebsrmvn_4xn_kernelILj128ELj7ELj8E21rocsparse_complex_numIdEEEvi20rocsparse_direction_NS_24const_host_device_scalarIT2_EEPKiS8_PKS5_SA_S6_PS5_21rocsparse_index_base_b.uses_flat_scratch, 0
	.set _ZN9rocsparseL19gebsrmvn_4xn_kernelILj128ELj7ELj8E21rocsparse_complex_numIdEEEvi20rocsparse_direction_NS_24const_host_device_scalarIT2_EEPKiS8_PKS5_SA_S6_PS5_21rocsparse_index_base_b.has_dyn_sized_stack, 0
	.set _ZN9rocsparseL19gebsrmvn_4xn_kernelILj128ELj7ELj8E21rocsparse_complex_numIdEEEvi20rocsparse_direction_NS_24const_host_device_scalarIT2_EEPKiS8_PKS5_SA_S6_PS5_21rocsparse_index_base_b.has_recursion, 0
	.set _ZN9rocsparseL19gebsrmvn_4xn_kernelILj128ELj7ELj8E21rocsparse_complex_numIdEEEvi20rocsparse_direction_NS_24const_host_device_scalarIT2_EEPKiS8_PKS5_SA_S6_PS5_21rocsparse_index_base_b.has_indirect_call, 0
	.section	.AMDGPU.csdata,"",@progbits
; Kernel info:
; codeLenInByte = 3268
; TotalNumSgprs: 20
; NumVgprs: 66
; ScratchSize: 0
; MemoryBound: 0
; FloatMode: 240
; IeeeMode: 1
; LDSByteSize: 0 bytes/workgroup (compile time only)
; SGPRBlocks: 2
; VGPRBlocks: 16
; NumSGPRsForWavesPerEU: 20
; NumVGPRsForWavesPerEU: 66
; Occupancy: 3
; WaveLimiterHint : 1
; COMPUTE_PGM_RSRC2:SCRATCH_EN: 0
; COMPUTE_PGM_RSRC2:USER_SGPR: 6
; COMPUTE_PGM_RSRC2:TRAP_HANDLER: 0
; COMPUTE_PGM_RSRC2:TGID_X_EN: 1
; COMPUTE_PGM_RSRC2:TGID_Y_EN: 0
; COMPUTE_PGM_RSRC2:TGID_Z_EN: 0
; COMPUTE_PGM_RSRC2:TIDIG_COMP_CNT: 0
	.section	.text._ZN9rocsparseL19gebsrmvn_4xn_kernelILj128ELj7ELj16E21rocsparse_complex_numIdEEEvi20rocsparse_direction_NS_24const_host_device_scalarIT2_EEPKiS8_PKS5_SA_S6_PS5_21rocsparse_index_base_b,"axG",@progbits,_ZN9rocsparseL19gebsrmvn_4xn_kernelILj128ELj7ELj16E21rocsparse_complex_numIdEEEvi20rocsparse_direction_NS_24const_host_device_scalarIT2_EEPKiS8_PKS5_SA_S6_PS5_21rocsparse_index_base_b,comdat
	.globl	_ZN9rocsparseL19gebsrmvn_4xn_kernelILj128ELj7ELj16E21rocsparse_complex_numIdEEEvi20rocsparse_direction_NS_24const_host_device_scalarIT2_EEPKiS8_PKS5_SA_S6_PS5_21rocsparse_index_base_b ; -- Begin function _ZN9rocsparseL19gebsrmvn_4xn_kernelILj128ELj7ELj16E21rocsparse_complex_numIdEEEvi20rocsparse_direction_NS_24const_host_device_scalarIT2_EEPKiS8_PKS5_SA_S6_PS5_21rocsparse_index_base_b
	.p2align	8
	.type	_ZN9rocsparseL19gebsrmvn_4xn_kernelILj128ELj7ELj16E21rocsparse_complex_numIdEEEvi20rocsparse_direction_NS_24const_host_device_scalarIT2_EEPKiS8_PKS5_SA_S6_PS5_21rocsparse_index_base_b,@function
_ZN9rocsparseL19gebsrmvn_4xn_kernelILj128ELj7ELj16E21rocsparse_complex_numIdEEEvi20rocsparse_direction_NS_24const_host_device_scalarIT2_EEPKiS8_PKS5_SA_S6_PS5_21rocsparse_index_base_b: ; @_ZN9rocsparseL19gebsrmvn_4xn_kernelILj128ELj7ELj16E21rocsparse_complex_numIdEEEvi20rocsparse_direction_NS_24const_host_device_scalarIT2_EEPKiS8_PKS5_SA_S6_PS5_21rocsparse_index_base_b
; %bb.0:
	s_load_dwordx2 s[0:1], s[4:5], 0x8
	s_load_dwordx2 s[8:9], s[4:5], 0x38
	;; [unrolled: 1-line block ×3, first 2 shown]
	s_add_u32 s7, s4, 8
	s_addc_u32 s10, s5, 0
	s_add_u32 s11, s4, 56
	s_addc_u32 s12, s5, 0
	s_waitcnt lgkmcnt(0)
	s_bitcmp1_b32 s3, 0
	s_cselect_b32 s1, s10, s1
	s_cselect_b32 s0, s7, s0
	v_mov_b32_e32 v1, s0
	v_mov_b32_e32 v2, s1
	flat_load_dwordx4 v[1:4], v[1:2]
	s_cselect_b32 s0, s12, s9
	s_cselect_b32 s1, s11, s8
	v_mov_b32_e32 v5, s1
	v_mov_b32_e32 v6, s0
	flat_load_dwordx4 v[5:8], v[5:6]
	s_waitcnt vmcnt(0) lgkmcnt(0)
	v_cmp_eq_f64_e32 vcc, 0, v[1:2]
	v_cmp_eq_f64_e64 s[0:1], 0, v[3:4]
	s_and_b64 s[10:11], vcc, s[0:1]
	s_mov_b64 s[0:1], -1
	s_and_saveexec_b64 s[8:9], s[10:11]
	s_cbranch_execz .LBB138_2
; %bb.1:
	v_cmp_neq_f64_e32 vcc, 1.0, v[5:6]
	v_cmp_neq_f64_e64 s[0:1], 0, v[7:8]
	s_or_b64 s[0:1], vcc, s[0:1]
	s_orn2_b64 s[0:1], s[0:1], exec
.LBB138_2:
	s_or_b64 exec, exec, s[8:9]
	s_and_saveexec_b64 s[8:9], s[0:1]
	s_cbranch_execz .LBB138_29
; %bb.3:
	s_load_dwordx2 s[0:1], s[4:5], 0x0
	v_lshrrev_b32_e32 v9, 4, v0
	v_lshl_or_b32 v9, s6, 3, v9
	s_waitcnt lgkmcnt(0)
	v_cmp_gt_i32_e32 vcc, s0, v9
	s_and_b64 exec, exec, vcc
	s_cbranch_execz .LBB138_29
; %bb.4:
	s_load_dwordx8 s[8:15], s[4:5], 0x18
	v_ashrrev_i32_e32 v10, 31, v9
	v_lshlrev_b64 v[10:11], 2, v[9:10]
	v_and_b32_e32 v0, 15, v0
	s_cmp_lg_u32 s1, 0
	s_waitcnt lgkmcnt(0)
	v_mov_b32_e32 v12, s9
	v_add_co_u32_e32 v10, vcc, s8, v10
	v_addc_co_u32_e32 v11, vcc, v12, v11, vcc
	global_load_dwordx2 v[11:12], v[10:11], off
	s_waitcnt vmcnt(0)
	v_subrev_u32_e32 v10, s2, v11
	v_subrev_u32_e32 v49, s2, v12
	v_add_u32_e32 v10, v10, v0
	v_cmp_lt_i32_e64 s[0:1], v10, v49
	s_cbranch_scc0 .LBB138_12
; %bb.5:
	v_mov_b32_e32 v22, 0
	v_mov_b32_e32 v26, 0
	;; [unrolled: 1-line block ×16, first 2 shown]
	s_and_saveexec_b64 s[6:7], s[0:1]
	s_cbranch_execz .LBB138_14
; %bb.6:
	v_mul_lo_u32 v50, v10, 28
	v_mov_b32_e32 v22, 0
	v_mov_b32_e32 v26, 0
	;; [unrolled: 1-line block ×9, first 2 shown]
	s_mov_b64 s[8:9], 0
	v_mov_b32_e32 v51, s11
	v_mov_b32_e32 v29, 0
	;; [unrolled: 1-line block ×11, first 2 shown]
	s_branch .LBB138_8
.LBB138_7:                              ;   in Loop: Header=BB138_8 Depth=1
	v_add_u32_e32 v30, 16, v30
	v_cmp_ge_i32_e32 vcc, v30, v49
	s_or_b64 s[8:9], vcc, s[8:9]
	v_add_u32_e32 v50, 0x1c0, v50
	s_andn2_b64 exec, exec, s[8:9]
	s_cbranch_execz .LBB138_13
.LBB138_8:                              ; =>This Loop Header: Depth=1
                                        ;     Child Loop BB138_10 Depth 2
	v_ashrrev_i32_e32 v31, 31, v30
	v_lshlrev_b64 v[31:32], 2, v[30:31]
	v_mov_b32_e32 v46, v13
	v_add_co_u32_e32 v31, vcc, s10, v31
	v_addc_co_u32_e32 v32, vcc, v51, v32, vcc
	global_load_dword v35, v[31:32], off
	v_mov_b32_e32 v45, v12
	v_mov_b32_e32 v34, v23
	;; [unrolled: 1-line block ×7, first 2 shown]
	s_mov_b32 s3, 0
	v_mov_b32_e32 v28, v50
	v_mov_b32_e32 v33, v22
	;; [unrolled: 1-line block ×7, first 2 shown]
	s_waitcnt vmcnt(0)
	v_subrev_u32_e32 v12, s2, v35
	v_mul_lo_u32 v53, v12, 7
	v_mov_b32_e32 v36, v21
	v_mov_b32_e32 v35, v20
	s_branch .LBB138_10
.LBB138_9:                              ;   in Loop: Header=BB138_8 Depth=1
                                        ; implicit-def: $vgpr37_vgpr38
                                        ; implicit-def: $vgpr35_vgpr36
                                        ; implicit-def: $vgpr43_vgpr44
                                        ; implicit-def: $vgpr41_vgpr42
                                        ; implicit-def: $vgpr45_vgpr46
                                        ; implicit-def: $vgpr39_vgpr40
                                        ; implicit-def: $vgpr31_vgpr32
                                        ; implicit-def: $vgpr33_vgpr34
                                        ; implicit-def: $sgpr3
	s_branch .LBB138_7
.LBB138_10:                             ;   Parent Loop BB138_8 Depth=1
                                        ; =>  This Inner Loop Header: Depth=2
	v_lshlrev_b64 v[12:13], 4, v[28:29]
	v_add_u32_e32 v47, s3, v53
	v_add_co_u32_e32 v20, vcc, s12, v12
	v_mov_b32_e32 v48, v29
	v_addc_co_u32_e32 v21, vcc, v52, v13, vcc
	v_lshlrev_b64 v[12:13], 4, v[47:48]
	v_mov_b32_e32 v14, s15
	v_add_co_u32_e32 v22, vcc, s14, v12
	v_addc_co_u32_e32 v23, vcc, v14, v13, vcc
	global_load_dwordx4 v[54:57], v[22:23], off
	global_load_dwordx4 v[12:15], v[20:21], off
	global_load_dwordx4 v[16:19], v[20:21], off offset:16
	global_load_dwordx4 v[58:61], v[20:21], off offset:32
	;; [unrolled: 1-line block ×3, first 2 shown]
	s_cmp_eq_u32 s3, 6
	s_waitcnt vmcnt(3)
	v_fma_f64 v[20:21], v[12:13], v[54:55], v[31:32]
	v_fma_f64 v[22:23], v[14:15], v[54:55], v[33:34]
	s_waitcnt vmcnt(2)
	v_fma_f64 v[24:25], v[16:17], v[54:55], v[35:36]
	v_fma_f64 v[31:32], v[18:19], v[54:55], v[37:38]
	;; [unrolled: 3-line block ×4, first 2 shown]
	v_fma_f64 v[26:27], -v[14:15], v[56:57], v[20:21]
	v_fma_f64 v[22:23], v[12:13], v[56:57], v[22:23]
	v_fma_f64 v[20:21], -v[18:19], v[56:57], v[24:25]
	v_fma_f64 v[24:25], v[16:17], v[56:57], v[31:32]
	;; [unrolled: 2-line block ×4, first 2 shown]
	s_cbranch_scc1 .LBB138_9
; %bb.11:                               ;   in Loop: Header=BB138_10 Depth=2
	v_add_u32_e32 v31, 4, v28
	v_mov_b32_e32 v32, v29
	v_lshlrev_b64 v[31:32], 4, v[31:32]
	v_mov_b32_e32 v33, s13
	v_add_co_u32_e32 v31, vcc, s12, v31
	v_addc_co_u32_e32 v32, vcc, v33, v32, vcc
	global_load_dwordx4 v[54:57], v[31:32], off offset:48
	global_load_dwordx4 v[43:46], v[31:32], off offset:32
	;; [unrolled: 1-line block ×3, first 2 shown]
	global_load_dwordx4 v[33:36], v[31:32], off
	v_add_u32_e32 v31, 1, v47
	v_mov_b32_e32 v32, v29
	v_lshlrev_b64 v[31:32], 4, v[31:32]
	v_mov_b32_e32 v41, s15
	v_add_co_u32_e32 v31, vcc, s14, v31
	v_addc_co_u32_e32 v32, vcc, v41, v32, vcc
	global_load_dwordx4 v[58:61], v[31:32], off
	s_add_i32 s3, s3, 2
	v_add_u32_e32 v28, 8, v28
	s_waitcnt vmcnt(0)
	v_fma_f64 v[31:32], v[33:34], v[58:59], v[26:27]
	v_fma_f64 v[31:32], -v[35:36], v[60:61], v[31:32]
	v_fma_f64 v[35:36], v[35:36], v[58:59], v[22:23]
	v_fma_f64 v[33:34], v[33:34], v[60:61], v[35:36]
	v_fma_f64 v[35:36], v[37:38], v[58:59], v[20:21]
	v_fma_f64 v[35:36], -v[39:40], v[60:61], v[35:36]
	v_fma_f64 v[39:40], v[39:40], v[58:59], v[24:25]
	v_fma_f64 v[37:38], v[37:38], v[60:61], v[39:40]
	;; [unrolled: 4-line block ×3, first 2 shown]
	v_fma_f64 v[43:44], v[43:44], v[60:61], v[39:40]
	v_fma_f64 v[39:40], v[54:55], v[58:59], v[14:15]
	;; [unrolled: 1-line block ×3, first 2 shown]
	v_fma_f64 v[39:40], -v[56:57], v[60:61], v[39:40]
	s_cbranch_execnz .LBB138_10
	s_branch .LBB138_7
.LBB138_12:
                                        ; implicit-def: $vgpr22_vgpr23
                                        ; implicit-def: $vgpr26_vgpr27
                                        ; implicit-def: $vgpr14_vgpr15
                                        ; implicit-def: $vgpr12_vgpr13
                                        ; implicit-def: $vgpr18_vgpr19
                                        ; implicit-def: $vgpr16_vgpr17
                                        ; implicit-def: $vgpr20_vgpr21
                                        ; implicit-def: $vgpr24_vgpr25
	s_branch .LBB138_15
.LBB138_13:
	s_or_b64 exec, exec, s[8:9]
.LBB138_14:
	s_or_b64 exec, exec, s[6:7]
	s_cbranch_execnz .LBB138_24
.LBB138_15:
	v_mov_b32_e32 v22, 0
	v_mov_b32_e32 v26, 0
	;; [unrolled: 1-line block ×16, first 2 shown]
	s_and_saveexec_b64 s[6:7], s[0:1]
	s_cbranch_execz .LBB138_23
; %bb.16:
	v_mul_lo_u32 v11, v11, 28
	v_mul_lo_u32 v46, v10, 28
	s_mul_i32 s0, s2, 28
	v_mov_b32_e32 v22, 0
	v_mad_u32_u24 v11, v0, 28, v11
	v_mov_b32_e32 v26, 0
	v_mov_b32_e32 v14, 0
	v_mov_b32_e32 v12, 0
	v_mov_b32_e32 v18, 0
	v_mov_b32_e32 v16, 0
	v_mov_b32_e32 v20, 0
	v_mov_b32_e32 v24, 0
	v_mov_b32_e32 v23, 0
	v_subrev_u32_e32 v47, s0, v11
	s_mov_b64 s[0:1], 0
	v_mov_b32_e32 v48, s11
	v_mov_b32_e32 v27, 0
	;; [unrolled: 1-line block ×9, first 2 shown]
	s_branch .LBB138_18
.LBB138_17:                             ;   in Loop: Header=BB138_18 Depth=1
	v_add_u32_e32 v10, 16, v10
	v_cmp_ge_i32_e32 vcc, v10, v49
	v_add_u32_e32 v46, 0x1c0, v46
	s_or_b64 s[0:1], vcc, s[0:1]
	v_add_u32_e32 v47, 0x1c0, v47
	s_andn2_b64 exec, exec, s[0:1]
	s_cbranch_execz .LBB138_22
.LBB138_18:                             ; =>This Loop Header: Depth=1
                                        ;     Child Loop BB138_20 Depth 2
	v_ashrrev_i32_e32 v11, 31, v10
	v_lshlrev_b64 v[30:31], 2, v[10:11]
	v_mov_b32_e32 v33, v23
	v_add_co_u32_e32 v30, vcc, s10, v30
	v_addc_co_u32_e32 v31, vcc, v48, v31, vcc
	global_load_dword v11, v[30:31], off
	v_mov_b32_e32 v31, v27
	v_mov_b32_e32 v43, v15
	;; [unrolled: 1-line block ×7, first 2 shown]
	s_mov_b32 s3, 0
	v_mov_b32_e32 v32, v22
	v_mov_b32_e32 v30, v26
	v_mov_b32_e32 v42, v14
	v_mov_b32_e32 v44, v12
	v_mov_b32_e32 v38, v18
	v_mov_b32_e32 v40, v16
	v_mov_b32_e32 v34, v20
	v_mov_b32_e32 v36, v24
	s_waitcnt vmcnt(0)
	v_subrev_u32_e32 v11, s2, v11
	v_mul_lo_u32 v11, v11, 7
	s_branch .LBB138_20
.LBB138_19:                             ;   in Loop: Header=BB138_20 Depth=2
	s_andn2_b64 vcc, exec, s[8:9]
	s_cbranch_vccz .LBB138_17
.LBB138_20:                             ;   Parent Loop BB138_18 Depth=1
                                        ; =>  This Inner Loop Header: Depth=2
	v_add_u32_e32 v28, s3, v47
	v_lshlrev_b64 v[12:13], 4, v[28:29]
	v_add_u32_e32 v28, s3, v11
	v_mov_b32_e32 v24, s13
	v_add_co_u32_e32 v12, vcc, s12, v12
	v_lshlrev_b64 v[16:17], 4, v[28:29]
	v_addc_co_u32_e32 v13, vcc, v24, v13, vcc
	v_mov_b32_e32 v18, s15
	v_add_co_u32_e32 v16, vcc, s14, v16
	v_addc_co_u32_e32 v17, vcc, v18, v17, vcc
	v_add_u32_e32 v50, s3, v46
	global_load_dwordx4 v[51:54], v[16:17], off
	v_add_u32_e32 v16, 7, v50
	v_mov_b32_e32 v17, v29
	v_lshlrev_b64 v[16:17], 4, v[16:17]
	global_load_dwordx4 v[12:15], v[12:13], off
	v_add_co_u32_e32 v20, vcc, s12, v16
	v_addc_co_u32_e32 v21, vcc, v24, v17, vcc
	v_add_u32_e32 v16, 14, v50
	v_mov_b32_e32 v17, v29
	v_lshlrev_b64 v[16:17], 4, v[16:17]
	s_cmp_eq_u32 s3, 6
	v_add_co_u32_e32 v22, vcc, s12, v16
	v_addc_co_u32_e32 v23, vcc, v24, v17, vcc
	global_load_dwordx4 v[16:19], v[20:21], off
	global_load_dwordx4 v[55:58], v[22:23], off
	v_add_u32_e32 v20, 21, v50
	v_mov_b32_e32 v21, v29
	v_lshlrev_b64 v[20:21], 4, v[20:21]
	s_mov_b64 s[8:9], -1
	v_add_co_u32_e32 v20, vcc, s12, v20
	v_addc_co_u32_e32 v21, vcc, v24, v21, vcc
	global_load_dwordx4 v[59:62], v[20:21], off
	s_waitcnt vmcnt(3)
	v_fma_f64 v[20:21], v[12:13], v[51:52], v[30:31]
	v_fma_f64 v[22:23], v[14:15], v[51:52], v[32:33]
	v_fma_f64 v[26:27], -v[14:15], v[53:54], v[20:21]
	v_fma_f64 v[22:23], v[12:13], v[53:54], v[22:23]
	s_waitcnt vmcnt(2)
	v_fma_f64 v[24:25], v[16:17], v[51:52], v[34:35]
	v_fma_f64 v[30:31], v[18:19], v[51:52], v[36:37]
	s_waitcnt vmcnt(1)
	v_fma_f64 v[32:33], v[55:56], v[51:52], v[38:39]
	v_fma_f64 v[34:35], v[57:58], v[51:52], v[40:41]
                                        ; implicit-def: $vgpr40_vgpr41
	v_fma_f64 v[20:21], -v[18:19], v[53:54], v[24:25]
	v_fma_f64 v[24:25], v[16:17], v[53:54], v[30:31]
	s_waitcnt vmcnt(0)
	v_fma_f64 v[36:37], v[59:60], v[51:52], v[42:43]
	v_fma_f64 v[38:39], v[61:62], v[51:52], v[44:45]
	v_fma_f64 v[18:19], -v[57:58], v[53:54], v[32:33]
	v_fma_f64 v[16:17], v[55:56], v[53:54], v[34:35]
                                        ; implicit-def: $vgpr34_vgpr35
                                        ; implicit-def: $vgpr44_vgpr45
                                        ; implicit-def: $vgpr42_vgpr43
                                        ; implicit-def: $vgpr30_vgpr31
                                        ; implicit-def: $vgpr32_vgpr33
	v_fma_f64 v[14:15], -v[61:62], v[53:54], v[36:37]
	v_fma_f64 v[12:13], v[59:60], v[53:54], v[38:39]
                                        ; implicit-def: $vgpr36_vgpr37
                                        ; implicit-def: $vgpr38_vgpr39
	s_cbranch_scc1 .LBB138_19
; %bb.21:                               ;   in Loop: Header=BB138_20 Depth=2
	v_add_u32_e32 v30, 1, v50
	v_mov_b32_e32 v31, v29
	v_lshlrev_b64 v[30:31], 4, v[30:31]
	v_mov_b32_e32 v44, s13
	v_add_co_u32_e32 v30, vcc, s12, v30
	v_addc_co_u32_e32 v31, vcc, v44, v31, vcc
	v_add_u32_e32 v28, 1, v28
	global_load_dwordx4 v[32:35], v[30:31], off
	v_lshlrev_b64 v[30:31], 4, v[28:29]
	v_mov_b32_e32 v28, s15
	v_add_co_u32_e32 v30, vcc, s14, v30
	v_addc_co_u32_e32 v31, vcc, v28, v31, vcc
	global_load_dwordx4 v[51:54], v[30:31], off
	v_add_u32_e32 v28, 8, v50
	s_add_i32 s3, s3, 2
	s_mov_b64 s[8:9], 0
	s_waitcnt vmcnt(0)
	v_fma_f64 v[30:31], v[32:33], v[51:52], v[26:27]
	v_fma_f64 v[30:31], -v[34:35], v[53:54], v[30:31]
	v_fma_f64 v[34:35], v[34:35], v[51:52], v[22:23]
	v_fma_f64 v[32:33], v[32:33], v[53:54], v[34:35]
	v_lshlrev_b64 v[34:35], 4, v[28:29]
	v_add_u32_e32 v28, 15, v50
	v_add_co_u32_e32 v34, vcc, s12, v34
	v_addc_co_u32_e32 v35, vcc, v44, v35, vcc
	global_load_dwordx4 v[36:39], v[34:35], off
	s_waitcnt vmcnt(0)
	v_fma_f64 v[34:35], v[36:37], v[51:52], v[20:21]
	v_fma_f64 v[34:35], -v[38:39], v[53:54], v[34:35]
	v_fma_f64 v[38:39], v[38:39], v[51:52], v[24:25]
	v_fma_f64 v[36:37], v[36:37], v[53:54], v[38:39]
	v_lshlrev_b64 v[38:39], 4, v[28:29]
	v_add_u32_e32 v28, 22, v50
	v_add_co_u32_e32 v38, vcc, s12, v38
	v_addc_co_u32_e32 v39, vcc, v44, v39, vcc
	global_load_dwordx4 v[40:43], v[38:39], off
	s_waitcnt vmcnt(0)
	v_fma_f64 v[38:39], v[40:41], v[51:52], v[18:19]
	v_fma_f64 v[38:39], -v[42:43], v[53:54], v[38:39]
	v_fma_f64 v[42:43], v[42:43], v[51:52], v[16:17]
	v_fma_f64 v[40:41], v[40:41], v[53:54], v[42:43]
	v_lshlrev_b64 v[42:43], 4, v[28:29]
	v_add_co_u32_e32 v42, vcc, s12, v42
	v_addc_co_u32_e32 v43, vcc, v44, v43, vcc
	global_load_dwordx4 v[55:58], v[42:43], off
	s_waitcnt vmcnt(0)
	v_fma_f64 v[42:43], v[55:56], v[51:52], v[14:15]
	v_fma_f64 v[44:45], v[57:58], v[51:52], v[12:13]
	v_fma_f64 v[42:43], -v[57:58], v[53:54], v[42:43]
	v_fma_f64 v[44:45], v[55:56], v[53:54], v[44:45]
	s_branch .LBB138_19
.LBB138_22:
	s_or_b64 exec, exec, s[0:1]
.LBB138_23:
	s_or_b64 exec, exec, s[6:7]
.LBB138_24:
	v_mov_b32_dpp v10, v26 row_shr:1 row_mask:0xf bank_mask:0xf
	v_mov_b32_dpp v11, v27 row_shr:1 row_mask:0xf bank_mask:0xf
	v_add_f64 v[10:11], v[26:27], v[10:11]
	v_mov_b32_dpp v26, v22 row_shr:1 row_mask:0xf bank_mask:0xf
	v_mov_b32_dpp v27, v23 row_shr:1 row_mask:0xf bank_mask:0xf
	v_add_f64 v[22:23], v[22:23], v[26:27]
	v_mov_b32_dpp v26, v20 row_shr:1 row_mask:0xf bank_mask:0xf
	v_mov_b32_dpp v27, v21 row_shr:1 row_mask:0xf bank_mask:0xf
	v_add_f64 v[20:21], v[20:21], v[26:27]
	v_mov_b32_dpp v35, v16 row_shr:1 row_mask:0xf bank_mask:0xf
	v_mov_b32_dpp v28, v10 row_shr:2 row_mask:0xf bank_mask:0xf
	;; [unrolled: 1-line block ×3, first 2 shown]
	v_add_f64 v[10:11], v[10:11], v[28:29]
	v_mov_b32_dpp v28, v22 row_shr:2 row_mask:0xf bank_mask:0xf
	v_mov_b32_dpp v29, v23 row_shr:2 row_mask:0xf bank_mask:0xf
	v_add_f64 v[22:23], v[22:23], v[28:29]
	v_mov_b32_dpp v28, v24 row_shr:1 row_mask:0xf bank_mask:0xf
	v_mov_b32_dpp v29, v25 row_shr:1 row_mask:0xf bank_mask:0xf
	;; [unrolled: 3-line block ×3, first 2 shown]
	v_add_f64 v[20:21], v[20:21], v[28:29]
	v_mov_b32_dpp v36, v17 row_shr:1 row_mask:0xf bank_mask:0xf
	v_add_f64 v[16:17], v[16:17], v[35:36]
	v_mov_b32_dpp v35, v14 row_shr:1 row_mask:0xf bank_mask:0xf
	v_mov_b32_dpp v36, v15 row_shr:1 row_mask:0xf bank_mask:0xf
	;; [unrolled: 1-line block ×4, first 2 shown]
	v_add_f64 v[24:25], v[24:25], v[28:29]
	v_mov_b32_dpp v28, v18 row_shr:1 row_mask:0xf bank_mask:0xf
	v_mov_b32_dpp v29, v19 row_shr:1 row_mask:0xf bank_mask:0xf
	v_add_f64 v[28:29], v[18:19], v[28:29]
	v_add_f64 v[14:15], v[14:15], v[35:36]
	v_mov_b32_dpp v35, v12 row_shr:1 row_mask:0xf bank_mask:0xf
	v_mov_b32_dpp v36, v13 row_shr:1 row_mask:0xf bank_mask:0xf
	v_add_f64 v[12:13], v[12:13], v[35:36]
	v_mov_b32_dpp v26, v10 row_shr:4 row_mask:0xf bank_mask:0xe
	v_mov_b32_dpp v27, v11 row_shr:4 row_mask:0xf bank_mask:0xe
	;; [unrolled: 3-line block ×5, first 2 shown]
	v_mov_b32_dpp v36, v16 row_shr:2 row_mask:0xf bank_mask:0xf
	v_mov_b32_dpp v37, v17 row_shr:2 row_mask:0xf bank_mask:0xf
	v_add_f64 v[22:23], v[24:25], v[22:23]
	v_mov_b32_dpp v24, v28 row_shr:2 row_mask:0xf bank_mask:0xf
	v_mov_b32_dpp v25, v29 row_shr:2 row_mask:0xf bank_mask:0xf
	v_add_f64 v[16:17], v[16:17], v[36:37]
	;; [unrolled: 3-line block ×3, first 2 shown]
	v_add_f64 v[36:37], v[14:15], v[36:37]
	v_mov_b32_dpp v14, v12 row_shr:2 row_mask:0xf bank_mask:0xf
	v_mov_b32_dpp v15, v13 row_shr:2 row_mask:0xf bank_mask:0xf
	v_add_f64 v[38:39], v[12:13], v[14:15]
	v_mov_b32_dpp v14, v16 row_shr:4 row_mask:0xf bank_mask:0xe
	v_mov_b32_dpp v15, v17 row_shr:4 row_mask:0xf bank_mask:0xe
	;; [unrolled: 3-line block ×3, first 2 shown]
	v_mov_b32_dpp v16, v36 row_shr:4 row_mask:0xf bank_mask:0xe
	v_mov_b32_dpp v17, v37 row_shr:4 row_mask:0xf bank_mask:0xe
	v_add_f64 v[12:13], v[32:33], v[34:35]
	v_add_f64 v[34:35], v[36:37], v[16:17]
	v_mov_b32_dpp v16, v38 row_shr:4 row_mask:0xf bank_mask:0xe
	v_mov_b32_dpp v17, v39 row_shr:4 row_mask:0xf bank_mask:0xe
	v_add_f64 v[32:33], v[38:39], v[16:17]
	v_mov_b32_dpp v30, v10 row_shr:8 row_mask:0xf bank_mask:0xc
	v_mov_b32_dpp v31, v11 row_shr:8 row_mask:0xf bank_mask:0xc
	;; [unrolled: 1-line block ×16, first 2 shown]
	v_cmp_eq_u32_e32 vcc, 15, v0
	s_and_b64 exec, exec, vcc
	s_cbranch_execz .LBB138_29
; %bb.25:
	v_cmp_eq_f64_e32 vcc, 0, v[5:6]
	v_cmp_eq_f64_e64 s[0:1], 0, v[7:8]
	v_add_f64 v[16:17], v[10:11], v[30:31]
	v_add_f64 v[24:25], v[18:19], v[24:25]
	;; [unrolled: 1-line block ×8, first 2 shown]
	s_load_dwordx2 s[2:3], s[4:5], 0x48
	s_and_b64 s[0:1], vcc, s[0:1]
	s_and_saveexec_b64 s[4:5], s[0:1]
	s_xor_b64 s[0:1], exec, s[4:5]
	s_cbranch_execz .LBB138_27
; %bb.26:
	v_mul_f64 v[5:6], v[24:25], -v[3:4]
	v_mul_f64 v[7:8], v[1:2], v[24:25]
	v_mul_f64 v[26:27], v[22:23], -v[3:4]
	v_mul_f64 v[22:23], v[1:2], v[22:23]
	;; [unrolled: 2-line block ×4, first 2 shown]
	v_fma_f64 v[5:6], v[1:2], v[16:17], v[5:6]
	v_fma_f64 v[7:8], v[3:4], v[16:17], v[7:8]
	v_fma_f64 v[16:17], v[1:2], v[10:11], v[26:27]
	v_fma_f64 v[18:19], v[3:4], v[10:11], v[22:23]
	v_lshlrev_b32_e32 v24, 2, v9
	v_fma_f64 v[9:10], v[1:2], v[12:13], v[28:29]
	v_fma_f64 v[11:12], v[3:4], v[12:13], v[20:21]
	v_ashrrev_i32_e32 v25, 31, v24
	v_fma_f64 v[0:1], v[1:2], v[14:15], v[30:31]
	v_fma_f64 v[2:3], v[3:4], v[14:15], v[32:33]
	v_lshlrev_b64 v[24:25], 4, v[24:25]
	s_waitcnt lgkmcnt(0)
	v_mov_b32_e32 v34, s3
	v_add_co_u32_e32 v13, vcc, s2, v24
	v_addc_co_u32_e32 v14, vcc, v34, v25, vcc
	global_store_dwordx4 v[13:14], v[5:8], off
	global_store_dwordx4 v[13:14], v[16:19], off offset:16
	global_store_dwordx4 v[13:14], v[9:12], off offset:32
	;; [unrolled: 1-line block ×3, first 2 shown]
                                        ; implicit-def: $vgpr9
                                        ; implicit-def: $vgpr16_vgpr17
                                        ; implicit-def: $vgpr24_vgpr25
                                        ; implicit-def: $vgpr10_vgpr11
                                        ; implicit-def: $vgpr22_vgpr23
                                        ; implicit-def: $vgpr12_vgpr13
                                        ; implicit-def: $vgpr20_vgpr21
                                        ; implicit-def: $vgpr14_vgpr15
                                        ; implicit-def: $vgpr18_vgpr19
                                        ; implicit-def: $vgpr7_vgpr8
                                        ; implicit-def: $vgpr3_vgpr4
.LBB138_27:
	s_andn2_saveexec_b64 s[0:1], s[0:1]
	s_cbranch_execz .LBB138_29
; %bb.28:
	v_lshlrev_b32_e32 v26, 2, v9
	v_ashrrev_i32_e32 v27, 31, v26
	v_lshlrev_b64 v[26:27], 4, v[26:27]
	s_waitcnt lgkmcnt(0)
	v_mov_b32_e32 v0, s3
	v_add_co_u32_e32 v42, vcc, s2, v26
	v_addc_co_u32_e32 v43, vcc, v0, v27, vcc
	global_load_dwordx4 v[26:29], v[42:43], off
	global_load_dwordx4 v[30:33], v[42:43], off offset:16
	global_load_dwordx4 v[34:37], v[42:43], off offset:32
	;; [unrolled: 1-line block ×3, first 2 shown]
	v_mul_f64 v[44:45], v[24:25], -v[3:4]
	v_mul_f64 v[24:25], v[1:2], v[24:25]
	v_mul_f64 v[46:47], v[22:23], -v[3:4]
	v_mul_f64 v[22:23], v[1:2], v[22:23]
	;; [unrolled: 2-line block ×4, first 2 shown]
	v_fma_f64 v[44:45], v[1:2], v[16:17], v[44:45]
	v_fma_f64 v[16:17], v[3:4], v[16:17], v[24:25]
	;; [unrolled: 1-line block ×8, first 2 shown]
	s_waitcnt vmcnt(3)
	v_fma_f64 v[13:14], v[5:6], v[26:27], v[44:45]
	v_fma_f64 v[15:16], v[7:8], v[26:27], v[16:17]
	s_waitcnt vmcnt(2)
	v_fma_f64 v[17:18], v[5:6], v[30:31], v[24:25]
	v_fma_f64 v[19:20], v[7:8], v[30:31], v[9:10]
	;; [unrolled: 3-line block ×4, first 2 shown]
	v_fma_f64 v[0:1], -v[7:8], v[28:29], v[13:14]
	v_fma_f64 v[2:3], v[5:6], v[28:29], v[15:16]
	v_fma_f64 v[9:10], -v[7:8], v[32:33], v[17:18]
	v_fma_f64 v[11:12], v[5:6], v[32:33], v[19:20]
	;; [unrolled: 2-line block ×4, first 2 shown]
	global_store_dwordx4 v[42:43], v[0:3], off
	global_store_dwordx4 v[42:43], v[9:12], off offset:16
	global_store_dwordx4 v[42:43], v[13:16], off offset:32
	;; [unrolled: 1-line block ×3, first 2 shown]
.LBB138_29:
	s_endpgm
	.section	.rodata,"a",@progbits
	.p2align	6, 0x0
	.amdhsa_kernel _ZN9rocsparseL19gebsrmvn_4xn_kernelILj128ELj7ELj16E21rocsparse_complex_numIdEEEvi20rocsparse_direction_NS_24const_host_device_scalarIT2_EEPKiS8_PKS5_SA_S6_PS5_21rocsparse_index_base_b
		.amdhsa_group_segment_fixed_size 0
		.amdhsa_private_segment_fixed_size 0
		.amdhsa_kernarg_size 88
		.amdhsa_user_sgpr_count 6
		.amdhsa_user_sgpr_private_segment_buffer 1
		.amdhsa_user_sgpr_dispatch_ptr 0
		.amdhsa_user_sgpr_queue_ptr 0
		.amdhsa_user_sgpr_kernarg_segment_ptr 1
		.amdhsa_user_sgpr_dispatch_id 0
		.amdhsa_user_sgpr_flat_scratch_init 0
		.amdhsa_user_sgpr_private_segment_size 0
		.amdhsa_uses_dynamic_stack 0
		.amdhsa_system_sgpr_private_segment_wavefront_offset 0
		.amdhsa_system_sgpr_workgroup_id_x 1
		.amdhsa_system_sgpr_workgroup_id_y 0
		.amdhsa_system_sgpr_workgroup_id_z 0
		.amdhsa_system_sgpr_workgroup_info 0
		.amdhsa_system_vgpr_workitem_id 0
		.amdhsa_next_free_vgpr 66
		.amdhsa_next_free_sgpr 16
		.amdhsa_reserve_vcc 1
		.amdhsa_reserve_flat_scratch 0
		.amdhsa_float_round_mode_32 0
		.amdhsa_float_round_mode_16_64 0
		.amdhsa_float_denorm_mode_32 3
		.amdhsa_float_denorm_mode_16_64 3
		.amdhsa_dx10_clamp 1
		.amdhsa_ieee_mode 1
		.amdhsa_fp16_overflow 0
		.amdhsa_exception_fp_ieee_invalid_op 0
		.amdhsa_exception_fp_denorm_src 0
		.amdhsa_exception_fp_ieee_div_zero 0
		.amdhsa_exception_fp_ieee_overflow 0
		.amdhsa_exception_fp_ieee_underflow 0
		.amdhsa_exception_fp_ieee_inexact 0
		.amdhsa_exception_int_div_zero 0
	.end_amdhsa_kernel
	.section	.text._ZN9rocsparseL19gebsrmvn_4xn_kernelILj128ELj7ELj16E21rocsparse_complex_numIdEEEvi20rocsparse_direction_NS_24const_host_device_scalarIT2_EEPKiS8_PKS5_SA_S6_PS5_21rocsparse_index_base_b,"axG",@progbits,_ZN9rocsparseL19gebsrmvn_4xn_kernelILj128ELj7ELj16E21rocsparse_complex_numIdEEEvi20rocsparse_direction_NS_24const_host_device_scalarIT2_EEPKiS8_PKS5_SA_S6_PS5_21rocsparse_index_base_b,comdat
.Lfunc_end138:
	.size	_ZN9rocsparseL19gebsrmvn_4xn_kernelILj128ELj7ELj16E21rocsparse_complex_numIdEEEvi20rocsparse_direction_NS_24const_host_device_scalarIT2_EEPKiS8_PKS5_SA_S6_PS5_21rocsparse_index_base_b, .Lfunc_end138-_ZN9rocsparseL19gebsrmvn_4xn_kernelILj128ELj7ELj16E21rocsparse_complex_numIdEEEvi20rocsparse_direction_NS_24const_host_device_scalarIT2_EEPKiS8_PKS5_SA_S6_PS5_21rocsparse_index_base_b
                                        ; -- End function
	.set _ZN9rocsparseL19gebsrmvn_4xn_kernelILj128ELj7ELj16E21rocsparse_complex_numIdEEEvi20rocsparse_direction_NS_24const_host_device_scalarIT2_EEPKiS8_PKS5_SA_S6_PS5_21rocsparse_index_base_b.num_vgpr, 66
	.set _ZN9rocsparseL19gebsrmvn_4xn_kernelILj128ELj7ELj16E21rocsparse_complex_numIdEEEvi20rocsparse_direction_NS_24const_host_device_scalarIT2_EEPKiS8_PKS5_SA_S6_PS5_21rocsparse_index_base_b.num_agpr, 0
	.set _ZN9rocsparseL19gebsrmvn_4xn_kernelILj128ELj7ELj16E21rocsparse_complex_numIdEEEvi20rocsparse_direction_NS_24const_host_device_scalarIT2_EEPKiS8_PKS5_SA_S6_PS5_21rocsparse_index_base_b.numbered_sgpr, 16
	.set _ZN9rocsparseL19gebsrmvn_4xn_kernelILj128ELj7ELj16E21rocsparse_complex_numIdEEEvi20rocsparse_direction_NS_24const_host_device_scalarIT2_EEPKiS8_PKS5_SA_S6_PS5_21rocsparse_index_base_b.num_named_barrier, 0
	.set _ZN9rocsparseL19gebsrmvn_4xn_kernelILj128ELj7ELj16E21rocsparse_complex_numIdEEEvi20rocsparse_direction_NS_24const_host_device_scalarIT2_EEPKiS8_PKS5_SA_S6_PS5_21rocsparse_index_base_b.private_seg_size, 0
	.set _ZN9rocsparseL19gebsrmvn_4xn_kernelILj128ELj7ELj16E21rocsparse_complex_numIdEEEvi20rocsparse_direction_NS_24const_host_device_scalarIT2_EEPKiS8_PKS5_SA_S6_PS5_21rocsparse_index_base_b.uses_vcc, 1
	.set _ZN9rocsparseL19gebsrmvn_4xn_kernelILj128ELj7ELj16E21rocsparse_complex_numIdEEEvi20rocsparse_direction_NS_24const_host_device_scalarIT2_EEPKiS8_PKS5_SA_S6_PS5_21rocsparse_index_base_b.uses_flat_scratch, 0
	.set _ZN9rocsparseL19gebsrmvn_4xn_kernelILj128ELj7ELj16E21rocsparse_complex_numIdEEEvi20rocsparse_direction_NS_24const_host_device_scalarIT2_EEPKiS8_PKS5_SA_S6_PS5_21rocsparse_index_base_b.has_dyn_sized_stack, 0
	.set _ZN9rocsparseL19gebsrmvn_4xn_kernelILj128ELj7ELj16E21rocsparse_complex_numIdEEEvi20rocsparse_direction_NS_24const_host_device_scalarIT2_EEPKiS8_PKS5_SA_S6_PS5_21rocsparse_index_base_b.has_recursion, 0
	.set _ZN9rocsparseL19gebsrmvn_4xn_kernelILj128ELj7ELj16E21rocsparse_complex_numIdEEEvi20rocsparse_direction_NS_24const_host_device_scalarIT2_EEPKiS8_PKS5_SA_S6_PS5_21rocsparse_index_base_b.has_indirect_call, 0
	.section	.AMDGPU.csdata,"",@progbits
; Kernel info:
; codeLenInByte = 3460
; TotalNumSgprs: 20
; NumVgprs: 66
; ScratchSize: 0
; MemoryBound: 0
; FloatMode: 240
; IeeeMode: 1
; LDSByteSize: 0 bytes/workgroup (compile time only)
; SGPRBlocks: 2
; VGPRBlocks: 16
; NumSGPRsForWavesPerEU: 20
; NumVGPRsForWavesPerEU: 66
; Occupancy: 3
; WaveLimiterHint : 1
; COMPUTE_PGM_RSRC2:SCRATCH_EN: 0
; COMPUTE_PGM_RSRC2:USER_SGPR: 6
; COMPUTE_PGM_RSRC2:TRAP_HANDLER: 0
; COMPUTE_PGM_RSRC2:TGID_X_EN: 1
; COMPUTE_PGM_RSRC2:TGID_Y_EN: 0
; COMPUTE_PGM_RSRC2:TGID_Z_EN: 0
; COMPUTE_PGM_RSRC2:TIDIG_COMP_CNT: 0
	.section	.text._ZN9rocsparseL19gebsrmvn_4xn_kernelILj128ELj7ELj32E21rocsparse_complex_numIdEEEvi20rocsparse_direction_NS_24const_host_device_scalarIT2_EEPKiS8_PKS5_SA_S6_PS5_21rocsparse_index_base_b,"axG",@progbits,_ZN9rocsparseL19gebsrmvn_4xn_kernelILj128ELj7ELj32E21rocsparse_complex_numIdEEEvi20rocsparse_direction_NS_24const_host_device_scalarIT2_EEPKiS8_PKS5_SA_S6_PS5_21rocsparse_index_base_b,comdat
	.globl	_ZN9rocsparseL19gebsrmvn_4xn_kernelILj128ELj7ELj32E21rocsparse_complex_numIdEEEvi20rocsparse_direction_NS_24const_host_device_scalarIT2_EEPKiS8_PKS5_SA_S6_PS5_21rocsparse_index_base_b ; -- Begin function _ZN9rocsparseL19gebsrmvn_4xn_kernelILj128ELj7ELj32E21rocsparse_complex_numIdEEEvi20rocsparse_direction_NS_24const_host_device_scalarIT2_EEPKiS8_PKS5_SA_S6_PS5_21rocsparse_index_base_b
	.p2align	8
	.type	_ZN9rocsparseL19gebsrmvn_4xn_kernelILj128ELj7ELj32E21rocsparse_complex_numIdEEEvi20rocsparse_direction_NS_24const_host_device_scalarIT2_EEPKiS8_PKS5_SA_S6_PS5_21rocsparse_index_base_b,@function
_ZN9rocsparseL19gebsrmvn_4xn_kernelILj128ELj7ELj32E21rocsparse_complex_numIdEEEvi20rocsparse_direction_NS_24const_host_device_scalarIT2_EEPKiS8_PKS5_SA_S6_PS5_21rocsparse_index_base_b: ; @_ZN9rocsparseL19gebsrmvn_4xn_kernelILj128ELj7ELj32E21rocsparse_complex_numIdEEEvi20rocsparse_direction_NS_24const_host_device_scalarIT2_EEPKiS8_PKS5_SA_S6_PS5_21rocsparse_index_base_b
; %bb.0:
	s_load_dwordx2 s[0:1], s[4:5], 0x8
	s_load_dwordx2 s[8:9], s[4:5], 0x38
	s_load_dwordx2 s[2:3], s[4:5], 0x50
	s_add_u32 s7, s4, 8
	s_addc_u32 s10, s5, 0
	s_add_u32 s11, s4, 56
	s_addc_u32 s12, s5, 0
	s_waitcnt lgkmcnt(0)
	s_bitcmp1_b32 s3, 0
	s_cselect_b32 s1, s10, s1
	s_cselect_b32 s0, s7, s0
	v_mov_b32_e32 v1, s0
	v_mov_b32_e32 v2, s1
	flat_load_dwordx4 v[1:4], v[1:2]
	s_cselect_b32 s0, s12, s9
	s_cselect_b32 s1, s11, s8
	v_mov_b32_e32 v5, s1
	v_mov_b32_e32 v6, s0
	flat_load_dwordx4 v[5:8], v[5:6]
	s_waitcnt vmcnt(0) lgkmcnt(0)
	v_cmp_eq_f64_e32 vcc, 0, v[1:2]
	v_cmp_eq_f64_e64 s[0:1], 0, v[3:4]
	s_and_b64 s[10:11], vcc, s[0:1]
	s_mov_b64 s[0:1], -1
	s_and_saveexec_b64 s[8:9], s[10:11]
	s_cbranch_execz .LBB139_2
; %bb.1:
	v_cmp_neq_f64_e32 vcc, 1.0, v[5:6]
	v_cmp_neq_f64_e64 s[0:1], 0, v[7:8]
	s_or_b64 s[0:1], vcc, s[0:1]
	s_orn2_b64 s[0:1], s[0:1], exec
.LBB139_2:
	s_or_b64 exec, exec, s[8:9]
	s_and_saveexec_b64 s[8:9], s[0:1]
	s_cbranch_execz .LBB139_29
; %bb.3:
	s_load_dwordx2 s[0:1], s[4:5], 0x0
	v_lshrrev_b32_e32 v9, 5, v0
	v_lshl_or_b32 v9, s6, 2, v9
	s_waitcnt lgkmcnt(0)
	v_cmp_gt_i32_e32 vcc, s0, v9
	s_and_b64 exec, exec, vcc
	s_cbranch_execz .LBB139_29
; %bb.4:
	s_load_dwordx8 s[8:15], s[4:5], 0x18
	v_ashrrev_i32_e32 v10, 31, v9
	v_lshlrev_b64 v[10:11], 2, v[9:10]
	v_and_b32_e32 v0, 31, v0
	s_cmp_lg_u32 s1, 0
	s_waitcnt lgkmcnt(0)
	v_mov_b32_e32 v12, s9
	v_add_co_u32_e32 v10, vcc, s8, v10
	v_addc_co_u32_e32 v11, vcc, v12, v11, vcc
	global_load_dwordx2 v[11:12], v[10:11], off
	s_waitcnt vmcnt(0)
	v_subrev_u32_e32 v10, s2, v11
	v_subrev_u32_e32 v49, s2, v12
	v_add_u32_e32 v10, v10, v0
	v_cmp_lt_i32_e64 s[0:1], v10, v49
	s_cbranch_scc0 .LBB139_12
; %bb.5:
	v_mov_b32_e32 v24, 0
	v_mov_b32_e32 v26, 0
	;; [unrolled: 1-line block ×16, first 2 shown]
	s_and_saveexec_b64 s[6:7], s[0:1]
	s_cbranch_execz .LBB139_14
; %bb.6:
	v_mul_lo_u32 v50, v10, 28
	v_mov_b32_e32 v24, 0
	v_mov_b32_e32 v26, 0
	;; [unrolled: 1-line block ×9, first 2 shown]
	s_mov_b64 s[8:9], 0
	v_mov_b32_e32 v51, s11
	v_mov_b32_e32 v29, 0
	;; [unrolled: 1-line block ×11, first 2 shown]
	s_branch .LBB139_8
.LBB139_7:                              ;   in Loop: Header=BB139_8 Depth=1
	v_add_u32_e32 v30, 32, v30
	v_cmp_ge_i32_e32 vcc, v30, v49
	s_or_b64 s[8:9], vcc, s[8:9]
	v_add_u32_e32 v50, 0x380, v50
	s_andn2_b64 exec, exec, s[8:9]
	s_cbranch_execz .LBB139_13
.LBB139_8:                              ; =>This Loop Header: Depth=1
                                        ;     Child Loop BB139_10 Depth 2
	v_ashrrev_i32_e32 v31, 31, v30
	v_lshlrev_b64 v[31:32], 2, v[30:31]
	v_mov_b32_e32 v46, v13
	v_add_co_u32_e32 v31, vcc, s10, v31
	v_addc_co_u32_e32 v32, vcc, v51, v32, vcc
	global_load_dword v35, v[31:32], off
	v_mov_b32_e32 v45, v12
	v_mov_b32_e32 v34, v25
	;; [unrolled: 1-line block ×7, first 2 shown]
	s_mov_b32 s3, 0
	v_mov_b32_e32 v28, v50
	v_mov_b32_e32 v33, v24
	;; [unrolled: 1-line block ×7, first 2 shown]
	s_waitcnt vmcnt(0)
	v_subrev_u32_e32 v12, s2, v35
	v_mul_lo_u32 v53, v12, 7
	v_mov_b32_e32 v36, v23
	v_mov_b32_e32 v35, v22
	s_branch .LBB139_10
.LBB139_9:                              ;   in Loop: Header=BB139_8 Depth=1
                                        ; implicit-def: $vgpr37_vgpr38
                                        ; implicit-def: $vgpr35_vgpr36
                                        ; implicit-def: $vgpr43_vgpr44
                                        ; implicit-def: $vgpr41_vgpr42
                                        ; implicit-def: $vgpr45_vgpr46
                                        ; implicit-def: $vgpr39_vgpr40
                                        ; implicit-def: $vgpr31_vgpr32
                                        ; implicit-def: $vgpr33_vgpr34
                                        ; implicit-def: $sgpr3
	s_branch .LBB139_7
.LBB139_10:                             ;   Parent Loop BB139_8 Depth=1
                                        ; =>  This Inner Loop Header: Depth=2
	v_lshlrev_b64 v[12:13], 4, v[28:29]
	v_add_u32_e32 v47, s3, v53
	v_add_co_u32_e32 v20, vcc, s12, v12
	v_mov_b32_e32 v48, v29
	v_addc_co_u32_e32 v21, vcc, v52, v13, vcc
	v_lshlrev_b64 v[12:13], 4, v[47:48]
	v_mov_b32_e32 v14, s15
	v_add_co_u32_e32 v22, vcc, s14, v12
	v_addc_co_u32_e32 v23, vcc, v14, v13, vcc
	global_load_dwordx4 v[54:57], v[22:23], off
	global_load_dwordx4 v[12:15], v[20:21], off
	global_load_dwordx4 v[16:19], v[20:21], off offset:16
	global_load_dwordx4 v[58:61], v[20:21], off offset:32
	;; [unrolled: 1-line block ×3, first 2 shown]
	s_cmp_eq_u32 s3, 6
	s_waitcnt vmcnt(3)
	v_fma_f64 v[20:21], v[12:13], v[54:55], v[31:32]
	v_fma_f64 v[22:23], v[14:15], v[54:55], v[33:34]
	s_waitcnt vmcnt(2)
	v_fma_f64 v[31:32], v[16:17], v[54:55], v[35:36]
	v_fma_f64 v[33:34], v[18:19], v[54:55], v[37:38]
	;; [unrolled: 3-line block ×4, first 2 shown]
	v_fma_f64 v[26:27], -v[14:15], v[56:57], v[20:21]
	v_fma_f64 v[24:25], v[12:13], v[56:57], v[22:23]
	v_fma_f64 v[22:23], -v[18:19], v[56:57], v[31:32]
	v_fma_f64 v[20:21], v[16:17], v[56:57], v[33:34]
	;; [unrolled: 2-line block ×4, first 2 shown]
	s_cbranch_scc1 .LBB139_9
; %bb.11:                               ;   in Loop: Header=BB139_10 Depth=2
	v_add_u32_e32 v31, 4, v28
	v_mov_b32_e32 v32, v29
	v_lshlrev_b64 v[31:32], 4, v[31:32]
	v_mov_b32_e32 v33, s13
	v_add_co_u32_e32 v31, vcc, s12, v31
	v_addc_co_u32_e32 v32, vcc, v33, v32, vcc
	global_load_dwordx4 v[54:57], v[31:32], off offset:48
	global_load_dwordx4 v[43:46], v[31:32], off offset:32
	;; [unrolled: 1-line block ×3, first 2 shown]
	global_load_dwordx4 v[33:36], v[31:32], off
	v_add_u32_e32 v31, 1, v47
	v_mov_b32_e32 v32, v29
	v_lshlrev_b64 v[31:32], 4, v[31:32]
	v_mov_b32_e32 v41, s15
	v_add_co_u32_e32 v31, vcc, s14, v31
	v_addc_co_u32_e32 v32, vcc, v41, v32, vcc
	global_load_dwordx4 v[58:61], v[31:32], off
	s_add_i32 s3, s3, 2
	v_add_u32_e32 v28, 8, v28
	s_waitcnt vmcnt(0)
	v_fma_f64 v[31:32], v[33:34], v[58:59], v[26:27]
	v_fma_f64 v[31:32], -v[35:36], v[60:61], v[31:32]
	v_fma_f64 v[35:36], v[35:36], v[58:59], v[24:25]
	v_fma_f64 v[33:34], v[33:34], v[60:61], v[35:36]
	v_fma_f64 v[35:36], v[37:38], v[58:59], v[22:23]
	v_fma_f64 v[35:36], -v[39:40], v[60:61], v[35:36]
	v_fma_f64 v[39:40], v[39:40], v[58:59], v[20:21]
	v_fma_f64 v[37:38], v[37:38], v[60:61], v[39:40]
	;; [unrolled: 4-line block ×3, first 2 shown]
	v_fma_f64 v[43:44], v[43:44], v[60:61], v[39:40]
	v_fma_f64 v[39:40], v[54:55], v[58:59], v[14:15]
	;; [unrolled: 1-line block ×3, first 2 shown]
	v_fma_f64 v[39:40], -v[56:57], v[60:61], v[39:40]
	s_cbranch_execnz .LBB139_10
	s_branch .LBB139_7
.LBB139_12:
                                        ; implicit-def: $vgpr24_vgpr25
                                        ; implicit-def: $vgpr26_vgpr27
                                        ; implicit-def: $vgpr14_vgpr15
                                        ; implicit-def: $vgpr12_vgpr13
                                        ; implicit-def: $vgpr18_vgpr19
                                        ; implicit-def: $vgpr16_vgpr17
                                        ; implicit-def: $vgpr22_vgpr23
                                        ; implicit-def: $vgpr20_vgpr21
	s_branch .LBB139_15
.LBB139_13:
	s_or_b64 exec, exec, s[8:9]
.LBB139_14:
	s_or_b64 exec, exec, s[6:7]
	s_cbranch_execnz .LBB139_24
.LBB139_15:
	v_mov_b32_e32 v24, 0
	v_mov_b32_e32 v26, 0
	;; [unrolled: 1-line block ×16, first 2 shown]
	s_and_saveexec_b64 s[6:7], s[0:1]
	s_cbranch_execz .LBB139_23
; %bb.16:
	v_mul_lo_u32 v11, v11, 28
	v_mul_lo_u32 v46, v10, 28
	s_mul_i32 s0, s2, 28
	v_mov_b32_e32 v24, 0
	v_mad_u32_u24 v11, v0, 28, v11
	v_mov_b32_e32 v26, 0
	v_mov_b32_e32 v14, 0
	;; [unrolled: 1-line block ×8, first 2 shown]
	v_subrev_u32_e32 v47, s0, v11
	s_mov_b64 s[0:1], 0
	v_mov_b32_e32 v48, s11
	v_mov_b32_e32 v27, 0
	;; [unrolled: 1-line block ×9, first 2 shown]
	s_branch .LBB139_18
.LBB139_17:                             ;   in Loop: Header=BB139_18 Depth=1
	v_add_u32_e32 v10, 32, v10
	v_cmp_ge_i32_e32 vcc, v10, v49
	v_add_u32_e32 v46, 0x380, v46
	s_or_b64 s[0:1], vcc, s[0:1]
	v_add_u32_e32 v47, 0x380, v47
	s_andn2_b64 exec, exec, s[0:1]
	s_cbranch_execz .LBB139_22
.LBB139_18:                             ; =>This Loop Header: Depth=1
                                        ;     Child Loop BB139_20 Depth 2
	v_ashrrev_i32_e32 v11, 31, v10
	v_lshlrev_b64 v[30:31], 2, v[10:11]
	v_mov_b32_e32 v33, v25
	v_add_co_u32_e32 v30, vcc, s10, v30
	v_addc_co_u32_e32 v31, vcc, v48, v31, vcc
	global_load_dword v11, v[30:31], off
	v_mov_b32_e32 v31, v27
	v_mov_b32_e32 v43, v15
	v_mov_b32_e32 v45, v13
	v_mov_b32_e32 v39, v19
	v_mov_b32_e32 v41, v17
	v_mov_b32_e32 v35, v23
	v_mov_b32_e32 v37, v21
	s_mov_b32 s3, 0
	v_mov_b32_e32 v32, v24
	v_mov_b32_e32 v30, v26
	;; [unrolled: 1-line block ×8, first 2 shown]
	s_waitcnt vmcnt(0)
	v_subrev_u32_e32 v11, s2, v11
	v_mul_lo_u32 v11, v11, 7
	s_branch .LBB139_20
.LBB139_19:                             ;   in Loop: Header=BB139_20 Depth=2
	s_andn2_b64 vcc, exec, s[8:9]
	s_cbranch_vccz .LBB139_17
.LBB139_20:                             ;   Parent Loop BB139_18 Depth=1
                                        ; =>  This Inner Loop Header: Depth=2
	v_add_u32_e32 v28, s3, v47
	v_lshlrev_b64 v[12:13], 4, v[28:29]
	v_add_u32_e32 v28, s3, v11
	v_mov_b32_e32 v24, s13
	v_add_co_u32_e32 v12, vcc, s12, v12
	v_lshlrev_b64 v[16:17], 4, v[28:29]
	v_addc_co_u32_e32 v13, vcc, v24, v13, vcc
	v_mov_b32_e32 v18, s15
	v_add_co_u32_e32 v16, vcc, s14, v16
	v_addc_co_u32_e32 v17, vcc, v18, v17, vcc
	v_add_u32_e32 v50, s3, v46
	global_load_dwordx4 v[51:54], v[16:17], off
	v_add_u32_e32 v16, 7, v50
	v_mov_b32_e32 v17, v29
	v_lshlrev_b64 v[16:17], 4, v[16:17]
	global_load_dwordx4 v[12:15], v[12:13], off
	v_add_co_u32_e32 v20, vcc, s12, v16
	v_addc_co_u32_e32 v21, vcc, v24, v17, vcc
	v_add_u32_e32 v16, 14, v50
	v_mov_b32_e32 v17, v29
	v_lshlrev_b64 v[16:17], 4, v[16:17]
	s_cmp_eq_u32 s3, 6
	v_add_co_u32_e32 v22, vcc, s12, v16
	v_addc_co_u32_e32 v23, vcc, v24, v17, vcc
	global_load_dwordx4 v[16:19], v[20:21], off
	global_load_dwordx4 v[55:58], v[22:23], off
	v_add_u32_e32 v20, 21, v50
	v_mov_b32_e32 v21, v29
	v_lshlrev_b64 v[20:21], 4, v[20:21]
	s_mov_b64 s[8:9], -1
	v_add_co_u32_e32 v20, vcc, s12, v20
	v_addc_co_u32_e32 v21, vcc, v24, v21, vcc
	global_load_dwordx4 v[59:62], v[20:21], off
	s_waitcnt vmcnt(3)
	v_fma_f64 v[20:21], v[12:13], v[51:52], v[30:31]
	v_fma_f64 v[22:23], v[14:15], v[51:52], v[32:33]
	v_fma_f64 v[26:27], -v[14:15], v[53:54], v[20:21]
	v_fma_f64 v[24:25], v[12:13], v[53:54], v[22:23]
	s_waitcnt vmcnt(2)
	v_fma_f64 v[30:31], v[16:17], v[51:52], v[34:35]
	v_fma_f64 v[32:33], v[18:19], v[51:52], v[36:37]
	s_waitcnt vmcnt(1)
	v_fma_f64 v[34:35], v[55:56], v[51:52], v[38:39]
	v_fma_f64 v[36:37], v[57:58], v[51:52], v[40:41]
	v_fma_f64 v[22:23], -v[18:19], v[53:54], v[30:31]
	v_fma_f64 v[20:21], v[16:17], v[53:54], v[32:33]
	s_waitcnt vmcnt(0)
	v_fma_f64 v[38:39], v[59:60], v[51:52], v[42:43]
	v_fma_f64 v[40:41], v[61:62], v[51:52], v[44:45]
	v_fma_f64 v[18:19], -v[57:58], v[53:54], v[34:35]
	v_fma_f64 v[16:17], v[55:56], v[53:54], v[36:37]
                                        ; implicit-def: $vgpr36_vgpr37
                                        ; implicit-def: $vgpr34_vgpr35
                                        ; implicit-def: $vgpr44_vgpr45
                                        ; implicit-def: $vgpr42_vgpr43
                                        ; implicit-def: $vgpr30_vgpr31
                                        ; implicit-def: $vgpr32_vgpr33
	v_fma_f64 v[14:15], -v[61:62], v[53:54], v[38:39]
	v_fma_f64 v[12:13], v[59:60], v[53:54], v[40:41]
                                        ; implicit-def: $vgpr40_vgpr41
                                        ; implicit-def: $vgpr38_vgpr39
	s_cbranch_scc1 .LBB139_19
; %bb.21:                               ;   in Loop: Header=BB139_20 Depth=2
	v_add_u32_e32 v30, 1, v50
	v_mov_b32_e32 v31, v29
	v_lshlrev_b64 v[30:31], 4, v[30:31]
	v_mov_b32_e32 v44, s13
	v_add_co_u32_e32 v30, vcc, s12, v30
	v_addc_co_u32_e32 v31, vcc, v44, v31, vcc
	v_add_u32_e32 v28, 1, v28
	global_load_dwordx4 v[32:35], v[30:31], off
	v_lshlrev_b64 v[30:31], 4, v[28:29]
	v_mov_b32_e32 v28, s15
	v_add_co_u32_e32 v30, vcc, s14, v30
	v_addc_co_u32_e32 v31, vcc, v28, v31, vcc
	global_load_dwordx4 v[51:54], v[30:31], off
	v_add_u32_e32 v28, 8, v50
	s_add_i32 s3, s3, 2
	s_mov_b64 s[8:9], 0
	s_waitcnt vmcnt(0)
	v_fma_f64 v[30:31], v[32:33], v[51:52], v[26:27]
	v_fma_f64 v[30:31], -v[34:35], v[53:54], v[30:31]
	v_fma_f64 v[34:35], v[34:35], v[51:52], v[24:25]
	v_fma_f64 v[32:33], v[32:33], v[53:54], v[34:35]
	v_lshlrev_b64 v[34:35], 4, v[28:29]
	v_add_u32_e32 v28, 15, v50
	v_add_co_u32_e32 v34, vcc, s12, v34
	v_addc_co_u32_e32 v35, vcc, v44, v35, vcc
	global_load_dwordx4 v[36:39], v[34:35], off
	s_waitcnt vmcnt(0)
	v_fma_f64 v[34:35], v[36:37], v[51:52], v[22:23]
	v_fma_f64 v[34:35], -v[38:39], v[53:54], v[34:35]
	v_fma_f64 v[38:39], v[38:39], v[51:52], v[20:21]
	v_fma_f64 v[36:37], v[36:37], v[53:54], v[38:39]
	v_lshlrev_b64 v[38:39], 4, v[28:29]
	v_add_u32_e32 v28, 22, v50
	v_add_co_u32_e32 v38, vcc, s12, v38
	v_addc_co_u32_e32 v39, vcc, v44, v39, vcc
	global_load_dwordx4 v[40:43], v[38:39], off
	s_waitcnt vmcnt(0)
	v_fma_f64 v[38:39], v[40:41], v[51:52], v[18:19]
	v_fma_f64 v[38:39], -v[42:43], v[53:54], v[38:39]
	v_fma_f64 v[42:43], v[42:43], v[51:52], v[16:17]
	v_fma_f64 v[40:41], v[40:41], v[53:54], v[42:43]
	v_lshlrev_b64 v[42:43], 4, v[28:29]
	v_add_co_u32_e32 v42, vcc, s12, v42
	v_addc_co_u32_e32 v43, vcc, v44, v43, vcc
	global_load_dwordx4 v[55:58], v[42:43], off
	s_waitcnt vmcnt(0)
	v_fma_f64 v[42:43], v[55:56], v[51:52], v[14:15]
	v_fma_f64 v[44:45], v[57:58], v[51:52], v[12:13]
	v_fma_f64 v[42:43], -v[57:58], v[53:54], v[42:43]
	v_fma_f64 v[44:45], v[55:56], v[53:54], v[44:45]
	s_branch .LBB139_19
.LBB139_22:
	s_or_b64 exec, exec, s[0:1]
.LBB139_23:
	s_or_b64 exec, exec, s[6:7]
.LBB139_24:
	v_mov_b32_dpp v10, v26 row_shr:1 row_mask:0xf bank_mask:0xf
	v_mov_b32_dpp v11, v27 row_shr:1 row_mask:0xf bank_mask:0xf
	v_add_f64 v[10:11], v[26:27], v[10:11]
	v_mov_b32_dpp v26, v24 row_shr:1 row_mask:0xf bank_mask:0xf
	v_mov_b32_dpp v27, v25 row_shr:1 row_mask:0xf bank_mask:0xf
	v_add_f64 v[24:25], v[24:25], v[26:27]
	v_mov_b32_dpp v26, v22 row_shr:1 row_mask:0xf bank_mask:0xf
	v_mov_b32_dpp v29, v21 row_shr:1 row_mask:0xf bank_mask:0xf
	v_cmp_eq_u32_e32 vcc, 31, v0
	v_mov_b32_dpp v27, v10 row_shr:2 row_mask:0xf bank_mask:0xf
	v_mov_b32_dpp v28, v11 row_shr:2 row_mask:0xf bank_mask:0xf
	v_add_f64 v[10:11], v[10:11], v[27:28]
	v_mov_b32_dpp v27, v23 row_shr:1 row_mask:0xf bank_mask:0xf
	v_add_f64 v[22:23], v[22:23], v[26:27]
	v_mov_b32_dpp v26, v24 row_shr:2 row_mask:0xf bank_mask:0xf
	v_mov_b32_dpp v27, v25 row_shr:2 row_mask:0xf bank_mask:0xf
	;; [unrolled: 1-line block ×3, first 2 shown]
	v_add_f64 v[24:25], v[24:25], v[26:27]
	v_add_f64 v[20:21], v[20:21], v[28:29]
	v_mov_b32_dpp v26, v10 row_shr:4 row_mask:0xf bank_mask:0xe
	v_mov_b32_dpp v27, v11 row_shr:4 row_mask:0xf bank_mask:0xe
	v_add_f64 v[10:11], v[10:11], v[26:27]
	v_mov_b32_dpp v26, v22 row_shr:2 row_mask:0xf bank_mask:0xf
	v_mov_b32_dpp v27, v23 row_shr:2 row_mask:0xf bank_mask:0xf
	;; [unrolled: 3-line block ×5, first 2 shown]
	v_mov_b32_dpp v29, v23 row_shr:4 row_mask:0xf bank_mask:0xe
	v_add_f64 v[22:23], v[22:23], v[28:29]
	v_mov_b32_dpp v27, v11 row_shr:8 row_mask:0xf bank_mask:0xc
	v_add_f64 v[10:11], v[10:11], v[26:27]
	v_mov_b32_dpp v26, v24 row_shr:8 row_mask:0xf bank_mask:0xc
	v_mov_b32_dpp v28, v20 row_shr:4 row_mask:0xf bank_mask:0xe
	;; [unrolled: 1-line block ×3, first 2 shown]
	v_add_f64 v[28:29], v[20:21], v[28:29]
	v_mov_b32_dpp v20, v18 row_shr:1 row_mask:0xf bank_mask:0xf
	v_mov_b32_dpp v21, v19 row_shr:1 row_mask:0xf bank_mask:0xf
	v_add_f64 v[30:31], v[18:19], v[20:21]
	v_mov_b32_dpp v27, v25 row_shr:8 row_mask:0xf bank_mask:0xc
	v_add_f64 v[18:19], v[24:25], v[26:27]
	v_mov_b32_dpp v20, v22 row_shr:8 row_mask:0xf bank_mask:0xc
	v_mov_b32_dpp v21, v23 row_shr:8 row_mask:0xf bank_mask:0xc
	v_add_f64 v[20:21], v[22:23], v[20:21]
	v_mov_b32_dpp v22, v28 row_shr:8 row_mask:0xf bank_mask:0xc
	v_mov_b32_dpp v23, v29 row_shr:8 row_mask:0xf bank_mask:0xc
	;; [unrolled: 1-line block ×4, first 2 shown]
	v_add_f64 v[32:33], v[30:31], v[24:25]
	v_add_f64 v[22:23], v[28:29], v[22:23]
	v_mov_b32_dpp v30, v10 row_bcast:15 row_mask:0xa bank_mask:0xf
	v_mov_b32_dpp v31, v11 row_bcast:15 row_mask:0xa bank_mask:0xf
	;; [unrolled: 1-line block ×6, first 2 shown]
	v_mov_b32_dpp v34, v32 row_shr:4 row_mask:0xf bank_mask:0xe
	v_mov_b32_dpp v35, v33 row_shr:4 row_mask:0xf bank_mask:0xe
	v_add_f64 v[32:33], v[32:33], v[34:35]
	v_mov_b32_dpp v34, v16 row_shr:1 row_mask:0xf bank_mask:0xf
	v_mov_b32_dpp v35, v17 row_shr:1 row_mask:0xf bank_mask:0xf
	v_add_f64 v[16:17], v[16:17], v[34:35]
	;; [unrolled: 3-line block ×4, first 2 shown]
	v_mov_b32_dpp v34, v32 row_shr:8 row_mask:0xf bank_mask:0xc
	v_mov_b32_dpp v35, v16 row_shr:2 row_mask:0xf bank_mask:0xf
	;; [unrolled: 1-line block ×3, first 2 shown]
	v_add_f64 v[16:17], v[16:17], v[35:36]
	v_mov_b32_dpp v35, v14 row_shr:2 row_mask:0xf bank_mask:0xf
	v_mov_b32_dpp v36, v15 row_shr:2 row_mask:0xf bank_mask:0xf
	v_add_f64 v[14:15], v[14:15], v[35:36]
	v_mov_b32_dpp v35, v12 row_shr:2 row_mask:0xf bank_mask:0xf
	v_mov_b32_dpp v36, v13 row_shr:2 row_mask:0xf bank_mask:0xf
	;; [unrolled: 3-line block ×3, first 2 shown]
	v_mov_b32_dpp v37, v17 row_shr:4 row_mask:0xf bank_mask:0xe
	v_add_f64 v[16:17], v[16:17], v[36:37]
	v_mov_b32_dpp v36, v14 row_shr:4 row_mask:0xf bank_mask:0xe
	v_mov_b32_dpp v37, v15 row_shr:4 row_mask:0xf bank_mask:0xe
	v_add_f64 v[36:37], v[14:15], v[36:37]
	v_mov_b32_dpp v14, v12 row_shr:4 row_mask:0xf bank_mask:0xe
	v_mov_b32_dpp v15, v13 row_shr:4 row_mask:0xf bank_mask:0xe
	v_add_f64 v[38:39], v[12:13], v[14:15]
	v_add_f64 v[12:13], v[32:33], v[34:35]
	v_mov_b32_dpp v14, v16 row_shr:8 row_mask:0xf bank_mask:0xc
	v_mov_b32_dpp v15, v17 row_shr:8 row_mask:0xf bank_mask:0xc
	v_add_f64 v[14:15], v[16:17], v[14:15]
	v_mov_b32_dpp v16, v36 row_shr:8 row_mask:0xf bank_mask:0xc
	v_mov_b32_dpp v17, v37 row_shr:8 row_mask:0xf bank_mask:0xc
	;; [unrolled: 3-line block ×3, first 2 shown]
	v_add_f64 v[32:33], v[38:39], v[16:17]
	v_mov_b32_dpp v24, v22 row_bcast:15 row_mask:0xa bank_mask:0xf
	v_mov_b32_dpp v25, v23 row_bcast:15 row_mask:0xa bank_mask:0xf
	;; [unrolled: 1-line block ×10, first 2 shown]
	s_and_b64 exec, exec, vcc
	s_cbranch_execz .LBB139_29
; %bb.25:
	v_cmp_eq_f64_e32 vcc, 0, v[5:6]
	v_cmp_eq_f64_e64 s[0:1], 0, v[7:8]
	v_add_f64 v[16:17], v[10:11], v[30:31]
	v_add_f64 v[28:29], v[18:19], v[28:29]
	;; [unrolled: 1-line block ×8, first 2 shown]
	s_load_dwordx2 s[2:3], s[4:5], 0x48
	s_and_b64 s[0:1], vcc, s[0:1]
	s_and_saveexec_b64 s[4:5], s[0:1]
	s_xor_b64 s[0:1], exec, s[4:5]
	s_cbranch_execz .LBB139_27
; %bb.26:
	v_mul_f64 v[5:6], v[28:29], -v[3:4]
	v_mul_f64 v[7:8], v[1:2], v[28:29]
	v_mul_f64 v[26:27], v[22:23], -v[3:4]
	v_mul_f64 v[22:23], v[1:2], v[22:23]
	;; [unrolled: 2-line block ×4, first 2 shown]
	v_fma_f64 v[5:6], v[1:2], v[16:17], v[5:6]
	v_fma_f64 v[7:8], v[3:4], v[16:17], v[7:8]
	;; [unrolled: 1-line block ×4, first 2 shown]
	v_lshlrev_b32_e32 v24, 2, v9
	v_fma_f64 v[9:10], v[1:2], v[12:13], v[28:29]
	v_fma_f64 v[11:12], v[3:4], v[12:13], v[20:21]
	v_ashrrev_i32_e32 v25, 31, v24
	v_fma_f64 v[0:1], v[1:2], v[14:15], v[30:31]
	v_fma_f64 v[2:3], v[3:4], v[14:15], v[32:33]
	v_lshlrev_b64 v[24:25], 4, v[24:25]
	s_waitcnt lgkmcnt(0)
	v_mov_b32_e32 v34, s3
	v_add_co_u32_e32 v13, vcc, s2, v24
	v_addc_co_u32_e32 v14, vcc, v34, v25, vcc
	global_store_dwordx4 v[13:14], v[5:8], off
	global_store_dwordx4 v[13:14], v[16:19], off offset:16
	global_store_dwordx4 v[13:14], v[9:12], off offset:32
	;; [unrolled: 1-line block ×3, first 2 shown]
                                        ; implicit-def: $vgpr9
                                        ; implicit-def: $vgpr16_vgpr17
                                        ; implicit-def: $vgpr28_vgpr29
                                        ; implicit-def: $vgpr10_vgpr11
                                        ; implicit-def: $vgpr22_vgpr23
                                        ; implicit-def: $vgpr12_vgpr13
                                        ; implicit-def: $vgpr20_vgpr21
                                        ; implicit-def: $vgpr14_vgpr15
                                        ; implicit-def: $vgpr18_vgpr19
                                        ; implicit-def: $vgpr7_vgpr8
                                        ; implicit-def: $vgpr3_vgpr4
.LBB139_27:
	s_andn2_saveexec_b64 s[0:1], s[0:1]
	s_cbranch_execz .LBB139_29
; %bb.28:
	v_lshlrev_b32_e32 v24, 2, v9
	v_ashrrev_i32_e32 v25, 31, v24
	v_lshlrev_b64 v[24:25], 4, v[24:25]
	s_waitcnt lgkmcnt(0)
	v_mov_b32_e32 v0, s3
	v_add_co_u32_e32 v42, vcc, s2, v24
	v_addc_co_u32_e32 v43, vcc, v0, v25, vcc
	global_load_dwordx4 v[24:27], v[42:43], off
	global_load_dwordx4 v[30:33], v[42:43], off offset:16
	global_load_dwordx4 v[34:37], v[42:43], off offset:32
	;; [unrolled: 1-line block ×3, first 2 shown]
	v_mul_f64 v[44:45], v[28:29], -v[3:4]
	v_mul_f64 v[28:29], v[1:2], v[28:29]
	v_mul_f64 v[46:47], v[22:23], -v[3:4]
	v_mul_f64 v[22:23], v[1:2], v[22:23]
	;; [unrolled: 2-line block ×4, first 2 shown]
	v_fma_f64 v[44:45], v[1:2], v[16:17], v[44:45]
	v_fma_f64 v[16:17], v[3:4], v[16:17], v[28:29]
	;; [unrolled: 1-line block ×8, first 2 shown]
	s_waitcnt vmcnt(3)
	v_fma_f64 v[13:14], v[5:6], v[24:25], v[44:45]
	v_fma_f64 v[15:16], v[7:8], v[24:25], v[16:17]
	s_waitcnt vmcnt(2)
	v_fma_f64 v[17:18], v[5:6], v[30:31], v[28:29]
	v_fma_f64 v[19:20], v[7:8], v[30:31], v[9:10]
	s_waitcnt vmcnt(1)
	v_fma_f64 v[21:22], v[5:6], v[34:35], v[22:23]
	v_fma_f64 v[23:24], v[7:8], v[34:35], v[11:12]
	s_waitcnt vmcnt(0)
	v_fma_f64 v[28:29], v[5:6], v[38:39], v[0:1]
	v_fma_f64 v[30:31], v[7:8], v[38:39], v[2:3]
	v_fma_f64 v[0:1], -v[7:8], v[26:27], v[13:14]
	v_fma_f64 v[2:3], v[5:6], v[26:27], v[15:16]
	v_fma_f64 v[9:10], -v[7:8], v[32:33], v[17:18]
	v_fma_f64 v[11:12], v[5:6], v[32:33], v[19:20]
	v_fma_f64 v[13:14], -v[7:8], v[36:37], v[21:22]
	v_fma_f64 v[15:16], v[5:6], v[36:37], v[23:24]
	v_fma_f64 v[17:18], -v[7:8], v[40:41], v[28:29]
	v_fma_f64 v[19:20], v[5:6], v[40:41], v[30:31]
	global_store_dwordx4 v[42:43], v[0:3], off
	global_store_dwordx4 v[42:43], v[9:12], off offset:16
	global_store_dwordx4 v[42:43], v[13:16], off offset:32
	;; [unrolled: 1-line block ×3, first 2 shown]
.LBB139_29:
	s_endpgm
	.section	.rodata,"a",@progbits
	.p2align	6, 0x0
	.amdhsa_kernel _ZN9rocsparseL19gebsrmvn_4xn_kernelILj128ELj7ELj32E21rocsparse_complex_numIdEEEvi20rocsparse_direction_NS_24const_host_device_scalarIT2_EEPKiS8_PKS5_SA_S6_PS5_21rocsparse_index_base_b
		.amdhsa_group_segment_fixed_size 0
		.amdhsa_private_segment_fixed_size 0
		.amdhsa_kernarg_size 88
		.amdhsa_user_sgpr_count 6
		.amdhsa_user_sgpr_private_segment_buffer 1
		.amdhsa_user_sgpr_dispatch_ptr 0
		.amdhsa_user_sgpr_queue_ptr 0
		.amdhsa_user_sgpr_kernarg_segment_ptr 1
		.amdhsa_user_sgpr_dispatch_id 0
		.amdhsa_user_sgpr_flat_scratch_init 0
		.amdhsa_user_sgpr_private_segment_size 0
		.amdhsa_uses_dynamic_stack 0
		.amdhsa_system_sgpr_private_segment_wavefront_offset 0
		.amdhsa_system_sgpr_workgroup_id_x 1
		.amdhsa_system_sgpr_workgroup_id_y 0
		.amdhsa_system_sgpr_workgroup_id_z 0
		.amdhsa_system_sgpr_workgroup_info 0
		.amdhsa_system_vgpr_workitem_id 0
		.amdhsa_next_free_vgpr 66
		.amdhsa_next_free_sgpr 16
		.amdhsa_reserve_vcc 1
		.amdhsa_reserve_flat_scratch 0
		.amdhsa_float_round_mode_32 0
		.amdhsa_float_round_mode_16_64 0
		.amdhsa_float_denorm_mode_32 3
		.amdhsa_float_denorm_mode_16_64 3
		.amdhsa_dx10_clamp 1
		.amdhsa_ieee_mode 1
		.amdhsa_fp16_overflow 0
		.amdhsa_exception_fp_ieee_invalid_op 0
		.amdhsa_exception_fp_denorm_src 0
		.amdhsa_exception_fp_ieee_div_zero 0
		.amdhsa_exception_fp_ieee_overflow 0
		.amdhsa_exception_fp_ieee_underflow 0
		.amdhsa_exception_fp_ieee_inexact 0
		.amdhsa_exception_int_div_zero 0
	.end_amdhsa_kernel
	.section	.text._ZN9rocsparseL19gebsrmvn_4xn_kernelILj128ELj7ELj32E21rocsparse_complex_numIdEEEvi20rocsparse_direction_NS_24const_host_device_scalarIT2_EEPKiS8_PKS5_SA_S6_PS5_21rocsparse_index_base_b,"axG",@progbits,_ZN9rocsparseL19gebsrmvn_4xn_kernelILj128ELj7ELj32E21rocsparse_complex_numIdEEEvi20rocsparse_direction_NS_24const_host_device_scalarIT2_EEPKiS8_PKS5_SA_S6_PS5_21rocsparse_index_base_b,comdat
.Lfunc_end139:
	.size	_ZN9rocsparseL19gebsrmvn_4xn_kernelILj128ELj7ELj32E21rocsparse_complex_numIdEEEvi20rocsparse_direction_NS_24const_host_device_scalarIT2_EEPKiS8_PKS5_SA_S6_PS5_21rocsparse_index_base_b, .Lfunc_end139-_ZN9rocsparseL19gebsrmvn_4xn_kernelILj128ELj7ELj32E21rocsparse_complex_numIdEEEvi20rocsparse_direction_NS_24const_host_device_scalarIT2_EEPKiS8_PKS5_SA_S6_PS5_21rocsparse_index_base_b
                                        ; -- End function
	.set _ZN9rocsparseL19gebsrmvn_4xn_kernelILj128ELj7ELj32E21rocsparse_complex_numIdEEEvi20rocsparse_direction_NS_24const_host_device_scalarIT2_EEPKiS8_PKS5_SA_S6_PS5_21rocsparse_index_base_b.num_vgpr, 66
	.set _ZN9rocsparseL19gebsrmvn_4xn_kernelILj128ELj7ELj32E21rocsparse_complex_numIdEEEvi20rocsparse_direction_NS_24const_host_device_scalarIT2_EEPKiS8_PKS5_SA_S6_PS5_21rocsparse_index_base_b.num_agpr, 0
	.set _ZN9rocsparseL19gebsrmvn_4xn_kernelILj128ELj7ELj32E21rocsparse_complex_numIdEEEvi20rocsparse_direction_NS_24const_host_device_scalarIT2_EEPKiS8_PKS5_SA_S6_PS5_21rocsparse_index_base_b.numbered_sgpr, 16
	.set _ZN9rocsparseL19gebsrmvn_4xn_kernelILj128ELj7ELj32E21rocsparse_complex_numIdEEEvi20rocsparse_direction_NS_24const_host_device_scalarIT2_EEPKiS8_PKS5_SA_S6_PS5_21rocsparse_index_base_b.num_named_barrier, 0
	.set _ZN9rocsparseL19gebsrmvn_4xn_kernelILj128ELj7ELj32E21rocsparse_complex_numIdEEEvi20rocsparse_direction_NS_24const_host_device_scalarIT2_EEPKiS8_PKS5_SA_S6_PS5_21rocsparse_index_base_b.private_seg_size, 0
	.set _ZN9rocsparseL19gebsrmvn_4xn_kernelILj128ELj7ELj32E21rocsparse_complex_numIdEEEvi20rocsparse_direction_NS_24const_host_device_scalarIT2_EEPKiS8_PKS5_SA_S6_PS5_21rocsparse_index_base_b.uses_vcc, 1
	.set _ZN9rocsparseL19gebsrmvn_4xn_kernelILj128ELj7ELj32E21rocsparse_complex_numIdEEEvi20rocsparse_direction_NS_24const_host_device_scalarIT2_EEPKiS8_PKS5_SA_S6_PS5_21rocsparse_index_base_b.uses_flat_scratch, 0
	.set _ZN9rocsparseL19gebsrmvn_4xn_kernelILj128ELj7ELj32E21rocsparse_complex_numIdEEEvi20rocsparse_direction_NS_24const_host_device_scalarIT2_EEPKiS8_PKS5_SA_S6_PS5_21rocsparse_index_base_b.has_dyn_sized_stack, 0
	.set _ZN9rocsparseL19gebsrmvn_4xn_kernelILj128ELj7ELj32E21rocsparse_complex_numIdEEEvi20rocsparse_direction_NS_24const_host_device_scalarIT2_EEPKiS8_PKS5_SA_S6_PS5_21rocsparse_index_base_b.has_recursion, 0
	.set _ZN9rocsparseL19gebsrmvn_4xn_kernelILj128ELj7ELj32E21rocsparse_complex_numIdEEEvi20rocsparse_direction_NS_24const_host_device_scalarIT2_EEPKiS8_PKS5_SA_S6_PS5_21rocsparse_index_base_b.has_indirect_call, 0
	.section	.AMDGPU.csdata,"",@progbits
; Kernel info:
; codeLenInByte = 3652
; TotalNumSgprs: 20
; NumVgprs: 66
; ScratchSize: 0
; MemoryBound: 0
; FloatMode: 240
; IeeeMode: 1
; LDSByteSize: 0 bytes/workgroup (compile time only)
; SGPRBlocks: 2
; VGPRBlocks: 16
; NumSGPRsForWavesPerEU: 20
; NumVGPRsForWavesPerEU: 66
; Occupancy: 3
; WaveLimiterHint : 1
; COMPUTE_PGM_RSRC2:SCRATCH_EN: 0
; COMPUTE_PGM_RSRC2:USER_SGPR: 6
; COMPUTE_PGM_RSRC2:TRAP_HANDLER: 0
; COMPUTE_PGM_RSRC2:TGID_X_EN: 1
; COMPUTE_PGM_RSRC2:TGID_Y_EN: 0
; COMPUTE_PGM_RSRC2:TGID_Z_EN: 0
; COMPUTE_PGM_RSRC2:TIDIG_COMP_CNT: 0
	.section	.text._ZN9rocsparseL19gebsrmvn_4xn_kernelILj128ELj7ELj64E21rocsparse_complex_numIdEEEvi20rocsparse_direction_NS_24const_host_device_scalarIT2_EEPKiS8_PKS5_SA_S6_PS5_21rocsparse_index_base_b,"axG",@progbits,_ZN9rocsparseL19gebsrmvn_4xn_kernelILj128ELj7ELj64E21rocsparse_complex_numIdEEEvi20rocsparse_direction_NS_24const_host_device_scalarIT2_EEPKiS8_PKS5_SA_S6_PS5_21rocsparse_index_base_b,comdat
	.globl	_ZN9rocsparseL19gebsrmvn_4xn_kernelILj128ELj7ELj64E21rocsparse_complex_numIdEEEvi20rocsparse_direction_NS_24const_host_device_scalarIT2_EEPKiS8_PKS5_SA_S6_PS5_21rocsparse_index_base_b ; -- Begin function _ZN9rocsparseL19gebsrmvn_4xn_kernelILj128ELj7ELj64E21rocsparse_complex_numIdEEEvi20rocsparse_direction_NS_24const_host_device_scalarIT2_EEPKiS8_PKS5_SA_S6_PS5_21rocsparse_index_base_b
	.p2align	8
	.type	_ZN9rocsparseL19gebsrmvn_4xn_kernelILj128ELj7ELj64E21rocsparse_complex_numIdEEEvi20rocsparse_direction_NS_24const_host_device_scalarIT2_EEPKiS8_PKS5_SA_S6_PS5_21rocsparse_index_base_b,@function
_ZN9rocsparseL19gebsrmvn_4xn_kernelILj128ELj7ELj64E21rocsparse_complex_numIdEEEvi20rocsparse_direction_NS_24const_host_device_scalarIT2_EEPKiS8_PKS5_SA_S6_PS5_21rocsparse_index_base_b: ; @_ZN9rocsparseL19gebsrmvn_4xn_kernelILj128ELj7ELj64E21rocsparse_complex_numIdEEEvi20rocsparse_direction_NS_24const_host_device_scalarIT2_EEPKiS8_PKS5_SA_S6_PS5_21rocsparse_index_base_b
; %bb.0:
	s_load_dwordx2 s[0:1], s[4:5], 0x8
	s_load_dwordx2 s[8:9], s[4:5], 0x38
	;; [unrolled: 1-line block ×3, first 2 shown]
	s_add_u32 s7, s4, 8
	s_addc_u32 s10, s5, 0
	s_add_u32 s11, s4, 56
	s_addc_u32 s12, s5, 0
	s_waitcnt lgkmcnt(0)
	s_bitcmp1_b32 s3, 0
	s_cselect_b32 s1, s10, s1
	s_cselect_b32 s0, s7, s0
	v_mov_b32_e32 v1, s0
	v_mov_b32_e32 v2, s1
	flat_load_dwordx4 v[1:4], v[1:2]
	s_cselect_b32 s0, s12, s9
	s_cselect_b32 s1, s11, s8
	v_mov_b32_e32 v5, s1
	v_mov_b32_e32 v6, s0
	flat_load_dwordx4 v[5:8], v[5:6]
	s_waitcnt vmcnt(0) lgkmcnt(0)
	v_cmp_eq_f64_e32 vcc, 0, v[1:2]
	v_cmp_eq_f64_e64 s[0:1], 0, v[3:4]
	s_and_b64 s[10:11], vcc, s[0:1]
	s_mov_b64 s[0:1], -1
	s_and_saveexec_b64 s[8:9], s[10:11]
	s_cbranch_execz .LBB140_2
; %bb.1:
	v_cmp_neq_f64_e32 vcc, 1.0, v[5:6]
	v_cmp_neq_f64_e64 s[0:1], 0, v[7:8]
	s_or_b64 s[0:1], vcc, s[0:1]
	s_orn2_b64 s[0:1], s[0:1], exec
.LBB140_2:
	s_or_b64 exec, exec, s[8:9]
	s_and_saveexec_b64 s[8:9], s[0:1]
	s_cbranch_execz .LBB140_29
; %bb.3:
	s_load_dwordx2 s[0:1], s[4:5], 0x0
	v_lshrrev_b32_e32 v9, 6, v0
	v_lshl_or_b32 v9, s6, 1, v9
	s_waitcnt lgkmcnt(0)
	v_cmp_gt_i32_e32 vcc, s0, v9
	s_and_b64 exec, exec, vcc
	s_cbranch_execz .LBB140_29
; %bb.4:
	s_load_dwordx8 s[8:15], s[4:5], 0x18
	v_ashrrev_i32_e32 v10, 31, v9
	v_lshlrev_b64 v[10:11], 2, v[9:10]
	v_and_b32_e32 v0, 63, v0
	s_cmp_lg_u32 s1, 0
	s_waitcnt lgkmcnt(0)
	v_mov_b32_e32 v12, s9
	v_add_co_u32_e32 v10, vcc, s8, v10
	v_addc_co_u32_e32 v11, vcc, v12, v11, vcc
	global_load_dwordx2 v[13:14], v[10:11], off
	s_waitcnt vmcnt(0)
	v_subrev_u32_e32 v10, s2, v13
	v_subrev_u32_e32 v49, s2, v14
	v_add_u32_e32 v12, v10, v0
	v_cmp_lt_i32_e64 s[0:1], v12, v49
	s_cbranch_scc0 .LBB140_12
; %bb.5:
	v_mov_b32_e32 v24, 0
	v_mov_b32_e32 v26, 0
	;; [unrolled: 1-line block ×16, first 2 shown]
	s_and_saveexec_b64 s[6:7], s[0:1]
	s_cbranch_execz .LBB140_14
; %bb.6:
	v_mul_lo_u32 v50, v12, 28
	v_mov_b32_e32 v24, 0
	v_mov_b32_e32 v26, 0
	;; [unrolled: 1-line block ×9, first 2 shown]
	s_mov_b64 s[8:9], 0
	v_mov_b32_e32 v51, s11
	v_mov_b32_e32 v29, 0
	;; [unrolled: 1-line block ×11, first 2 shown]
	s_branch .LBB140_8
.LBB140_7:                              ;   in Loop: Header=BB140_8 Depth=1
	v_add_u32_e32 v30, 64, v30
	v_cmp_ge_i32_e32 vcc, v30, v49
	s_or_b64 s[8:9], vcc, s[8:9]
	v_add_u32_e32 v50, 0x700, v50
	s_andn2_b64 exec, exec, s[8:9]
	s_cbranch_execz .LBB140_13
.LBB140_8:                              ; =>This Loop Header: Depth=1
                                        ;     Child Loop BB140_10 Depth 2
	v_ashrrev_i32_e32 v31, 31, v30
	v_lshlrev_b64 v[31:32], 2, v[30:31]
	v_mov_b32_e32 v46, v11
	v_add_co_u32_e32 v31, vcc, s10, v31
	v_addc_co_u32_e32 v32, vcc, v51, v32, vcc
	global_load_dword v35, v[31:32], off
	v_mov_b32_e32 v45, v10
	v_mov_b32_e32 v34, v25
	v_mov_b32_e32 v32, v27
	v_mov_b32_e32 v40, v15
	v_mov_b32_e32 v42, v19
	v_mov_b32_e32 v44, v17
	v_mov_b32_e32 v38, v21
	s_mov_b32 s3, 0
	v_mov_b32_e32 v28, v50
	v_mov_b32_e32 v33, v24
	v_mov_b32_e32 v31, v26
	v_mov_b32_e32 v39, v14
	v_mov_b32_e32 v41, v18
	v_mov_b32_e32 v43, v16
	v_mov_b32_e32 v37, v20
	s_waitcnt vmcnt(0)
	v_subrev_u32_e32 v10, s2, v35
	v_mul_lo_u32 v53, v10, 7
	v_mov_b32_e32 v36, v23
	v_mov_b32_e32 v35, v22
	s_branch .LBB140_10
.LBB140_9:                              ;   in Loop: Header=BB140_8 Depth=1
                                        ; implicit-def: $vgpr37_vgpr38
                                        ; implicit-def: $vgpr35_vgpr36
                                        ; implicit-def: $vgpr43_vgpr44
                                        ; implicit-def: $vgpr41_vgpr42
                                        ; implicit-def: $vgpr45_vgpr46
                                        ; implicit-def: $vgpr39_vgpr40
                                        ; implicit-def: $vgpr31_vgpr32
                                        ; implicit-def: $vgpr33_vgpr34
                                        ; implicit-def: $sgpr3
	s_branch .LBB140_7
.LBB140_10:                             ;   Parent Loop BB140_8 Depth=1
                                        ; =>  This Inner Loop Header: Depth=2
	v_lshlrev_b64 v[10:11], 4, v[28:29]
	v_add_u32_e32 v47, s3, v53
	v_mov_b32_e32 v48, v29
	v_add_co_u32_e32 v10, vcc, s12, v10
	v_lshlrev_b64 v[14:15], 4, v[47:48]
	v_addc_co_u32_e32 v11, vcc, v52, v11, vcc
	v_mov_b32_e32 v16, s15
	v_add_co_u32_e32 v22, vcc, s14, v14
	v_addc_co_u32_e32 v23, vcc, v16, v15, vcc
	global_load_dwordx4 v[54:57], v[22:23], off
	global_load_dwordx4 v[14:17], v[10:11], off
	global_load_dwordx4 v[18:21], v[10:11], off offset:16
	global_load_dwordx4 v[58:61], v[10:11], off offset:32
	;; [unrolled: 1-line block ×3, first 2 shown]
	s_cmp_eq_u32 s3, 6
	s_waitcnt vmcnt(3)
	v_fma_f64 v[10:11], v[14:15], v[54:55], v[31:32]
	v_fma_f64 v[22:23], v[16:17], v[54:55], v[33:34]
	s_waitcnt vmcnt(2)
	v_fma_f64 v[31:32], v[18:19], v[54:55], v[35:36]
	v_fma_f64 v[33:34], v[20:21], v[54:55], v[37:38]
	;; [unrolled: 3-line block ×4, first 2 shown]
	v_fma_f64 v[26:27], -v[16:17], v[56:57], v[10:11]
	v_fma_f64 v[24:25], v[14:15], v[56:57], v[22:23]
	v_fma_f64 v[22:23], -v[20:21], v[56:57], v[31:32]
	v_fma_f64 v[20:21], v[18:19], v[56:57], v[33:34]
	;; [unrolled: 2-line block ×4, first 2 shown]
	s_cbranch_scc1 .LBB140_9
; %bb.11:                               ;   in Loop: Header=BB140_10 Depth=2
	v_add_u32_e32 v31, 4, v28
	v_mov_b32_e32 v32, v29
	v_lshlrev_b64 v[31:32], 4, v[31:32]
	v_mov_b32_e32 v33, s13
	v_add_co_u32_e32 v31, vcc, s12, v31
	v_addc_co_u32_e32 v32, vcc, v33, v32, vcc
	global_load_dwordx4 v[54:57], v[31:32], off offset:48
	global_load_dwordx4 v[43:46], v[31:32], off offset:32
	;; [unrolled: 1-line block ×3, first 2 shown]
	global_load_dwordx4 v[33:36], v[31:32], off
	v_add_u32_e32 v31, 1, v47
	v_mov_b32_e32 v32, v29
	v_lshlrev_b64 v[31:32], 4, v[31:32]
	v_mov_b32_e32 v41, s15
	v_add_co_u32_e32 v31, vcc, s14, v31
	v_addc_co_u32_e32 v32, vcc, v41, v32, vcc
	global_load_dwordx4 v[58:61], v[31:32], off
	s_add_i32 s3, s3, 2
	v_add_u32_e32 v28, 8, v28
	s_waitcnt vmcnt(0)
	v_fma_f64 v[31:32], v[33:34], v[58:59], v[26:27]
	v_fma_f64 v[31:32], -v[35:36], v[60:61], v[31:32]
	v_fma_f64 v[35:36], v[35:36], v[58:59], v[24:25]
	v_fma_f64 v[33:34], v[33:34], v[60:61], v[35:36]
	v_fma_f64 v[35:36], v[37:38], v[58:59], v[22:23]
	v_fma_f64 v[35:36], -v[39:40], v[60:61], v[35:36]
	v_fma_f64 v[39:40], v[39:40], v[58:59], v[20:21]
	v_fma_f64 v[37:38], v[37:38], v[60:61], v[39:40]
	;; [unrolled: 4-line block ×3, first 2 shown]
	v_fma_f64 v[43:44], v[43:44], v[60:61], v[39:40]
	v_fma_f64 v[39:40], v[54:55], v[58:59], v[14:15]
	;; [unrolled: 1-line block ×3, first 2 shown]
	v_fma_f64 v[39:40], -v[56:57], v[60:61], v[39:40]
	s_cbranch_execnz .LBB140_10
	s_branch .LBB140_7
.LBB140_12:
                                        ; implicit-def: $vgpr24_vgpr25
                                        ; implicit-def: $vgpr26_vgpr27
                                        ; implicit-def: $vgpr14_vgpr15
                                        ; implicit-def: $vgpr10_vgpr11
                                        ; implicit-def: $vgpr18_vgpr19
                                        ; implicit-def: $vgpr16_vgpr17
                                        ; implicit-def: $vgpr22_vgpr23
                                        ; implicit-def: $vgpr20_vgpr21
	s_branch .LBB140_15
.LBB140_13:
	s_or_b64 exec, exec, s[8:9]
.LBB140_14:
	s_or_b64 exec, exec, s[6:7]
	s_cbranch_execnz .LBB140_24
.LBB140_15:
	v_mov_b32_e32 v24, 0
	v_mov_b32_e32 v26, 0
	;; [unrolled: 1-line block ×16, first 2 shown]
	s_and_saveexec_b64 s[6:7], s[0:1]
	s_cbranch_execz .LBB140_23
; %bb.16:
	v_mul_lo_u32 v10, v13, 28
	v_mul_lo_u32 v46, v12, 28
	s_mul_i32 s0, s2, 28
	v_mov_b32_e32 v24, 0
	v_mad_u32_u24 v10, v0, 28, v10
	v_subrev_u32_e32 v47, s0, v10
	v_mov_b32_e32 v26, 0
	v_mov_b32_e32 v14, 0
	;; [unrolled: 1-line block ×8, first 2 shown]
	s_mov_b64 s[0:1], 0
	v_mov_b32_e32 v48, s11
	v_mov_b32_e32 v27, 0
	;; [unrolled: 1-line block ×9, first 2 shown]
	s_branch .LBB140_18
.LBB140_17:                             ;   in Loop: Header=BB140_18 Depth=1
	v_add_u32_e32 v12, 64, v12
	v_cmp_ge_i32_e32 vcc, v12, v49
	v_add_u32_e32 v46, 0x700, v46
	s_or_b64 s[0:1], vcc, s[0:1]
	v_add_u32_e32 v47, 0x700, v47
	s_andn2_b64 exec, exec, s[0:1]
	s_cbranch_execz .LBB140_22
.LBB140_18:                             ; =>This Loop Header: Depth=1
                                        ;     Child Loop BB140_20 Depth 2
	v_ashrrev_i32_e32 v13, 31, v12
	v_lshlrev_b64 v[30:31], 2, v[12:13]
	v_mov_b32_e32 v45, v11
	v_add_co_u32_e32 v30, vcc, s10, v30
	v_addc_co_u32_e32 v31, vcc, v48, v31, vcc
	global_load_dword v13, v[30:31], off
	v_mov_b32_e32 v44, v10
	v_mov_b32_e32 v33, v25
	;; [unrolled: 1-line block ×8, first 2 shown]
	s_mov_b32 s3, 0
	v_mov_b32_e32 v32, v24
	v_mov_b32_e32 v30, v26
	;; [unrolled: 1-line block ×7, first 2 shown]
	s_waitcnt vmcnt(0)
	v_subrev_u32_e32 v10, s2, v13
	v_mul_lo_u32 v13, v10, 7
	s_branch .LBB140_20
.LBB140_19:                             ;   in Loop: Header=BB140_20 Depth=2
	s_andn2_b64 vcc, exec, s[8:9]
	s_cbranch_vccz .LBB140_17
.LBB140_20:                             ;   Parent Loop BB140_18 Depth=1
                                        ; =>  This Inner Loop Header: Depth=2
	v_add_u32_e32 v28, s3, v47
	v_lshlrev_b64 v[10:11], 4, v[28:29]
	v_mov_b32_e32 v24, s13
	v_add_co_u32_e32 v10, vcc, s12, v10
	v_addc_co_u32_e32 v11, vcc, v24, v11, vcc
	v_add_u32_e32 v28, s3, v13
	global_load_dwordx4 v[14:17], v[10:11], off
	v_lshlrev_b64 v[10:11], 4, v[28:29]
	v_mov_b32_e32 v18, s15
	v_add_co_u32_e32 v10, vcc, s14, v10
	v_addc_co_u32_e32 v11, vcc, v18, v11, vcc
	v_add_u32_e32 v50, s3, v46
	global_load_dwordx4 v[51:54], v[10:11], off
	v_add_u32_e32 v10, 7, v50
	v_mov_b32_e32 v11, v29
	v_lshlrev_b64 v[10:11], 4, v[10:11]
	v_add_u32_e32 v18, 14, v50
	v_mov_b32_e32 v19, v29
	v_add_co_u32_e32 v10, vcc, s12, v10
	v_lshlrev_b64 v[18:19], 4, v[18:19]
	v_addc_co_u32_e32 v11, vcc, v24, v11, vcc
	v_add_co_u32_e32 v22, vcc, s12, v18
	v_addc_co_u32_e32 v23, vcc, v24, v19, vcc
	global_load_dwordx4 v[18:21], v[10:11], off
	global_load_dwordx4 v[55:58], v[22:23], off
	v_add_u32_e32 v10, 21, v50
	v_mov_b32_e32 v11, v29
	v_lshlrev_b64 v[10:11], 4, v[10:11]
	s_cmp_eq_u32 s3, 6
	v_add_co_u32_e32 v10, vcc, s12, v10
	v_addc_co_u32_e32 v11, vcc, v24, v11, vcc
	global_load_dwordx4 v[59:62], v[10:11], off
	s_mov_b64 s[8:9], -1
	s_waitcnt vmcnt(3)
	v_fma_f64 v[10:11], v[14:15], v[51:52], v[30:31]
	v_fma_f64 v[22:23], v[16:17], v[51:52], v[32:33]
	v_fma_f64 v[26:27], -v[16:17], v[53:54], v[10:11]
	v_fma_f64 v[24:25], v[14:15], v[53:54], v[22:23]
	s_waitcnt vmcnt(2)
	v_fma_f64 v[30:31], v[18:19], v[51:52], v[34:35]
	v_fma_f64 v[32:33], v[20:21], v[51:52], v[36:37]
	s_waitcnt vmcnt(1)
	v_fma_f64 v[34:35], v[55:56], v[51:52], v[38:39]
	v_fma_f64 v[36:37], v[57:58], v[51:52], v[40:41]
	v_fma_f64 v[22:23], -v[20:21], v[53:54], v[30:31]
	v_fma_f64 v[20:21], v[18:19], v[53:54], v[32:33]
	s_waitcnt vmcnt(0)
	v_fma_f64 v[38:39], v[59:60], v[51:52], v[42:43]
	v_fma_f64 v[40:41], v[61:62], v[51:52], v[44:45]
	v_fma_f64 v[18:19], -v[57:58], v[53:54], v[34:35]
	v_fma_f64 v[16:17], v[55:56], v[53:54], v[36:37]
                                        ; implicit-def: $vgpr36_vgpr37
                                        ; implicit-def: $vgpr34_vgpr35
                                        ; implicit-def: $vgpr44_vgpr45
                                        ; implicit-def: $vgpr42_vgpr43
                                        ; implicit-def: $vgpr30_vgpr31
                                        ; implicit-def: $vgpr32_vgpr33
	v_fma_f64 v[14:15], -v[61:62], v[53:54], v[38:39]
	v_fma_f64 v[10:11], v[59:60], v[53:54], v[40:41]
                                        ; implicit-def: $vgpr40_vgpr41
                                        ; implicit-def: $vgpr38_vgpr39
	s_cbranch_scc1 .LBB140_19
; %bb.21:                               ;   in Loop: Header=BB140_20 Depth=2
	v_add_u32_e32 v30, 1, v50
	v_mov_b32_e32 v31, v29
	v_lshlrev_b64 v[30:31], 4, v[30:31]
	v_mov_b32_e32 v44, s13
	v_add_co_u32_e32 v30, vcc, s12, v30
	v_addc_co_u32_e32 v31, vcc, v44, v31, vcc
	v_add_u32_e32 v28, 1, v28
	global_load_dwordx4 v[32:35], v[30:31], off
	v_lshlrev_b64 v[30:31], 4, v[28:29]
	v_mov_b32_e32 v28, s15
	v_add_co_u32_e32 v30, vcc, s14, v30
	v_addc_co_u32_e32 v31, vcc, v28, v31, vcc
	global_load_dwordx4 v[51:54], v[30:31], off
	v_add_u32_e32 v28, 8, v50
	s_add_i32 s3, s3, 2
	s_mov_b64 s[8:9], 0
	s_waitcnt vmcnt(0)
	v_fma_f64 v[30:31], v[32:33], v[51:52], v[26:27]
	v_fma_f64 v[30:31], -v[34:35], v[53:54], v[30:31]
	v_fma_f64 v[34:35], v[34:35], v[51:52], v[24:25]
	v_fma_f64 v[32:33], v[32:33], v[53:54], v[34:35]
	v_lshlrev_b64 v[34:35], 4, v[28:29]
	v_add_u32_e32 v28, 15, v50
	v_add_co_u32_e32 v34, vcc, s12, v34
	v_addc_co_u32_e32 v35, vcc, v44, v35, vcc
	global_load_dwordx4 v[36:39], v[34:35], off
	s_waitcnt vmcnt(0)
	v_fma_f64 v[34:35], v[36:37], v[51:52], v[22:23]
	v_fma_f64 v[34:35], -v[38:39], v[53:54], v[34:35]
	v_fma_f64 v[38:39], v[38:39], v[51:52], v[20:21]
	v_fma_f64 v[36:37], v[36:37], v[53:54], v[38:39]
	v_lshlrev_b64 v[38:39], 4, v[28:29]
	v_add_u32_e32 v28, 22, v50
	v_add_co_u32_e32 v38, vcc, s12, v38
	v_addc_co_u32_e32 v39, vcc, v44, v39, vcc
	global_load_dwordx4 v[40:43], v[38:39], off
	s_waitcnt vmcnt(0)
	v_fma_f64 v[38:39], v[40:41], v[51:52], v[18:19]
	v_fma_f64 v[38:39], -v[42:43], v[53:54], v[38:39]
	v_fma_f64 v[42:43], v[42:43], v[51:52], v[16:17]
	v_fma_f64 v[40:41], v[40:41], v[53:54], v[42:43]
	v_lshlrev_b64 v[42:43], 4, v[28:29]
	v_add_co_u32_e32 v42, vcc, s12, v42
	v_addc_co_u32_e32 v43, vcc, v44, v43, vcc
	global_load_dwordx4 v[55:58], v[42:43], off
	s_waitcnt vmcnt(0)
	v_fma_f64 v[42:43], v[55:56], v[51:52], v[14:15]
	v_fma_f64 v[44:45], v[57:58], v[51:52], v[10:11]
	v_fma_f64 v[42:43], -v[57:58], v[53:54], v[42:43]
	v_fma_f64 v[44:45], v[55:56], v[53:54], v[44:45]
	s_branch .LBB140_19
.LBB140_22:
	s_or_b64 exec, exec, s[0:1]
.LBB140_23:
	s_or_b64 exec, exec, s[6:7]
.LBB140_24:
	v_mov_b32_dpp v12, v26 row_shr:1 row_mask:0xf bank_mask:0xf
	v_mov_b32_dpp v13, v27 row_shr:1 row_mask:0xf bank_mask:0xf
	v_add_f64 v[12:13], v[26:27], v[12:13]
	v_mov_b32_dpp v26, v24 row_shr:1 row_mask:0xf bank_mask:0xf
	v_mov_b32_dpp v27, v25 row_shr:1 row_mask:0xf bank_mask:0xf
	v_add_f64 v[24:25], v[24:25], v[26:27]
	v_mov_b32_dpp v28, v20 row_shr:1 row_mask:0xf bank_mask:0xf
	v_mov_b32_dpp v29, v21 row_shr:1 row_mask:0xf bank_mask:0xf
	v_add_f64 v[20:21], v[20:21], v[28:29]
	v_mov_b32_dpp v36, v16 row_shr:1 row_mask:0xf bank_mask:0xf
	v_mov_b32_dpp v26, v12 row_shr:2 row_mask:0xf bank_mask:0xf
	v_mov_b32_dpp v27, v13 row_shr:2 row_mask:0xf bank_mask:0xf
	v_add_f64 v[12:13], v[12:13], v[26:27]
	v_mov_b32_dpp v26, v24 row_shr:2 row_mask:0xf bank_mask:0xf
	v_mov_b32_dpp v27, v25 row_shr:2 row_mask:0xf bank_mask:0xf
	v_add_f64 v[24:25], v[24:25], v[26:27]
	v_mov_b32_dpp v26, v22 row_shr:1 row_mask:0xf bank_mask:0xf
	v_mov_b32_dpp v27, v23 row_shr:1 row_mask:0xf bank_mask:0xf
	v_add_f64 v[22:23], v[22:23], v[26:27]
	v_mov_b32_dpp v37, v17 row_shr:1 row_mask:0xf bank_mask:0xf
	;; [unrolled: 10-line block ×3, first 2 shown]
	v_mov_b32_dpp v28, v12 row_shr:8 row_mask:0xf bank_mask:0xc
	v_mov_b32_dpp v29, v13 row_shr:8 row_mask:0xf bank_mask:0xc
	v_add_f64 v[12:13], v[12:13], v[28:29]
	v_mov_b32_dpp v27, v21 row_shr:2 row_mask:0xf bank_mask:0xf
	v_add_f64 v[20:21], v[20:21], v[26:27]
	v_mov_b32_dpp v28, v24 row_shr:8 row_mask:0xf bank_mask:0xc
	v_mov_b32_dpp v29, v25 row_shr:8 row_mask:0xf bank_mask:0xc
	v_add_f64 v[24:25], v[24:25], v[28:29]
	v_mov_b32_dpp v28, v23 row_shr:4 row_mask:0xf bank_mask:0xe
	v_add_f64 v[16:17], v[16:17], v[36:37]
	v_mov_b32_dpp v26, v12 row_bcast:15 row_mask:0xa bank_mask:0xf
	v_mov_b32_dpp v27, v13 row_bcast:15 row_mask:0xa bank_mask:0xf
	v_add_f64 v[12:13], v[12:13], v[26:27]
	v_mov_b32_dpp v36, v14 row_shr:1 row_mask:0xf bank_mask:0xf
	v_mov_b32_dpp v27, v22 row_shr:4 row_mask:0xf bank_mask:0xe
	v_add_f64 v[22:23], v[22:23], v[27:28]
	v_mov_b32_dpp v28, v21 row_shr:4 row_mask:0xf bank_mask:0xe
	v_mov_b32_dpp v27, v20 row_shr:4 row_mask:0xf bank_mask:0xe
	;; [unrolled: 3-line block ×3, first 2 shown]
	v_add_f64 v[18:19], v[18:19], v[27:28]
	v_mov_b32_dpp v26, v24 row_bcast:15 row_mask:0xa bank_mask:0xf
	v_mov_b32_dpp v28, v22 row_shr:8 row_mask:0xf bank_mask:0xc
	v_mov_b32_dpp v29, v23 row_shr:8 row_mask:0xf bank_mask:0xc
	v_add_f64 v[22:23], v[22:23], v[28:29]
	v_mov_b32_dpp v28, v20 row_shr:8 row_mask:0xf bank_mask:0xc
	v_mov_b32_dpp v29, v21 row_shr:8 row_mask:0xf bank_mask:0xc
	v_add_f64 v[28:29], v[20:21], v[28:29]
	;; [unrolled: 3-line block ×3, first 2 shown]
	v_mov_b32_dpp v27, v25 row_bcast:15 row_mask:0xa bank_mask:0xf
	v_add_f64 v[18:19], v[24:25], v[26:27]
	v_mov_b32_dpp v37, v15 row_shr:1 row_mask:0xf bank_mask:0xf
	v_add_f64 v[14:15], v[14:15], v[36:37]
	v_mov_b32_dpp v36, v10 row_shr:1 row_mask:0xf bank_mask:0xf
	v_mov_b32_dpp v37, v11 row_shr:1 row_mask:0xf bank_mask:0xf
	v_add_f64 v[10:11], v[10:11], v[36:37]
	v_mov_b32_dpp v24, v30 row_shr:4 row_mask:0xf bank_mask:0xe
	v_mov_b32_dpp v25, v31 row_shr:4 row_mask:0xf bank_mask:0xe
	v_add_f64 v[32:33], v[30:31], v[24:25]
	v_mov_b32_dpp v20, v22 row_bcast:15 row_mask:0xa bank_mask:0xf
	v_mov_b32_dpp v21, v23 row_bcast:15 row_mask:0xa bank_mask:0xf
	v_add_f64 v[20:21], v[22:23], v[20:21]
	v_mov_b32_dpp v22, v28 row_bcast:15 row_mask:0xa bank_mask:0xf
	v_mov_b32_dpp v23, v29 row_bcast:15 row_mask:0xa bank_mask:0xf
	v_add_f64 v[22:23], v[28:29], v[22:23]
	v_mov_b32_dpp v30, v12 row_bcast:31 row_mask:0xc bank_mask:0xf
	v_mov_b32_dpp v34, v32 row_shr:8 row_mask:0xf bank_mask:0xc
	v_mov_b32_dpp v35, v33 row_shr:8 row_mask:0xf bank_mask:0xc
	v_add_f64 v[32:33], v[32:33], v[34:35]
	v_mov_b32_dpp v34, v16 row_shr:2 row_mask:0xf bank_mask:0xf
	v_mov_b32_dpp v35, v17 row_shr:2 row_mask:0xf bank_mask:0xf
	v_add_f64 v[16:17], v[16:17], v[34:35]
	;; [unrolled: 3-line block ×4, first 2 shown]
	v_mov_b32_dpp v34, v32 row_bcast:15 row_mask:0xa bank_mask:0xf
	v_mov_b32_dpp v35, v16 row_shr:4 row_mask:0xf bank_mask:0xe
	v_mov_b32_dpp v36, v17 row_shr:4 row_mask:0xf bank_mask:0xe
	v_add_f64 v[16:17], v[16:17], v[35:36]
	v_mov_b32_dpp v35, v14 row_shr:4 row_mask:0xf bank_mask:0xe
	v_mov_b32_dpp v36, v15 row_shr:4 row_mask:0xf bank_mask:0xe
	v_add_f64 v[14:15], v[14:15], v[35:36]
	;; [unrolled: 3-line block ×3, first 2 shown]
	v_mov_b32_dpp v35, v33 row_bcast:15 row_mask:0xa bank_mask:0xf
	v_mov_b32_dpp v36, v16 row_shr:8 row_mask:0xf bank_mask:0xc
	v_mov_b32_dpp v37, v17 row_shr:8 row_mask:0xf bank_mask:0xc
	v_add_f64 v[16:17], v[16:17], v[36:37]
	v_mov_b32_dpp v36, v14 row_shr:8 row_mask:0xf bank_mask:0xc
	v_mov_b32_dpp v37, v15 row_shr:8 row_mask:0xf bank_mask:0xc
	v_add_f64 v[36:37], v[14:15], v[36:37]
	v_mov_b32_dpp v14, v10 row_shr:8 row_mask:0xf bank_mask:0xc
	v_mov_b32_dpp v15, v11 row_shr:8 row_mask:0xf bank_mask:0xc
	v_add_f64 v[10:11], v[10:11], v[14:15]
	v_add_f64 v[14:15], v[32:33], v[34:35]
	v_mov_b32_dpp v32, v16 row_bcast:15 row_mask:0xa bank_mask:0xf
	v_mov_b32_dpp v33, v17 row_bcast:15 row_mask:0xa bank_mask:0xf
	v_add_f64 v[34:35], v[16:17], v[32:33]
	v_mov_b32_dpp v16, v36 row_bcast:15 row_mask:0xa bank_mask:0xf
	v_mov_b32_dpp v17, v37 row_bcast:15 row_mask:0xa bank_mask:0xf
	;; [unrolled: 3-line block ×4, first 2 shown]
	v_mov_b32_dpp v29, v19 row_bcast:31 row_mask:0xc bank_mask:0xf
	v_mov_b32_dpp v26, v20 row_bcast:31 row_mask:0xc bank_mask:0xf
	;; [unrolled: 1-line block ×13, first 2 shown]
	v_cmp_eq_u32_e32 vcc, 63, v0
	s_and_b64 exec, exec, vcc
	s_cbranch_execz .LBB140_29
; %bb.25:
	v_cmp_eq_f64_e32 vcc, 0, v[5:6]
	v_cmp_eq_f64_e64 s[0:1], 0, v[7:8]
	v_add_f64 v[16:17], v[12:13], v[30:31]
	v_add_f64 v[28:29], v[18:19], v[28:29]
	;; [unrolled: 1-line block ×8, first 2 shown]
	s_load_dwordx2 s[2:3], s[4:5], 0x48
	s_and_b64 s[0:1], vcc, s[0:1]
	s_and_saveexec_b64 s[4:5], s[0:1]
	s_xor_b64 s[0:1], exec, s[4:5]
	s_cbranch_execz .LBB140_27
; %bb.26:
	v_mul_f64 v[5:6], v[28:29], -v[3:4]
	v_mul_f64 v[7:8], v[1:2], v[28:29]
	v_mul_f64 v[26:27], v[22:23], -v[3:4]
	v_mul_f64 v[22:23], v[1:2], v[22:23]
	;; [unrolled: 2-line block ×4, first 2 shown]
	v_fma_f64 v[5:6], v[1:2], v[16:17], v[5:6]
	v_fma_f64 v[7:8], v[3:4], v[16:17], v[7:8]
	v_fma_f64 v[16:17], v[1:2], v[10:11], v[26:27]
	v_fma_f64 v[18:19], v[3:4], v[10:11], v[22:23]
	v_lshlrev_b32_e32 v24, 2, v9
	v_fma_f64 v[9:10], v[1:2], v[12:13], v[28:29]
	v_fma_f64 v[11:12], v[3:4], v[12:13], v[20:21]
	v_ashrrev_i32_e32 v25, 31, v24
	v_fma_f64 v[0:1], v[1:2], v[14:15], v[30:31]
	v_fma_f64 v[2:3], v[3:4], v[14:15], v[32:33]
	v_lshlrev_b64 v[24:25], 4, v[24:25]
	s_waitcnt lgkmcnt(0)
	v_mov_b32_e32 v34, s3
	v_add_co_u32_e32 v13, vcc, s2, v24
	v_addc_co_u32_e32 v14, vcc, v34, v25, vcc
	global_store_dwordx4 v[13:14], v[5:8], off
	global_store_dwordx4 v[13:14], v[16:19], off offset:16
	global_store_dwordx4 v[13:14], v[9:12], off offset:32
	;; [unrolled: 1-line block ×3, first 2 shown]
                                        ; implicit-def: $vgpr9
                                        ; implicit-def: $vgpr16_vgpr17
                                        ; implicit-def: $vgpr28_vgpr29
                                        ; implicit-def: $vgpr10_vgpr11
                                        ; implicit-def: $vgpr22_vgpr23
                                        ; implicit-def: $vgpr12_vgpr13
                                        ; implicit-def: $vgpr20_vgpr21
                                        ; implicit-def: $vgpr14_vgpr15
                                        ; implicit-def: $vgpr18_vgpr19
                                        ; implicit-def: $vgpr7_vgpr8
                                        ; implicit-def: $vgpr3_vgpr4
.LBB140_27:
	s_andn2_saveexec_b64 s[0:1], s[0:1]
	s_cbranch_execz .LBB140_29
; %bb.28:
	v_lshlrev_b32_e32 v24, 2, v9
	v_ashrrev_i32_e32 v25, 31, v24
	v_lshlrev_b64 v[24:25], 4, v[24:25]
	s_waitcnt lgkmcnt(0)
	v_mov_b32_e32 v0, s3
	v_add_co_u32_e32 v42, vcc, s2, v24
	v_addc_co_u32_e32 v43, vcc, v0, v25, vcc
	global_load_dwordx4 v[24:27], v[42:43], off
	global_load_dwordx4 v[30:33], v[42:43], off offset:16
	global_load_dwordx4 v[34:37], v[42:43], off offset:32
	;; [unrolled: 1-line block ×3, first 2 shown]
	v_mul_f64 v[44:45], v[28:29], -v[3:4]
	v_mul_f64 v[28:29], v[1:2], v[28:29]
	v_mul_f64 v[46:47], v[22:23], -v[3:4]
	v_mul_f64 v[22:23], v[1:2], v[22:23]
	;; [unrolled: 2-line block ×4, first 2 shown]
	v_fma_f64 v[44:45], v[1:2], v[16:17], v[44:45]
	v_fma_f64 v[16:17], v[3:4], v[16:17], v[28:29]
	;; [unrolled: 1-line block ×8, first 2 shown]
	s_waitcnt vmcnt(3)
	v_fma_f64 v[13:14], v[5:6], v[24:25], v[44:45]
	v_fma_f64 v[15:16], v[7:8], v[24:25], v[16:17]
	s_waitcnt vmcnt(2)
	v_fma_f64 v[17:18], v[5:6], v[30:31], v[28:29]
	v_fma_f64 v[19:20], v[7:8], v[30:31], v[9:10]
	;; [unrolled: 3-line block ×4, first 2 shown]
	v_fma_f64 v[0:1], -v[7:8], v[26:27], v[13:14]
	v_fma_f64 v[2:3], v[5:6], v[26:27], v[15:16]
	v_fma_f64 v[9:10], -v[7:8], v[32:33], v[17:18]
	v_fma_f64 v[11:12], v[5:6], v[32:33], v[19:20]
	;; [unrolled: 2-line block ×4, first 2 shown]
	global_store_dwordx4 v[42:43], v[0:3], off
	global_store_dwordx4 v[42:43], v[9:12], off offset:16
	global_store_dwordx4 v[42:43], v[13:16], off offset:32
	;; [unrolled: 1-line block ×3, first 2 shown]
.LBB140_29:
	s_endpgm
	.section	.rodata,"a",@progbits
	.p2align	6, 0x0
	.amdhsa_kernel _ZN9rocsparseL19gebsrmvn_4xn_kernelILj128ELj7ELj64E21rocsparse_complex_numIdEEEvi20rocsparse_direction_NS_24const_host_device_scalarIT2_EEPKiS8_PKS5_SA_S6_PS5_21rocsparse_index_base_b
		.amdhsa_group_segment_fixed_size 0
		.amdhsa_private_segment_fixed_size 0
		.amdhsa_kernarg_size 88
		.amdhsa_user_sgpr_count 6
		.amdhsa_user_sgpr_private_segment_buffer 1
		.amdhsa_user_sgpr_dispatch_ptr 0
		.amdhsa_user_sgpr_queue_ptr 0
		.amdhsa_user_sgpr_kernarg_segment_ptr 1
		.amdhsa_user_sgpr_dispatch_id 0
		.amdhsa_user_sgpr_flat_scratch_init 0
		.amdhsa_user_sgpr_private_segment_size 0
		.amdhsa_uses_dynamic_stack 0
		.amdhsa_system_sgpr_private_segment_wavefront_offset 0
		.amdhsa_system_sgpr_workgroup_id_x 1
		.amdhsa_system_sgpr_workgroup_id_y 0
		.amdhsa_system_sgpr_workgroup_id_z 0
		.amdhsa_system_sgpr_workgroup_info 0
		.amdhsa_system_vgpr_workitem_id 0
		.amdhsa_next_free_vgpr 66
		.amdhsa_next_free_sgpr 16
		.amdhsa_reserve_vcc 1
		.amdhsa_reserve_flat_scratch 0
		.amdhsa_float_round_mode_32 0
		.amdhsa_float_round_mode_16_64 0
		.amdhsa_float_denorm_mode_32 3
		.amdhsa_float_denorm_mode_16_64 3
		.amdhsa_dx10_clamp 1
		.amdhsa_ieee_mode 1
		.amdhsa_fp16_overflow 0
		.amdhsa_exception_fp_ieee_invalid_op 0
		.amdhsa_exception_fp_denorm_src 0
		.amdhsa_exception_fp_ieee_div_zero 0
		.amdhsa_exception_fp_ieee_overflow 0
		.amdhsa_exception_fp_ieee_underflow 0
		.amdhsa_exception_fp_ieee_inexact 0
		.amdhsa_exception_int_div_zero 0
	.end_amdhsa_kernel
	.section	.text._ZN9rocsparseL19gebsrmvn_4xn_kernelILj128ELj7ELj64E21rocsparse_complex_numIdEEEvi20rocsparse_direction_NS_24const_host_device_scalarIT2_EEPKiS8_PKS5_SA_S6_PS5_21rocsparse_index_base_b,"axG",@progbits,_ZN9rocsparseL19gebsrmvn_4xn_kernelILj128ELj7ELj64E21rocsparse_complex_numIdEEEvi20rocsparse_direction_NS_24const_host_device_scalarIT2_EEPKiS8_PKS5_SA_S6_PS5_21rocsparse_index_base_b,comdat
.Lfunc_end140:
	.size	_ZN9rocsparseL19gebsrmvn_4xn_kernelILj128ELj7ELj64E21rocsparse_complex_numIdEEEvi20rocsparse_direction_NS_24const_host_device_scalarIT2_EEPKiS8_PKS5_SA_S6_PS5_21rocsparse_index_base_b, .Lfunc_end140-_ZN9rocsparseL19gebsrmvn_4xn_kernelILj128ELj7ELj64E21rocsparse_complex_numIdEEEvi20rocsparse_direction_NS_24const_host_device_scalarIT2_EEPKiS8_PKS5_SA_S6_PS5_21rocsparse_index_base_b
                                        ; -- End function
	.set _ZN9rocsparseL19gebsrmvn_4xn_kernelILj128ELj7ELj64E21rocsparse_complex_numIdEEEvi20rocsparse_direction_NS_24const_host_device_scalarIT2_EEPKiS8_PKS5_SA_S6_PS5_21rocsparse_index_base_b.num_vgpr, 66
	.set _ZN9rocsparseL19gebsrmvn_4xn_kernelILj128ELj7ELj64E21rocsparse_complex_numIdEEEvi20rocsparse_direction_NS_24const_host_device_scalarIT2_EEPKiS8_PKS5_SA_S6_PS5_21rocsparse_index_base_b.num_agpr, 0
	.set _ZN9rocsparseL19gebsrmvn_4xn_kernelILj128ELj7ELj64E21rocsparse_complex_numIdEEEvi20rocsparse_direction_NS_24const_host_device_scalarIT2_EEPKiS8_PKS5_SA_S6_PS5_21rocsparse_index_base_b.numbered_sgpr, 16
	.set _ZN9rocsparseL19gebsrmvn_4xn_kernelILj128ELj7ELj64E21rocsparse_complex_numIdEEEvi20rocsparse_direction_NS_24const_host_device_scalarIT2_EEPKiS8_PKS5_SA_S6_PS5_21rocsparse_index_base_b.num_named_barrier, 0
	.set _ZN9rocsparseL19gebsrmvn_4xn_kernelILj128ELj7ELj64E21rocsparse_complex_numIdEEEvi20rocsparse_direction_NS_24const_host_device_scalarIT2_EEPKiS8_PKS5_SA_S6_PS5_21rocsparse_index_base_b.private_seg_size, 0
	.set _ZN9rocsparseL19gebsrmvn_4xn_kernelILj128ELj7ELj64E21rocsparse_complex_numIdEEEvi20rocsparse_direction_NS_24const_host_device_scalarIT2_EEPKiS8_PKS5_SA_S6_PS5_21rocsparse_index_base_b.uses_vcc, 1
	.set _ZN9rocsparseL19gebsrmvn_4xn_kernelILj128ELj7ELj64E21rocsparse_complex_numIdEEEvi20rocsparse_direction_NS_24const_host_device_scalarIT2_EEPKiS8_PKS5_SA_S6_PS5_21rocsparse_index_base_b.uses_flat_scratch, 0
	.set _ZN9rocsparseL19gebsrmvn_4xn_kernelILj128ELj7ELj64E21rocsparse_complex_numIdEEEvi20rocsparse_direction_NS_24const_host_device_scalarIT2_EEPKiS8_PKS5_SA_S6_PS5_21rocsparse_index_base_b.has_dyn_sized_stack, 0
	.set _ZN9rocsparseL19gebsrmvn_4xn_kernelILj128ELj7ELj64E21rocsparse_complex_numIdEEEvi20rocsparse_direction_NS_24const_host_device_scalarIT2_EEPKiS8_PKS5_SA_S6_PS5_21rocsparse_index_base_b.has_recursion, 0
	.set _ZN9rocsparseL19gebsrmvn_4xn_kernelILj128ELj7ELj64E21rocsparse_complex_numIdEEEvi20rocsparse_direction_NS_24const_host_device_scalarIT2_EEPKiS8_PKS5_SA_S6_PS5_21rocsparse_index_base_b.has_indirect_call, 0
	.section	.AMDGPU.csdata,"",@progbits
; Kernel info:
; codeLenInByte = 3844
; TotalNumSgprs: 20
; NumVgprs: 66
; ScratchSize: 0
; MemoryBound: 0
; FloatMode: 240
; IeeeMode: 1
; LDSByteSize: 0 bytes/workgroup (compile time only)
; SGPRBlocks: 2
; VGPRBlocks: 16
; NumSGPRsForWavesPerEU: 20
; NumVGPRsForWavesPerEU: 66
; Occupancy: 3
; WaveLimiterHint : 1
; COMPUTE_PGM_RSRC2:SCRATCH_EN: 0
; COMPUTE_PGM_RSRC2:USER_SGPR: 6
; COMPUTE_PGM_RSRC2:TRAP_HANDLER: 0
; COMPUTE_PGM_RSRC2:TGID_X_EN: 1
; COMPUTE_PGM_RSRC2:TGID_Y_EN: 0
; COMPUTE_PGM_RSRC2:TGID_Z_EN: 0
; COMPUTE_PGM_RSRC2:TIDIG_COMP_CNT: 0
	.section	.text._ZN9rocsparseL19gebsrmvn_4xn_kernelILj128ELj8ELj4E21rocsparse_complex_numIdEEEvi20rocsparse_direction_NS_24const_host_device_scalarIT2_EEPKiS8_PKS5_SA_S6_PS5_21rocsparse_index_base_b,"axG",@progbits,_ZN9rocsparseL19gebsrmvn_4xn_kernelILj128ELj8ELj4E21rocsparse_complex_numIdEEEvi20rocsparse_direction_NS_24const_host_device_scalarIT2_EEPKiS8_PKS5_SA_S6_PS5_21rocsparse_index_base_b,comdat
	.globl	_ZN9rocsparseL19gebsrmvn_4xn_kernelILj128ELj8ELj4E21rocsparse_complex_numIdEEEvi20rocsparse_direction_NS_24const_host_device_scalarIT2_EEPKiS8_PKS5_SA_S6_PS5_21rocsparse_index_base_b ; -- Begin function _ZN9rocsparseL19gebsrmvn_4xn_kernelILj128ELj8ELj4E21rocsparse_complex_numIdEEEvi20rocsparse_direction_NS_24const_host_device_scalarIT2_EEPKiS8_PKS5_SA_S6_PS5_21rocsparse_index_base_b
	.p2align	8
	.type	_ZN9rocsparseL19gebsrmvn_4xn_kernelILj128ELj8ELj4E21rocsparse_complex_numIdEEEvi20rocsparse_direction_NS_24const_host_device_scalarIT2_EEPKiS8_PKS5_SA_S6_PS5_21rocsparse_index_base_b,@function
_ZN9rocsparseL19gebsrmvn_4xn_kernelILj128ELj8ELj4E21rocsparse_complex_numIdEEEvi20rocsparse_direction_NS_24const_host_device_scalarIT2_EEPKiS8_PKS5_SA_S6_PS5_21rocsparse_index_base_b: ; @_ZN9rocsparseL19gebsrmvn_4xn_kernelILj128ELj8ELj4E21rocsparse_complex_numIdEEEvi20rocsparse_direction_NS_24const_host_device_scalarIT2_EEPKiS8_PKS5_SA_S6_PS5_21rocsparse_index_base_b
; %bb.0:
	s_load_dwordx2 s[0:1], s[4:5], 0x8
	s_load_dwordx2 s[8:9], s[4:5], 0x38
	;; [unrolled: 1-line block ×3, first 2 shown]
	s_add_u32 s7, s4, 8
	s_addc_u32 s10, s5, 0
	s_add_u32 s11, s4, 56
	s_addc_u32 s12, s5, 0
	s_waitcnt lgkmcnt(0)
	s_bitcmp1_b32 s3, 0
	s_cselect_b32 s1, s10, s1
	s_cselect_b32 s0, s7, s0
	v_mov_b32_e32 v1, s0
	v_mov_b32_e32 v2, s1
	flat_load_dwordx4 v[1:4], v[1:2]
	s_cselect_b32 s0, s12, s9
	s_cselect_b32 s1, s11, s8
	v_mov_b32_e32 v5, s1
	v_mov_b32_e32 v6, s0
	flat_load_dwordx4 v[5:8], v[5:6]
	s_waitcnt vmcnt(0) lgkmcnt(0)
	v_cmp_eq_f64_e32 vcc, 0, v[1:2]
	v_cmp_eq_f64_e64 s[0:1], 0, v[3:4]
	s_and_b64 s[10:11], vcc, s[0:1]
	s_mov_b64 s[0:1], -1
	s_and_saveexec_b64 s[8:9], s[10:11]
	s_cbranch_execz .LBB141_2
; %bb.1:
	v_cmp_neq_f64_e32 vcc, 1.0, v[5:6]
	v_cmp_neq_f64_e64 s[0:1], 0, v[7:8]
	s_or_b64 s[0:1], vcc, s[0:1]
	s_orn2_b64 s[0:1], s[0:1], exec
.LBB141_2:
	s_or_b64 exec, exec, s[8:9]
	s_and_saveexec_b64 s[8:9], s[0:1]
	s_cbranch_execz .LBB141_25
; %bb.3:
	s_load_dwordx2 s[0:1], s[4:5], 0x0
	v_lshrrev_b32_e32 v9, 2, v0
	v_lshl_or_b32 v9, s6, 5, v9
	s_waitcnt lgkmcnt(0)
	v_cmp_gt_i32_e32 vcc, s0, v9
	s_and_b64 exec, exec, vcc
	s_cbranch_execz .LBB141_25
; %bb.4:
	s_load_dwordx8 s[8:15], s[4:5], 0x18
	v_ashrrev_i32_e32 v10, 31, v9
	v_lshlrev_b64 v[10:11], 2, v[9:10]
	v_and_b32_e32 v0, 3, v0
	s_cmp_lg_u32 s1, 0
	s_waitcnt lgkmcnt(0)
	v_mov_b32_e32 v12, s9
	v_add_co_u32_e32 v10, vcc, s8, v10
	v_addc_co_u32_e32 v11, vcc, v12, v11, vcc
	global_load_dwordx2 v[10:11], v[10:11], off
	s_waitcnt vmcnt(0)
	v_subrev_u32_e32 v10, s2, v10
	v_subrev_u32_e32 v34, s2, v11
	v_add_u32_e32 v10, v10, v0
	v_cmp_lt_i32_e64 s[0:1], v10, v34
	s_cbranch_scc0 .LBB141_12
; %bb.5:
	v_mov_b32_e32 v16, 0
	v_mov_b32_e32 v22, 0
	v_mov_b32_e32 v14, 0
	v_mov_b32_e32 v12, 0
	v_mov_b32_e32 v20, 0
	v_mov_b32_e32 v18, 0
	v_mov_b32_e32 v26, 0
	v_mov_b32_e32 v24, 0
	v_mov_b32_e32 v17, 0
	v_mov_b32_e32 v23, 0
	v_mov_b32_e32 v15, 0
	v_mov_b32_e32 v13, 0
	v_mov_b32_e32 v21, 0
	v_mov_b32_e32 v19, 0
	v_mov_b32_e32 v27, 0
	v_mov_b32_e32 v25, 0
	s_and_saveexec_b64 s[6:7], s[0:1]
	s_cbranch_execz .LBB141_11
; %bb.6:
	s_add_u32 s3, s14, 16
	s_addc_u32 s16, s15, 0
	v_lshlrev_b32_e32 v28, 5, v10
	v_mov_b32_e32 v16, 0
	v_mov_b32_e32 v22, 0
	;; [unrolled: 1-line block ×8, first 2 shown]
	v_or_b32_e32 v11, 4, v28
	v_mov_b32_e32 v17, 0
	s_mov_b64 s[8:9], 0
	v_mov_b32_e32 v30, 0
	v_mov_b32_e32 v35, s13
	;; [unrolled: 1-line block ×12, first 2 shown]
.LBB141_7:                              ; =>This Loop Header: Depth=1
                                        ;     Child Loop BB141_8 Depth 2
	v_ashrrev_i32_e32 v32, 31, v31
	v_lshlrev_b64 v[32:33], 2, v[31:32]
	v_mov_b32_e32 v29, v30
	v_add_co_u32_e32 v32, vcc, s10, v32
	v_addc_co_u32_e32 v33, vcc, v36, v33, vcc
	global_load_dword v40, v[32:33], off
	v_lshlrev_b64 v[32:33], 4, v[28:29]
	s_mov_b64 s[16:17], 0
	v_add_co_u32_e32 v38, vcc, s12, v32
	v_addc_co_u32_e32 v39, vcc, v35, v33, vcc
	s_waitcnt vmcnt(0)
	v_subrev_u32_e32 v29, s2, v40
	v_lshlrev_b32_e32 v29, 3, v29
	v_lshlrev_b64 v[32:33], 4, v[29:30]
	v_mov_b32_e32 v29, v11
	v_add_co_u32_e32 v32, vcc, s3, v32
	v_addc_co_u32_e32 v33, vcc, v37, v33, vcc
.LBB141_8:                              ;   Parent Loop BB141_7 Depth=1
                                        ; =>  This Inner Loop Header: Depth=2
	v_mov_b32_e32 v48, s17
	v_add_co_u32_e32 v64, vcc, s16, v38
	v_addc_co_u32_e32 v65, vcc, v39, v48, vcc
	global_load_dwordx4 v[40:43], v[32:33], off
	global_load_dwordx4 v[44:47], v[32:33], off offset:-16
	global_load_dwordx4 v[48:51], v[64:65], off
	global_load_dwordx4 v[52:55], v[64:65], off offset:16
	global_load_dwordx4 v[56:59], v[64:65], off offset:32
	;; [unrolled: 1-line block ×3, first 2 shown]
	v_lshlrev_b64 v[64:65], 4, v[29:30]
	v_mov_b32_e32 v66, s13
	v_add_co_u32_e32 v80, vcc, s12, v64
	v_addc_co_u32_e32 v81, vcc, v66, v65, vcc
	global_load_dwordx4 v[64:67], v[80:81], off
	global_load_dwordx4 v[68:71], v[80:81], off offset:16
	global_load_dwordx4 v[72:75], v[80:81], off offset:32
	;; [unrolled: 1-line block ×3, first 2 shown]
	s_add_u32 s16, s16, 0x80
	v_add_co_u32_e32 v32, vcc, 32, v32
	s_addc_u32 s17, s17, 0
	v_add_u32_e32 v29, 8, v29
	s_cmpk_eq_i32 s16, 0x200
	v_addc_co_u32_e32 v33, vcc, 0, v33, vcc
	s_waitcnt vmcnt(7)
	v_fma_f64 v[22:23], v[48:49], v[44:45], v[22:23]
	v_fma_f64 v[16:17], v[50:51], v[44:45], v[16:17]
	s_waitcnt vmcnt(6)
	v_fma_f64 v[26:27], v[52:53], v[44:45], v[26:27]
	v_fma_f64 v[24:25], v[54:55], v[44:45], v[24:25]
	;; [unrolled: 3-line block ×4, first 2 shown]
	v_fma_f64 v[22:23], -v[50:51], v[46:47], v[22:23]
	v_fma_f64 v[16:17], v[48:49], v[46:47], v[16:17]
	v_fma_f64 v[26:27], -v[54:55], v[46:47], v[26:27]
	v_fma_f64 v[24:25], v[52:53], v[46:47], v[24:25]
	;; [unrolled: 2-line block ×4, first 2 shown]
	s_waitcnt vmcnt(3)
	v_fma_f64 v[22:23], v[64:65], v[40:41], v[22:23]
	v_fma_f64 v[16:17], v[66:67], v[40:41], v[16:17]
	s_waitcnt vmcnt(2)
	v_fma_f64 v[26:27], v[68:69], v[40:41], v[26:27]
	v_fma_f64 v[24:25], v[70:71], v[40:41], v[24:25]
	s_waitcnt vmcnt(1)
	v_fma_f64 v[20:21], v[72:73], v[40:41], v[20:21]
	v_fma_f64 v[18:19], v[74:75], v[40:41], v[18:19]
	s_waitcnt vmcnt(0)
	v_fma_f64 v[14:15], v[76:77], v[40:41], v[14:15]
	v_fma_f64 v[12:13], v[78:79], v[40:41], v[12:13]
	v_fma_f64 v[22:23], -v[66:67], v[42:43], v[22:23]
	v_fma_f64 v[16:17], v[64:65], v[42:43], v[16:17]
	v_fma_f64 v[26:27], -v[70:71], v[42:43], v[26:27]
	v_fma_f64 v[24:25], v[68:69], v[42:43], v[24:25]
	;; [unrolled: 2-line block ×4, first 2 shown]
	s_cbranch_scc0 .LBB141_8
; %bb.9:                                ;   in Loop: Header=BB141_7 Depth=1
	v_add_u32_e32 v31, 4, v31
	v_cmp_ge_i32_e32 vcc, v31, v34
	v_add_u32_e32 v11, 0x80, v11
	s_or_b64 s[8:9], vcc, s[8:9]
	v_add_u32_e32 v28, 0x80, v28
	s_andn2_b64 exec, exec, s[8:9]
	s_cbranch_execnz .LBB141_7
; %bb.10:
	s_or_b64 exec, exec, s[8:9]
.LBB141_11:
	s_or_b64 exec, exec, s[6:7]
	s_cbranch_execz .LBB141_13
	s_branch .LBB141_20
.LBB141_12:
                                        ; implicit-def: $vgpr16_vgpr17
                                        ; implicit-def: $vgpr22_vgpr23
                                        ; implicit-def: $vgpr14_vgpr15
                                        ; implicit-def: $vgpr12_vgpr13
                                        ; implicit-def: $vgpr20_vgpr21
                                        ; implicit-def: $vgpr18_vgpr19
                                        ; implicit-def: $vgpr26_vgpr27
                                        ; implicit-def: $vgpr24_vgpr25
.LBB141_13:
	v_mov_b32_e32 v16, 0
	v_mov_b32_e32 v22, 0
	;; [unrolled: 1-line block ×16, first 2 shown]
	s_and_saveexec_b64 s[6:7], s[0:1]
	s_cbranch_execz .LBB141_19
; %bb.14:
	v_mov_b32_e32 v16, 0
	v_mov_b32_e32 v22, 0
	v_mov_b32_e32 v14, 0
	v_mov_b32_e32 v12, 0
	v_mov_b32_e32 v20, 0
	v_mov_b32_e32 v18, 0
	v_mov_b32_e32 v26, 0
	v_mov_b32_e32 v24, 0
	v_lshlrev_b32_e32 v28, 5, v10
	v_mov_b32_e32 v17, 0
	s_mov_b64 s[8:9], 0
	v_mov_b32_e32 v29, 0
	v_mov_b32_e32 v30, s13
	;; [unrolled: 1-line block ×11, first 2 shown]
.LBB141_15:                             ; =>This Loop Header: Depth=1
                                        ;     Child Loop BB141_16 Depth 2
	v_ashrrev_i32_e32 v11, 31, v10
	v_lshlrev_b64 v[35:36], 2, v[10:11]
	v_mov_b32_e32 v37, v29
	v_add_co_u32_e32 v35, vcc, s10, v35
	v_addc_co_u32_e32 v36, vcc, v31, v36, vcc
	global_load_dword v38, v[35:36], off
	v_lshlrev_b64 v[35:36], 4, v[28:29]
	s_mov_b64 s[16:17], 0
	v_add_co_u32_e32 v11, vcc, s12, v35
	v_addc_co_u32_e32 v33, vcc, v30, v36, vcc
	s_waitcnt vmcnt(0)
	v_subrev_u32_e32 v35, s2, v38
	v_lshlrev_b32_e32 v36, 3, v35
	v_lshlrev_b64 v[35:36], 4, v[36:37]
	v_add_co_u32_e32 v35, vcc, s14, v35
	v_addc_co_u32_e32 v36, vcc, v32, v36, vcc
.LBB141_16:                             ;   Parent Loop BB141_15 Depth=1
                                        ; =>  This Inner Loop Header: Depth=2
	v_mov_b32_e32 v37, s17
	v_add_co_u32_e64 v79, s[0:1], s16, v11
	v_add_co_u32_e32 v77, vcc, s16, v35
	v_addc_co_u32_e64 v80, s[0:1], v33, v37, s[0:1]
	v_addc_co_u32_e32 v78, vcc, v36, v37, vcc
	global_load_dwordx4 v[37:40], v[79:80], off
	global_load_dwordx4 v[41:44], v[77:78], off
	global_load_dwordx4 v[45:48], v[79:80], off offset:128
	global_load_dwordx4 v[49:52], v[79:80], off offset:256
	;; [unrolled: 1-line block ×8, first 2 shown]
	s_add_u32 s16, s16, 32
	s_addc_u32 s17, s17, 0
	s_cmpk_eq_i32 s16, 0x80
	s_waitcnt vmcnt(8)
	v_fma_f64 v[22:23], v[37:38], v[41:42], v[22:23]
	v_fma_f64 v[16:17], v[39:40], v[41:42], v[16:17]
	s_waitcnt vmcnt(7)
	v_fma_f64 v[26:27], v[45:46], v[41:42], v[26:27]
	v_fma_f64 v[24:25], v[47:48], v[41:42], v[24:25]
	;; [unrolled: 3-line block ×4, first 2 shown]
	v_fma_f64 v[22:23], -v[39:40], v[43:44], v[22:23]
	v_fma_f64 v[16:17], v[37:38], v[43:44], v[16:17]
	v_fma_f64 v[26:27], -v[47:48], v[43:44], v[26:27]
	v_fma_f64 v[24:25], v[45:46], v[43:44], v[24:25]
	;; [unrolled: 2-line block ×4, first 2 shown]
	s_waitcnt vmcnt(3)
	v_fma_f64 v[22:23], v[57:58], v[61:62], v[22:23]
	v_fma_f64 v[16:17], v[59:60], v[61:62], v[16:17]
	s_waitcnt vmcnt(2)
	v_fma_f64 v[26:27], v[65:66], v[61:62], v[26:27]
	v_fma_f64 v[24:25], v[67:68], v[61:62], v[24:25]
	;; [unrolled: 3-line block ×4, first 2 shown]
	v_fma_f64 v[22:23], -v[59:60], v[63:64], v[22:23]
	v_fma_f64 v[16:17], v[57:58], v[63:64], v[16:17]
	v_fma_f64 v[26:27], -v[67:68], v[63:64], v[26:27]
	v_fma_f64 v[24:25], v[65:66], v[63:64], v[24:25]
	;; [unrolled: 2-line block ×4, first 2 shown]
	s_cbranch_scc0 .LBB141_16
; %bb.17:                               ;   in Loop: Header=BB141_15 Depth=1
	v_add_u32_e32 v10, 4, v10
	v_cmp_ge_i32_e32 vcc, v10, v34
	s_or_b64 s[8:9], vcc, s[8:9]
	v_add_u32_e32 v28, 0x80, v28
	s_andn2_b64 exec, exec, s[8:9]
	s_cbranch_execnz .LBB141_15
; %bb.18:
	s_or_b64 exec, exec, s[8:9]
.LBB141_19:
	s_or_b64 exec, exec, s[6:7]
.LBB141_20:
	v_mov_b32_dpp v10, v22 row_shr:1 row_mask:0xf bank_mask:0xf
	v_mov_b32_dpp v11, v23 row_shr:1 row_mask:0xf bank_mask:0xf
	v_mov_b32_dpp v34, v20 row_shr:1 row_mask:0xf bank_mask:0xf
	v_mov_b32_dpp v35, v21 row_shr:1 row_mask:0xf bank_mask:0xf
	v_add_f64 v[10:11], v[22:23], v[10:11]
	v_mov_b32_dpp v22, v16 row_shr:1 row_mask:0xf bank_mask:0xf
	v_mov_b32_dpp v23, v17 row_shr:1 row_mask:0xf bank_mask:0xf
	v_add_f64 v[20:21], v[20:21], v[34:35]
	v_mov_b32_dpp v34, v18 row_shr:1 row_mask:0xf bank_mask:0xf
	v_mov_b32_dpp v35, v19 row_shr:1 row_mask:0xf bank_mask:0xf
	;; [unrolled: 3-line block ×6, first 2 shown]
	v_add_f64 v[28:29], v[24:25], v[16:17]
	v_add_f64 v[34:35], v[12:13], v[34:35]
	v_mov_b32_dpp v16, v10 row_shr:2 row_mask:0xf bank_mask:0xf
	v_mov_b32_dpp v17, v11 row_shr:2 row_mask:0xf bank_mask:0xf
	;; [unrolled: 1-line block ×16, first 2 shown]
	v_cmp_eq_u32_e32 vcc, 3, v0
	s_and_b64 exec, exec, vcc
	s_cbranch_execz .LBB141_25
; %bb.21:
	v_cmp_eq_f64_e32 vcc, 0, v[5:6]
	v_cmp_eq_f64_e64 s[0:1], 0, v[7:8]
	v_add_f64 v[16:17], v[10:11], v[16:17]
	v_add_f64 v[24:25], v[22:23], v[24:25]
	;; [unrolled: 1-line block ×8, first 2 shown]
	s_load_dwordx2 s[2:3], s[4:5], 0x48
	s_and_b64 s[0:1], vcc, s[0:1]
	s_and_saveexec_b64 s[4:5], s[0:1]
	s_xor_b64 s[0:1], exec, s[4:5]
	s_cbranch_execz .LBB141_23
; %bb.22:
	v_mul_f64 v[5:6], v[24:25], -v[3:4]
	v_mul_f64 v[7:8], v[1:2], v[24:25]
	v_mul_f64 v[26:27], v[22:23], -v[3:4]
	v_mul_f64 v[22:23], v[1:2], v[22:23]
	;; [unrolled: 2-line block ×4, first 2 shown]
	v_fma_f64 v[5:6], v[1:2], v[16:17], v[5:6]
	v_fma_f64 v[7:8], v[3:4], v[16:17], v[7:8]
	;; [unrolled: 1-line block ×4, first 2 shown]
	v_lshlrev_b32_e32 v24, 2, v9
	v_fma_f64 v[9:10], v[1:2], v[12:13], v[28:29]
	v_fma_f64 v[11:12], v[3:4], v[12:13], v[20:21]
	v_ashrrev_i32_e32 v25, 31, v24
	v_fma_f64 v[0:1], v[1:2], v[14:15], v[30:31]
	v_fma_f64 v[2:3], v[3:4], v[14:15], v[32:33]
	v_lshlrev_b64 v[24:25], 4, v[24:25]
	s_waitcnt lgkmcnt(0)
	v_mov_b32_e32 v34, s3
	v_add_co_u32_e32 v13, vcc, s2, v24
	v_addc_co_u32_e32 v14, vcc, v34, v25, vcc
	global_store_dwordx4 v[13:14], v[5:8], off
	global_store_dwordx4 v[13:14], v[16:19], off offset:16
	global_store_dwordx4 v[13:14], v[9:12], off offset:32
	;; [unrolled: 1-line block ×3, first 2 shown]
                                        ; implicit-def: $vgpr9
                                        ; implicit-def: $vgpr16_vgpr17
                                        ; implicit-def: $vgpr24_vgpr25
                                        ; implicit-def: $vgpr10_vgpr11
                                        ; implicit-def: $vgpr22_vgpr23
                                        ; implicit-def: $vgpr12_vgpr13
                                        ; implicit-def: $vgpr20_vgpr21
                                        ; implicit-def: $vgpr14_vgpr15
                                        ; implicit-def: $vgpr18_vgpr19
                                        ; implicit-def: $vgpr7_vgpr8
                                        ; implicit-def: $vgpr3_vgpr4
.LBB141_23:
	s_andn2_saveexec_b64 s[0:1], s[0:1]
	s_cbranch_execz .LBB141_25
; %bb.24:
	v_lshlrev_b32_e32 v26, 2, v9
	v_ashrrev_i32_e32 v27, 31, v26
	v_lshlrev_b64 v[26:27], 4, v[26:27]
	s_waitcnt lgkmcnt(0)
	v_mov_b32_e32 v0, s3
	v_add_co_u32_e32 v42, vcc, s2, v26
	v_addc_co_u32_e32 v43, vcc, v0, v27, vcc
	global_load_dwordx4 v[26:29], v[42:43], off
	global_load_dwordx4 v[30:33], v[42:43], off offset:16
	global_load_dwordx4 v[34:37], v[42:43], off offset:32
	;; [unrolled: 1-line block ×3, first 2 shown]
	v_mul_f64 v[44:45], v[24:25], -v[3:4]
	v_mul_f64 v[24:25], v[1:2], v[24:25]
	v_mul_f64 v[46:47], v[22:23], -v[3:4]
	v_mul_f64 v[22:23], v[1:2], v[22:23]
	;; [unrolled: 2-line block ×4, first 2 shown]
	v_fma_f64 v[44:45], v[1:2], v[16:17], v[44:45]
	v_fma_f64 v[16:17], v[3:4], v[16:17], v[24:25]
	;; [unrolled: 1-line block ×8, first 2 shown]
	s_waitcnt vmcnt(3)
	v_fma_f64 v[13:14], v[5:6], v[26:27], v[44:45]
	v_fma_f64 v[15:16], v[7:8], v[26:27], v[16:17]
	s_waitcnt vmcnt(2)
	v_fma_f64 v[17:18], v[5:6], v[30:31], v[24:25]
	v_fma_f64 v[19:20], v[7:8], v[30:31], v[9:10]
	;; [unrolled: 3-line block ×4, first 2 shown]
	v_fma_f64 v[0:1], -v[7:8], v[28:29], v[13:14]
	v_fma_f64 v[2:3], v[5:6], v[28:29], v[15:16]
	v_fma_f64 v[9:10], -v[7:8], v[32:33], v[17:18]
	v_fma_f64 v[11:12], v[5:6], v[32:33], v[19:20]
	;; [unrolled: 2-line block ×4, first 2 shown]
	global_store_dwordx4 v[42:43], v[0:3], off
	global_store_dwordx4 v[42:43], v[9:12], off offset:16
	global_store_dwordx4 v[42:43], v[13:16], off offset:32
	;; [unrolled: 1-line block ×3, first 2 shown]
.LBB141_25:
	s_endpgm
	.section	.rodata,"a",@progbits
	.p2align	6, 0x0
	.amdhsa_kernel _ZN9rocsparseL19gebsrmvn_4xn_kernelILj128ELj8ELj4E21rocsparse_complex_numIdEEEvi20rocsparse_direction_NS_24const_host_device_scalarIT2_EEPKiS8_PKS5_SA_S6_PS5_21rocsparse_index_base_b
		.amdhsa_group_segment_fixed_size 0
		.amdhsa_private_segment_fixed_size 0
		.amdhsa_kernarg_size 88
		.amdhsa_user_sgpr_count 6
		.amdhsa_user_sgpr_private_segment_buffer 1
		.amdhsa_user_sgpr_dispatch_ptr 0
		.amdhsa_user_sgpr_queue_ptr 0
		.amdhsa_user_sgpr_kernarg_segment_ptr 1
		.amdhsa_user_sgpr_dispatch_id 0
		.amdhsa_user_sgpr_flat_scratch_init 0
		.amdhsa_user_sgpr_private_segment_size 0
		.amdhsa_uses_dynamic_stack 0
		.amdhsa_system_sgpr_private_segment_wavefront_offset 0
		.amdhsa_system_sgpr_workgroup_id_x 1
		.amdhsa_system_sgpr_workgroup_id_y 0
		.amdhsa_system_sgpr_workgroup_id_z 0
		.amdhsa_system_sgpr_workgroup_info 0
		.amdhsa_system_vgpr_workitem_id 0
		.amdhsa_next_free_vgpr 82
		.amdhsa_next_free_sgpr 18
		.amdhsa_reserve_vcc 1
		.amdhsa_reserve_flat_scratch 0
		.amdhsa_float_round_mode_32 0
		.amdhsa_float_round_mode_16_64 0
		.amdhsa_float_denorm_mode_32 3
		.amdhsa_float_denorm_mode_16_64 3
		.amdhsa_dx10_clamp 1
		.amdhsa_ieee_mode 1
		.amdhsa_fp16_overflow 0
		.amdhsa_exception_fp_ieee_invalid_op 0
		.amdhsa_exception_fp_denorm_src 0
		.amdhsa_exception_fp_ieee_div_zero 0
		.amdhsa_exception_fp_ieee_overflow 0
		.amdhsa_exception_fp_ieee_underflow 0
		.amdhsa_exception_fp_ieee_inexact 0
		.amdhsa_exception_int_div_zero 0
	.end_amdhsa_kernel
	.section	.text._ZN9rocsparseL19gebsrmvn_4xn_kernelILj128ELj8ELj4E21rocsparse_complex_numIdEEEvi20rocsparse_direction_NS_24const_host_device_scalarIT2_EEPKiS8_PKS5_SA_S6_PS5_21rocsparse_index_base_b,"axG",@progbits,_ZN9rocsparseL19gebsrmvn_4xn_kernelILj128ELj8ELj4E21rocsparse_complex_numIdEEEvi20rocsparse_direction_NS_24const_host_device_scalarIT2_EEPKiS8_PKS5_SA_S6_PS5_21rocsparse_index_base_b,comdat
.Lfunc_end141:
	.size	_ZN9rocsparseL19gebsrmvn_4xn_kernelILj128ELj8ELj4E21rocsparse_complex_numIdEEEvi20rocsparse_direction_NS_24const_host_device_scalarIT2_EEPKiS8_PKS5_SA_S6_PS5_21rocsparse_index_base_b, .Lfunc_end141-_ZN9rocsparseL19gebsrmvn_4xn_kernelILj128ELj8ELj4E21rocsparse_complex_numIdEEEvi20rocsparse_direction_NS_24const_host_device_scalarIT2_EEPKiS8_PKS5_SA_S6_PS5_21rocsparse_index_base_b
                                        ; -- End function
	.set _ZN9rocsparseL19gebsrmvn_4xn_kernelILj128ELj8ELj4E21rocsparse_complex_numIdEEEvi20rocsparse_direction_NS_24const_host_device_scalarIT2_EEPKiS8_PKS5_SA_S6_PS5_21rocsparse_index_base_b.num_vgpr, 82
	.set _ZN9rocsparseL19gebsrmvn_4xn_kernelILj128ELj8ELj4E21rocsparse_complex_numIdEEEvi20rocsparse_direction_NS_24const_host_device_scalarIT2_EEPKiS8_PKS5_SA_S6_PS5_21rocsparse_index_base_b.num_agpr, 0
	.set _ZN9rocsparseL19gebsrmvn_4xn_kernelILj128ELj8ELj4E21rocsparse_complex_numIdEEEvi20rocsparse_direction_NS_24const_host_device_scalarIT2_EEPKiS8_PKS5_SA_S6_PS5_21rocsparse_index_base_b.numbered_sgpr, 18
	.set _ZN9rocsparseL19gebsrmvn_4xn_kernelILj128ELj8ELj4E21rocsparse_complex_numIdEEEvi20rocsparse_direction_NS_24const_host_device_scalarIT2_EEPKiS8_PKS5_SA_S6_PS5_21rocsparse_index_base_b.num_named_barrier, 0
	.set _ZN9rocsparseL19gebsrmvn_4xn_kernelILj128ELj8ELj4E21rocsparse_complex_numIdEEEvi20rocsparse_direction_NS_24const_host_device_scalarIT2_EEPKiS8_PKS5_SA_S6_PS5_21rocsparse_index_base_b.private_seg_size, 0
	.set _ZN9rocsparseL19gebsrmvn_4xn_kernelILj128ELj8ELj4E21rocsparse_complex_numIdEEEvi20rocsparse_direction_NS_24const_host_device_scalarIT2_EEPKiS8_PKS5_SA_S6_PS5_21rocsparse_index_base_b.uses_vcc, 1
	.set _ZN9rocsparseL19gebsrmvn_4xn_kernelILj128ELj8ELj4E21rocsparse_complex_numIdEEEvi20rocsparse_direction_NS_24const_host_device_scalarIT2_EEPKiS8_PKS5_SA_S6_PS5_21rocsparse_index_base_b.uses_flat_scratch, 0
	.set _ZN9rocsparseL19gebsrmvn_4xn_kernelILj128ELj8ELj4E21rocsparse_complex_numIdEEEvi20rocsparse_direction_NS_24const_host_device_scalarIT2_EEPKiS8_PKS5_SA_S6_PS5_21rocsparse_index_base_b.has_dyn_sized_stack, 0
	.set _ZN9rocsparseL19gebsrmvn_4xn_kernelILj128ELj8ELj4E21rocsparse_complex_numIdEEEvi20rocsparse_direction_NS_24const_host_device_scalarIT2_EEPKiS8_PKS5_SA_S6_PS5_21rocsparse_index_base_b.has_recursion, 0
	.set _ZN9rocsparseL19gebsrmvn_4xn_kernelILj128ELj8ELj4E21rocsparse_complex_numIdEEEvi20rocsparse_direction_NS_24const_host_device_scalarIT2_EEPKiS8_PKS5_SA_S6_PS5_21rocsparse_index_base_b.has_indirect_call, 0
	.section	.AMDGPU.csdata,"",@progbits
; Kernel info:
; codeLenInByte = 2712
; TotalNumSgprs: 22
; NumVgprs: 82
; ScratchSize: 0
; MemoryBound: 0
; FloatMode: 240
; IeeeMode: 1
; LDSByteSize: 0 bytes/workgroup (compile time only)
; SGPRBlocks: 2
; VGPRBlocks: 20
; NumSGPRsForWavesPerEU: 22
; NumVGPRsForWavesPerEU: 82
; Occupancy: 3
; WaveLimiterHint : 1
; COMPUTE_PGM_RSRC2:SCRATCH_EN: 0
; COMPUTE_PGM_RSRC2:USER_SGPR: 6
; COMPUTE_PGM_RSRC2:TRAP_HANDLER: 0
; COMPUTE_PGM_RSRC2:TGID_X_EN: 1
; COMPUTE_PGM_RSRC2:TGID_Y_EN: 0
; COMPUTE_PGM_RSRC2:TGID_Z_EN: 0
; COMPUTE_PGM_RSRC2:TIDIG_COMP_CNT: 0
	.section	.text._ZN9rocsparseL19gebsrmvn_4xn_kernelILj128ELj8ELj8E21rocsparse_complex_numIdEEEvi20rocsparse_direction_NS_24const_host_device_scalarIT2_EEPKiS8_PKS5_SA_S6_PS5_21rocsparse_index_base_b,"axG",@progbits,_ZN9rocsparseL19gebsrmvn_4xn_kernelILj128ELj8ELj8E21rocsparse_complex_numIdEEEvi20rocsparse_direction_NS_24const_host_device_scalarIT2_EEPKiS8_PKS5_SA_S6_PS5_21rocsparse_index_base_b,comdat
	.globl	_ZN9rocsparseL19gebsrmvn_4xn_kernelILj128ELj8ELj8E21rocsparse_complex_numIdEEEvi20rocsparse_direction_NS_24const_host_device_scalarIT2_EEPKiS8_PKS5_SA_S6_PS5_21rocsparse_index_base_b ; -- Begin function _ZN9rocsparseL19gebsrmvn_4xn_kernelILj128ELj8ELj8E21rocsparse_complex_numIdEEEvi20rocsparse_direction_NS_24const_host_device_scalarIT2_EEPKiS8_PKS5_SA_S6_PS5_21rocsparse_index_base_b
	.p2align	8
	.type	_ZN9rocsparseL19gebsrmvn_4xn_kernelILj128ELj8ELj8E21rocsparse_complex_numIdEEEvi20rocsparse_direction_NS_24const_host_device_scalarIT2_EEPKiS8_PKS5_SA_S6_PS5_21rocsparse_index_base_b,@function
_ZN9rocsparseL19gebsrmvn_4xn_kernelILj128ELj8ELj8E21rocsparse_complex_numIdEEEvi20rocsparse_direction_NS_24const_host_device_scalarIT2_EEPKiS8_PKS5_SA_S6_PS5_21rocsparse_index_base_b: ; @_ZN9rocsparseL19gebsrmvn_4xn_kernelILj128ELj8ELj8E21rocsparse_complex_numIdEEEvi20rocsparse_direction_NS_24const_host_device_scalarIT2_EEPKiS8_PKS5_SA_S6_PS5_21rocsparse_index_base_b
; %bb.0:
	s_load_dwordx2 s[0:1], s[4:5], 0x8
	s_load_dwordx2 s[8:9], s[4:5], 0x38
	;; [unrolled: 1-line block ×3, first 2 shown]
	s_add_u32 s7, s4, 8
	s_addc_u32 s10, s5, 0
	s_add_u32 s11, s4, 56
	s_addc_u32 s12, s5, 0
	s_waitcnt lgkmcnt(0)
	s_bitcmp1_b32 s3, 0
	s_cselect_b32 s1, s10, s1
	s_cselect_b32 s0, s7, s0
	v_mov_b32_e32 v1, s0
	v_mov_b32_e32 v2, s1
	flat_load_dwordx4 v[1:4], v[1:2]
	s_cselect_b32 s0, s12, s9
	s_cselect_b32 s1, s11, s8
	v_mov_b32_e32 v5, s1
	v_mov_b32_e32 v6, s0
	flat_load_dwordx4 v[5:8], v[5:6]
	s_waitcnt vmcnt(0) lgkmcnt(0)
	v_cmp_eq_f64_e32 vcc, 0, v[1:2]
	v_cmp_eq_f64_e64 s[0:1], 0, v[3:4]
	s_and_b64 s[10:11], vcc, s[0:1]
	s_mov_b64 s[0:1], -1
	s_and_saveexec_b64 s[8:9], s[10:11]
	s_cbranch_execz .LBB142_2
; %bb.1:
	v_cmp_neq_f64_e32 vcc, 1.0, v[5:6]
	v_cmp_neq_f64_e64 s[0:1], 0, v[7:8]
	s_or_b64 s[0:1], vcc, s[0:1]
	s_orn2_b64 s[0:1], s[0:1], exec
.LBB142_2:
	s_or_b64 exec, exec, s[8:9]
	s_and_saveexec_b64 s[8:9], s[0:1]
	s_cbranch_execz .LBB142_25
; %bb.3:
	s_load_dwordx2 s[0:1], s[4:5], 0x0
	v_lshrrev_b32_e32 v9, 3, v0
	v_lshl_or_b32 v9, s6, 4, v9
	s_waitcnt lgkmcnt(0)
	v_cmp_gt_i32_e32 vcc, s0, v9
	s_and_b64 exec, exec, vcc
	s_cbranch_execz .LBB142_25
; %bb.4:
	s_load_dwordx8 s[8:15], s[4:5], 0x18
	v_ashrrev_i32_e32 v10, 31, v9
	v_lshlrev_b64 v[10:11], 2, v[9:10]
	v_and_b32_e32 v0, 7, v0
	s_cmp_lg_u32 s1, 0
	s_waitcnt lgkmcnt(0)
	v_mov_b32_e32 v12, s9
	v_add_co_u32_e32 v10, vcc, s8, v10
	v_addc_co_u32_e32 v11, vcc, v12, v11, vcc
	global_load_dwordx2 v[10:11], v[10:11], off
	s_waitcnt vmcnt(0)
	v_subrev_u32_e32 v10, s2, v10
	v_subrev_u32_e32 v34, s2, v11
	v_add_u32_e32 v14, v10, v0
	v_cmp_lt_i32_e64 s[0:1], v14, v34
	s_cbranch_scc0 .LBB142_12
; %bb.5:
	v_mov_b32_e32 v18, 0
	v_mov_b32_e32 v26, 0
	;; [unrolled: 1-line block ×16, first 2 shown]
	s_and_saveexec_b64 s[6:7], s[0:1]
	s_cbranch_execz .LBB142_11
; %bb.6:
	s_add_u32 s3, s14, 16
	s_addc_u32 s16, s15, 0
	v_lshlrev_b32_e32 v28, 5, v14
	v_mov_b32_e32 v18, 0
	v_mov_b32_e32 v26, 0
	;; [unrolled: 1-line block ×8, first 2 shown]
	v_or_b32_e32 v15, 4, v28
	v_mov_b32_e32 v19, 0
	s_mov_b64 s[8:9], 0
	v_mov_b32_e32 v30, 0
	v_mov_b32_e32 v35, s13
	;; [unrolled: 1-line block ×12, first 2 shown]
.LBB142_7:                              ; =>This Loop Header: Depth=1
                                        ;     Child Loop BB142_8 Depth 2
	v_ashrrev_i32_e32 v32, 31, v31
	v_lshlrev_b64 v[32:33], 2, v[31:32]
	v_mov_b32_e32 v29, v30
	v_add_co_u32_e32 v32, vcc, s10, v32
	v_addc_co_u32_e32 v33, vcc, v36, v33, vcc
	global_load_dword v40, v[32:33], off
	v_lshlrev_b64 v[32:33], 4, v[28:29]
	s_mov_b64 s[16:17], 0
	v_add_co_u32_e32 v38, vcc, s12, v32
	v_addc_co_u32_e32 v39, vcc, v35, v33, vcc
	s_waitcnt vmcnt(0)
	v_subrev_u32_e32 v29, s2, v40
	v_lshlrev_b32_e32 v29, 3, v29
	v_lshlrev_b64 v[32:33], 4, v[29:30]
	v_mov_b32_e32 v29, v15
	v_add_co_u32_e32 v32, vcc, s3, v32
	v_addc_co_u32_e32 v33, vcc, v37, v33, vcc
.LBB142_8:                              ;   Parent Loop BB142_7 Depth=1
                                        ; =>  This Inner Loop Header: Depth=2
	v_mov_b32_e32 v48, s17
	v_add_co_u32_e32 v64, vcc, s16, v38
	v_addc_co_u32_e32 v65, vcc, v39, v48, vcc
	global_load_dwordx4 v[40:43], v[32:33], off
	global_load_dwordx4 v[44:47], v[32:33], off offset:-16
	global_load_dwordx4 v[48:51], v[64:65], off
	global_load_dwordx4 v[52:55], v[64:65], off offset:16
	global_load_dwordx4 v[56:59], v[64:65], off offset:32
	;; [unrolled: 1-line block ×3, first 2 shown]
	v_lshlrev_b64 v[64:65], 4, v[29:30]
	v_mov_b32_e32 v66, s13
	v_add_co_u32_e32 v80, vcc, s12, v64
	v_addc_co_u32_e32 v81, vcc, v66, v65, vcc
	global_load_dwordx4 v[64:67], v[80:81], off
	global_load_dwordx4 v[68:71], v[80:81], off offset:16
	global_load_dwordx4 v[72:75], v[80:81], off offset:32
	;; [unrolled: 1-line block ×3, first 2 shown]
	s_add_u32 s16, s16, 0x80
	v_add_co_u32_e32 v32, vcc, 32, v32
	s_addc_u32 s17, s17, 0
	v_add_u32_e32 v29, 8, v29
	s_cmpk_eq_i32 s16, 0x200
	v_addc_co_u32_e32 v33, vcc, 0, v33, vcc
	s_waitcnt vmcnt(7)
	v_fma_f64 v[26:27], v[48:49], v[44:45], v[26:27]
	v_fma_f64 v[18:19], v[50:51], v[44:45], v[18:19]
	s_waitcnt vmcnt(6)
	v_fma_f64 v[24:25], v[52:53], v[44:45], v[24:25]
	v_fma_f64 v[22:23], v[54:55], v[44:45], v[22:23]
	;; [unrolled: 3-line block ×4, first 2 shown]
	v_fma_f64 v[26:27], -v[50:51], v[46:47], v[26:27]
	v_fma_f64 v[18:19], v[48:49], v[46:47], v[18:19]
	v_fma_f64 v[24:25], -v[54:55], v[46:47], v[24:25]
	v_fma_f64 v[22:23], v[52:53], v[46:47], v[22:23]
	;; [unrolled: 2-line block ×4, first 2 shown]
	s_waitcnt vmcnt(3)
	v_fma_f64 v[26:27], v[64:65], v[40:41], v[26:27]
	v_fma_f64 v[18:19], v[66:67], v[40:41], v[18:19]
	s_waitcnt vmcnt(2)
	v_fma_f64 v[24:25], v[68:69], v[40:41], v[24:25]
	v_fma_f64 v[22:23], v[70:71], v[40:41], v[22:23]
	;; [unrolled: 3-line block ×4, first 2 shown]
	v_fma_f64 v[26:27], -v[66:67], v[42:43], v[26:27]
	v_fma_f64 v[18:19], v[64:65], v[42:43], v[18:19]
	v_fma_f64 v[24:25], -v[70:71], v[42:43], v[24:25]
	v_fma_f64 v[22:23], v[68:69], v[42:43], v[22:23]
	;; [unrolled: 2-line block ×4, first 2 shown]
	s_cbranch_scc0 .LBB142_8
; %bb.9:                                ;   in Loop: Header=BB142_7 Depth=1
	v_add_u32_e32 v31, 8, v31
	v_cmp_ge_i32_e32 vcc, v31, v34
	v_add_u32_e32 v15, 0x100, v15
	s_or_b64 s[8:9], vcc, s[8:9]
	v_add_u32_e32 v28, 0x100, v28
	s_andn2_b64 exec, exec, s[8:9]
	s_cbranch_execnz .LBB142_7
; %bb.10:
	s_or_b64 exec, exec, s[8:9]
.LBB142_11:
	s_or_b64 exec, exec, s[6:7]
	s_cbranch_execz .LBB142_13
	s_branch .LBB142_20
.LBB142_12:
                                        ; implicit-def: $vgpr18_vgpr19
                                        ; implicit-def: $vgpr26_vgpr27
                                        ; implicit-def: $vgpr12_vgpr13
                                        ; implicit-def: $vgpr10_vgpr11
                                        ; implicit-def: $vgpr20_vgpr21
                                        ; implicit-def: $vgpr16_vgpr17
                                        ; implicit-def: $vgpr24_vgpr25
                                        ; implicit-def: $vgpr22_vgpr23
.LBB142_13:
	v_mov_b32_e32 v18, 0
	v_mov_b32_e32 v26, 0
	;; [unrolled: 1-line block ×16, first 2 shown]
	s_and_saveexec_b64 s[6:7], s[0:1]
	s_cbranch_execz .LBB142_19
; %bb.14:
	v_mov_b32_e32 v18, 0
	v_mov_b32_e32 v26, 0
	;; [unrolled: 1-line block ×8, first 2 shown]
	v_lshlrev_b32_e32 v28, 5, v14
	v_mov_b32_e32 v19, 0
	s_mov_b64 s[8:9], 0
	v_mov_b32_e32 v29, 0
	v_mov_b32_e32 v30, s13
	;; [unrolled: 1-line block ×11, first 2 shown]
.LBB142_15:                             ; =>This Loop Header: Depth=1
                                        ;     Child Loop BB142_16 Depth 2
	v_ashrrev_i32_e32 v15, 31, v14
	v_lshlrev_b64 v[35:36], 2, v[14:15]
	v_mov_b32_e32 v37, v29
	v_add_co_u32_e32 v35, vcc, s10, v35
	v_addc_co_u32_e32 v36, vcc, v31, v36, vcc
	global_load_dword v38, v[35:36], off
	v_lshlrev_b64 v[35:36], 4, v[28:29]
	s_mov_b64 s[16:17], 0
	v_add_co_u32_e32 v15, vcc, s12, v35
	v_addc_co_u32_e32 v33, vcc, v30, v36, vcc
	s_waitcnt vmcnt(0)
	v_subrev_u32_e32 v35, s2, v38
	v_lshlrev_b32_e32 v36, 3, v35
	v_lshlrev_b64 v[35:36], 4, v[36:37]
	v_add_co_u32_e32 v35, vcc, s14, v35
	v_addc_co_u32_e32 v36, vcc, v32, v36, vcc
.LBB142_16:                             ;   Parent Loop BB142_15 Depth=1
                                        ; =>  This Inner Loop Header: Depth=2
	v_mov_b32_e32 v37, s17
	v_add_co_u32_e64 v79, s[0:1], s16, v15
	v_add_co_u32_e32 v77, vcc, s16, v35
	v_addc_co_u32_e64 v80, s[0:1], v33, v37, s[0:1]
	v_addc_co_u32_e32 v78, vcc, v36, v37, vcc
	global_load_dwordx4 v[37:40], v[79:80], off
	global_load_dwordx4 v[41:44], v[77:78], off
	global_load_dwordx4 v[45:48], v[79:80], off offset:128
	global_load_dwordx4 v[49:52], v[79:80], off offset:256
	;; [unrolled: 1-line block ×8, first 2 shown]
	s_add_u32 s16, s16, 32
	s_addc_u32 s17, s17, 0
	s_cmpk_eq_i32 s16, 0x80
	s_waitcnt vmcnt(8)
	v_fma_f64 v[26:27], v[37:38], v[41:42], v[26:27]
	v_fma_f64 v[18:19], v[39:40], v[41:42], v[18:19]
	s_waitcnt vmcnt(7)
	v_fma_f64 v[24:25], v[45:46], v[41:42], v[24:25]
	v_fma_f64 v[22:23], v[47:48], v[41:42], v[22:23]
	;; [unrolled: 3-line block ×4, first 2 shown]
	v_fma_f64 v[26:27], -v[39:40], v[43:44], v[26:27]
	v_fma_f64 v[18:19], v[37:38], v[43:44], v[18:19]
	v_fma_f64 v[24:25], -v[47:48], v[43:44], v[24:25]
	v_fma_f64 v[22:23], v[45:46], v[43:44], v[22:23]
	;; [unrolled: 2-line block ×4, first 2 shown]
	s_waitcnt vmcnt(3)
	v_fma_f64 v[26:27], v[57:58], v[61:62], v[26:27]
	v_fma_f64 v[18:19], v[59:60], v[61:62], v[18:19]
	s_waitcnt vmcnt(2)
	v_fma_f64 v[24:25], v[65:66], v[61:62], v[24:25]
	v_fma_f64 v[22:23], v[67:68], v[61:62], v[22:23]
	;; [unrolled: 3-line block ×4, first 2 shown]
	v_fma_f64 v[26:27], -v[59:60], v[63:64], v[26:27]
	v_fma_f64 v[18:19], v[57:58], v[63:64], v[18:19]
	v_fma_f64 v[24:25], -v[67:68], v[63:64], v[24:25]
	v_fma_f64 v[22:23], v[65:66], v[63:64], v[22:23]
	;; [unrolled: 2-line block ×4, first 2 shown]
	s_cbranch_scc0 .LBB142_16
; %bb.17:                               ;   in Loop: Header=BB142_15 Depth=1
	v_add_u32_e32 v14, 8, v14
	v_cmp_ge_i32_e32 vcc, v14, v34
	s_or_b64 s[8:9], vcc, s[8:9]
	v_add_u32_e32 v28, 0x100, v28
	s_andn2_b64 exec, exec, s[8:9]
	s_cbranch_execnz .LBB142_15
; %bb.18:
	s_or_b64 exec, exec, s[8:9]
.LBB142_19:
	s_or_b64 exec, exec, s[6:7]
.LBB142_20:
	v_mov_b32_dpp v14, v26 row_shr:1 row_mask:0xf bank_mask:0xf
	v_mov_b32_dpp v15, v27 row_shr:1 row_mask:0xf bank_mask:0xf
	v_add_f64 v[14:15], v[26:27], v[14:15]
	v_mov_b32_dpp v26, v18 row_shr:1 row_mask:0xf bank_mask:0xf
	v_mov_b32_dpp v27, v19 row_shr:1 row_mask:0xf bank_mask:0xf
	;; [unrolled: 1-line block ×4, first 2 shown]
	v_add_f64 v[18:19], v[18:19], v[26:27]
	v_add_f64 v[24:25], v[24:25], v[28:29]
	v_mov_b32_dpp v28, v22 row_shr:1 row_mask:0xf bank_mask:0xf
	v_mov_b32_dpp v29, v23 row_shr:1 row_mask:0xf bank_mask:0xf
	v_add_f64 v[28:29], v[22:23], v[28:29]
	v_mov_b32_dpp v26, v14 row_shr:2 row_mask:0xf bank_mask:0xf
	v_mov_b32_dpp v27, v15 row_shr:2 row_mask:0xf bank_mask:0xf
	;; [unrolled: 3-line block ×14, first 2 shown]
	v_mov_b32_dpp v24, v18 row_shr:4 row_mask:0xf bank_mask:0xe
	v_mov_b32_dpp v25, v19 row_shr:4 row_mask:0xf bank_mask:0xe
	;; [unrolled: 1-line block ×14, first 2 shown]
	v_cmp_eq_u32_e32 vcc, 7, v0
	s_and_b64 exec, exec, vcc
	s_cbranch_execz .LBB142_25
; %bb.21:
	v_cmp_eq_f64_e32 vcc, 0, v[5:6]
	v_cmp_eq_f64_e64 s[0:1], 0, v[7:8]
	v_add_f64 v[16:17], v[14:15], v[30:31]
	v_add_f64 v[24:25], v[18:19], v[24:25]
	;; [unrolled: 1-line block ×8, first 2 shown]
	s_load_dwordx2 s[2:3], s[4:5], 0x48
	s_and_b64 s[0:1], vcc, s[0:1]
	s_and_saveexec_b64 s[4:5], s[0:1]
	s_xor_b64 s[0:1], exec, s[4:5]
	s_cbranch_execz .LBB142_23
; %bb.22:
	v_mul_f64 v[5:6], v[24:25], -v[3:4]
	v_mul_f64 v[7:8], v[1:2], v[24:25]
	v_mul_f64 v[26:27], v[22:23], -v[3:4]
	v_mul_f64 v[22:23], v[1:2], v[22:23]
	;; [unrolled: 2-line block ×4, first 2 shown]
	v_fma_f64 v[5:6], v[1:2], v[16:17], v[5:6]
	v_fma_f64 v[7:8], v[3:4], v[16:17], v[7:8]
	;; [unrolled: 1-line block ×4, first 2 shown]
	v_lshlrev_b32_e32 v24, 2, v9
	v_fma_f64 v[9:10], v[1:2], v[12:13], v[28:29]
	v_fma_f64 v[11:12], v[3:4], v[12:13], v[20:21]
	v_ashrrev_i32_e32 v25, 31, v24
	v_fma_f64 v[0:1], v[1:2], v[14:15], v[30:31]
	v_fma_f64 v[2:3], v[3:4], v[14:15], v[32:33]
	v_lshlrev_b64 v[24:25], 4, v[24:25]
	s_waitcnt lgkmcnt(0)
	v_mov_b32_e32 v34, s3
	v_add_co_u32_e32 v13, vcc, s2, v24
	v_addc_co_u32_e32 v14, vcc, v34, v25, vcc
	global_store_dwordx4 v[13:14], v[5:8], off
	global_store_dwordx4 v[13:14], v[16:19], off offset:16
	global_store_dwordx4 v[13:14], v[9:12], off offset:32
	;; [unrolled: 1-line block ×3, first 2 shown]
                                        ; implicit-def: $vgpr9
                                        ; implicit-def: $vgpr16_vgpr17
                                        ; implicit-def: $vgpr24_vgpr25
                                        ; implicit-def: $vgpr10_vgpr11
                                        ; implicit-def: $vgpr22_vgpr23
                                        ; implicit-def: $vgpr12_vgpr13
                                        ; implicit-def: $vgpr20_vgpr21
                                        ; implicit-def: $vgpr14_vgpr15
                                        ; implicit-def: $vgpr18_vgpr19
                                        ; implicit-def: $vgpr7_vgpr8
                                        ; implicit-def: $vgpr3_vgpr4
.LBB142_23:
	s_andn2_saveexec_b64 s[0:1], s[0:1]
	s_cbranch_execz .LBB142_25
; %bb.24:
	v_lshlrev_b32_e32 v26, 2, v9
	v_ashrrev_i32_e32 v27, 31, v26
	v_lshlrev_b64 v[26:27], 4, v[26:27]
	s_waitcnt lgkmcnt(0)
	v_mov_b32_e32 v0, s3
	v_add_co_u32_e32 v42, vcc, s2, v26
	v_addc_co_u32_e32 v43, vcc, v0, v27, vcc
	global_load_dwordx4 v[26:29], v[42:43], off
	global_load_dwordx4 v[30:33], v[42:43], off offset:16
	global_load_dwordx4 v[34:37], v[42:43], off offset:32
	;; [unrolled: 1-line block ×3, first 2 shown]
	v_mul_f64 v[44:45], v[24:25], -v[3:4]
	v_mul_f64 v[24:25], v[1:2], v[24:25]
	v_mul_f64 v[46:47], v[22:23], -v[3:4]
	v_mul_f64 v[22:23], v[1:2], v[22:23]
	;; [unrolled: 2-line block ×4, first 2 shown]
	v_fma_f64 v[44:45], v[1:2], v[16:17], v[44:45]
	v_fma_f64 v[16:17], v[3:4], v[16:17], v[24:25]
	;; [unrolled: 1-line block ×8, first 2 shown]
	s_waitcnt vmcnt(3)
	v_fma_f64 v[13:14], v[5:6], v[26:27], v[44:45]
	v_fma_f64 v[15:16], v[7:8], v[26:27], v[16:17]
	s_waitcnt vmcnt(2)
	v_fma_f64 v[17:18], v[5:6], v[30:31], v[24:25]
	v_fma_f64 v[19:20], v[7:8], v[30:31], v[9:10]
	;; [unrolled: 3-line block ×4, first 2 shown]
	v_fma_f64 v[0:1], -v[7:8], v[28:29], v[13:14]
	v_fma_f64 v[2:3], v[5:6], v[28:29], v[15:16]
	v_fma_f64 v[9:10], -v[7:8], v[32:33], v[17:18]
	v_fma_f64 v[11:12], v[5:6], v[32:33], v[19:20]
	;; [unrolled: 2-line block ×4, first 2 shown]
	global_store_dwordx4 v[42:43], v[0:3], off
	global_store_dwordx4 v[42:43], v[9:12], off offset:16
	global_store_dwordx4 v[42:43], v[13:16], off offset:32
	;; [unrolled: 1-line block ×3, first 2 shown]
.LBB142_25:
	s_endpgm
	.section	.rodata,"a",@progbits
	.p2align	6, 0x0
	.amdhsa_kernel _ZN9rocsparseL19gebsrmvn_4xn_kernelILj128ELj8ELj8E21rocsparse_complex_numIdEEEvi20rocsparse_direction_NS_24const_host_device_scalarIT2_EEPKiS8_PKS5_SA_S6_PS5_21rocsparse_index_base_b
		.amdhsa_group_segment_fixed_size 0
		.amdhsa_private_segment_fixed_size 0
		.amdhsa_kernarg_size 88
		.amdhsa_user_sgpr_count 6
		.amdhsa_user_sgpr_private_segment_buffer 1
		.amdhsa_user_sgpr_dispatch_ptr 0
		.amdhsa_user_sgpr_queue_ptr 0
		.amdhsa_user_sgpr_kernarg_segment_ptr 1
		.amdhsa_user_sgpr_dispatch_id 0
		.amdhsa_user_sgpr_flat_scratch_init 0
		.amdhsa_user_sgpr_private_segment_size 0
		.amdhsa_uses_dynamic_stack 0
		.amdhsa_system_sgpr_private_segment_wavefront_offset 0
		.amdhsa_system_sgpr_workgroup_id_x 1
		.amdhsa_system_sgpr_workgroup_id_y 0
		.amdhsa_system_sgpr_workgroup_id_z 0
		.amdhsa_system_sgpr_workgroup_info 0
		.amdhsa_system_vgpr_workitem_id 0
		.amdhsa_next_free_vgpr 82
		.amdhsa_next_free_sgpr 18
		.amdhsa_reserve_vcc 1
		.amdhsa_reserve_flat_scratch 0
		.amdhsa_float_round_mode_32 0
		.amdhsa_float_round_mode_16_64 0
		.amdhsa_float_denorm_mode_32 3
		.amdhsa_float_denorm_mode_16_64 3
		.amdhsa_dx10_clamp 1
		.amdhsa_ieee_mode 1
		.amdhsa_fp16_overflow 0
		.amdhsa_exception_fp_ieee_invalid_op 0
		.amdhsa_exception_fp_denorm_src 0
		.amdhsa_exception_fp_ieee_div_zero 0
		.amdhsa_exception_fp_ieee_overflow 0
		.amdhsa_exception_fp_ieee_underflow 0
		.amdhsa_exception_fp_ieee_inexact 0
		.amdhsa_exception_int_div_zero 0
	.end_amdhsa_kernel
	.section	.text._ZN9rocsparseL19gebsrmvn_4xn_kernelILj128ELj8ELj8E21rocsparse_complex_numIdEEEvi20rocsparse_direction_NS_24const_host_device_scalarIT2_EEPKiS8_PKS5_SA_S6_PS5_21rocsparse_index_base_b,"axG",@progbits,_ZN9rocsparseL19gebsrmvn_4xn_kernelILj128ELj8ELj8E21rocsparse_complex_numIdEEEvi20rocsparse_direction_NS_24const_host_device_scalarIT2_EEPKiS8_PKS5_SA_S6_PS5_21rocsparse_index_base_b,comdat
.Lfunc_end142:
	.size	_ZN9rocsparseL19gebsrmvn_4xn_kernelILj128ELj8ELj8E21rocsparse_complex_numIdEEEvi20rocsparse_direction_NS_24const_host_device_scalarIT2_EEPKiS8_PKS5_SA_S6_PS5_21rocsparse_index_base_b, .Lfunc_end142-_ZN9rocsparseL19gebsrmvn_4xn_kernelILj128ELj8ELj8E21rocsparse_complex_numIdEEEvi20rocsparse_direction_NS_24const_host_device_scalarIT2_EEPKiS8_PKS5_SA_S6_PS5_21rocsparse_index_base_b
                                        ; -- End function
	.set _ZN9rocsparseL19gebsrmvn_4xn_kernelILj128ELj8ELj8E21rocsparse_complex_numIdEEEvi20rocsparse_direction_NS_24const_host_device_scalarIT2_EEPKiS8_PKS5_SA_S6_PS5_21rocsparse_index_base_b.num_vgpr, 82
	.set _ZN9rocsparseL19gebsrmvn_4xn_kernelILj128ELj8ELj8E21rocsparse_complex_numIdEEEvi20rocsparse_direction_NS_24const_host_device_scalarIT2_EEPKiS8_PKS5_SA_S6_PS5_21rocsparse_index_base_b.num_agpr, 0
	.set _ZN9rocsparseL19gebsrmvn_4xn_kernelILj128ELj8ELj8E21rocsparse_complex_numIdEEEvi20rocsparse_direction_NS_24const_host_device_scalarIT2_EEPKiS8_PKS5_SA_S6_PS5_21rocsparse_index_base_b.numbered_sgpr, 18
	.set _ZN9rocsparseL19gebsrmvn_4xn_kernelILj128ELj8ELj8E21rocsparse_complex_numIdEEEvi20rocsparse_direction_NS_24const_host_device_scalarIT2_EEPKiS8_PKS5_SA_S6_PS5_21rocsparse_index_base_b.num_named_barrier, 0
	.set _ZN9rocsparseL19gebsrmvn_4xn_kernelILj128ELj8ELj8E21rocsparse_complex_numIdEEEvi20rocsparse_direction_NS_24const_host_device_scalarIT2_EEPKiS8_PKS5_SA_S6_PS5_21rocsparse_index_base_b.private_seg_size, 0
	.set _ZN9rocsparseL19gebsrmvn_4xn_kernelILj128ELj8ELj8E21rocsparse_complex_numIdEEEvi20rocsparse_direction_NS_24const_host_device_scalarIT2_EEPKiS8_PKS5_SA_S6_PS5_21rocsparse_index_base_b.uses_vcc, 1
	.set _ZN9rocsparseL19gebsrmvn_4xn_kernelILj128ELj8ELj8E21rocsparse_complex_numIdEEEvi20rocsparse_direction_NS_24const_host_device_scalarIT2_EEPKiS8_PKS5_SA_S6_PS5_21rocsparse_index_base_b.uses_flat_scratch, 0
	.set _ZN9rocsparseL19gebsrmvn_4xn_kernelILj128ELj8ELj8E21rocsparse_complex_numIdEEEvi20rocsparse_direction_NS_24const_host_device_scalarIT2_EEPKiS8_PKS5_SA_S6_PS5_21rocsparse_index_base_b.has_dyn_sized_stack, 0
	.set _ZN9rocsparseL19gebsrmvn_4xn_kernelILj128ELj8ELj8E21rocsparse_complex_numIdEEEvi20rocsparse_direction_NS_24const_host_device_scalarIT2_EEPKiS8_PKS5_SA_S6_PS5_21rocsparse_index_base_b.has_recursion, 0
	.set _ZN9rocsparseL19gebsrmvn_4xn_kernelILj128ELj8ELj8E21rocsparse_complex_numIdEEEvi20rocsparse_direction_NS_24const_host_device_scalarIT2_EEPKiS8_PKS5_SA_S6_PS5_21rocsparse_index_base_b.has_indirect_call, 0
	.section	.AMDGPU.csdata,"",@progbits
; Kernel info:
; codeLenInByte = 2904
; TotalNumSgprs: 22
; NumVgprs: 82
; ScratchSize: 0
; MemoryBound: 0
; FloatMode: 240
; IeeeMode: 1
; LDSByteSize: 0 bytes/workgroup (compile time only)
; SGPRBlocks: 2
; VGPRBlocks: 20
; NumSGPRsForWavesPerEU: 22
; NumVGPRsForWavesPerEU: 82
; Occupancy: 3
; WaveLimiterHint : 1
; COMPUTE_PGM_RSRC2:SCRATCH_EN: 0
; COMPUTE_PGM_RSRC2:USER_SGPR: 6
; COMPUTE_PGM_RSRC2:TRAP_HANDLER: 0
; COMPUTE_PGM_RSRC2:TGID_X_EN: 1
; COMPUTE_PGM_RSRC2:TGID_Y_EN: 0
; COMPUTE_PGM_RSRC2:TGID_Z_EN: 0
; COMPUTE_PGM_RSRC2:TIDIG_COMP_CNT: 0
	.section	.text._ZN9rocsparseL19gebsrmvn_4xn_kernelILj128ELj8ELj16E21rocsparse_complex_numIdEEEvi20rocsparse_direction_NS_24const_host_device_scalarIT2_EEPKiS8_PKS5_SA_S6_PS5_21rocsparse_index_base_b,"axG",@progbits,_ZN9rocsparseL19gebsrmvn_4xn_kernelILj128ELj8ELj16E21rocsparse_complex_numIdEEEvi20rocsparse_direction_NS_24const_host_device_scalarIT2_EEPKiS8_PKS5_SA_S6_PS5_21rocsparse_index_base_b,comdat
	.globl	_ZN9rocsparseL19gebsrmvn_4xn_kernelILj128ELj8ELj16E21rocsparse_complex_numIdEEEvi20rocsparse_direction_NS_24const_host_device_scalarIT2_EEPKiS8_PKS5_SA_S6_PS5_21rocsparse_index_base_b ; -- Begin function _ZN9rocsparseL19gebsrmvn_4xn_kernelILj128ELj8ELj16E21rocsparse_complex_numIdEEEvi20rocsparse_direction_NS_24const_host_device_scalarIT2_EEPKiS8_PKS5_SA_S6_PS5_21rocsparse_index_base_b
	.p2align	8
	.type	_ZN9rocsparseL19gebsrmvn_4xn_kernelILj128ELj8ELj16E21rocsparse_complex_numIdEEEvi20rocsparse_direction_NS_24const_host_device_scalarIT2_EEPKiS8_PKS5_SA_S6_PS5_21rocsparse_index_base_b,@function
_ZN9rocsparseL19gebsrmvn_4xn_kernelILj128ELj8ELj16E21rocsparse_complex_numIdEEEvi20rocsparse_direction_NS_24const_host_device_scalarIT2_EEPKiS8_PKS5_SA_S6_PS5_21rocsparse_index_base_b: ; @_ZN9rocsparseL19gebsrmvn_4xn_kernelILj128ELj8ELj16E21rocsparse_complex_numIdEEEvi20rocsparse_direction_NS_24const_host_device_scalarIT2_EEPKiS8_PKS5_SA_S6_PS5_21rocsparse_index_base_b
; %bb.0:
	s_load_dwordx2 s[0:1], s[4:5], 0x8
	s_load_dwordx2 s[8:9], s[4:5], 0x38
	;; [unrolled: 1-line block ×3, first 2 shown]
	s_add_u32 s7, s4, 8
	s_addc_u32 s10, s5, 0
	s_add_u32 s11, s4, 56
	s_addc_u32 s12, s5, 0
	s_waitcnt lgkmcnt(0)
	s_bitcmp1_b32 s3, 0
	s_cselect_b32 s1, s10, s1
	s_cselect_b32 s0, s7, s0
	v_mov_b32_e32 v1, s0
	v_mov_b32_e32 v2, s1
	flat_load_dwordx4 v[1:4], v[1:2]
	s_cselect_b32 s0, s12, s9
	s_cselect_b32 s1, s11, s8
	v_mov_b32_e32 v5, s1
	v_mov_b32_e32 v6, s0
	flat_load_dwordx4 v[5:8], v[5:6]
	s_waitcnt vmcnt(0) lgkmcnt(0)
	v_cmp_eq_f64_e32 vcc, 0, v[1:2]
	v_cmp_eq_f64_e64 s[0:1], 0, v[3:4]
	s_and_b64 s[10:11], vcc, s[0:1]
	s_mov_b64 s[0:1], -1
	s_and_saveexec_b64 s[8:9], s[10:11]
	s_cbranch_execz .LBB143_2
; %bb.1:
	v_cmp_neq_f64_e32 vcc, 1.0, v[5:6]
	v_cmp_neq_f64_e64 s[0:1], 0, v[7:8]
	s_or_b64 s[0:1], vcc, s[0:1]
	s_orn2_b64 s[0:1], s[0:1], exec
.LBB143_2:
	s_or_b64 exec, exec, s[8:9]
	s_and_saveexec_b64 s[8:9], s[0:1]
	s_cbranch_execz .LBB143_25
; %bb.3:
	s_load_dwordx2 s[0:1], s[4:5], 0x0
	v_lshrrev_b32_e32 v9, 4, v0
	v_lshl_or_b32 v9, s6, 3, v9
	s_waitcnt lgkmcnt(0)
	v_cmp_gt_i32_e32 vcc, s0, v9
	s_and_b64 exec, exec, vcc
	s_cbranch_execz .LBB143_25
; %bb.4:
	s_load_dwordx8 s[8:15], s[4:5], 0x18
	v_ashrrev_i32_e32 v10, 31, v9
	v_lshlrev_b64 v[10:11], 2, v[9:10]
	v_and_b32_e32 v0, 15, v0
	s_cmp_lg_u32 s1, 0
	s_waitcnt lgkmcnt(0)
	v_mov_b32_e32 v12, s9
	v_add_co_u32_e32 v10, vcc, s8, v10
	v_addc_co_u32_e32 v11, vcc, v12, v11, vcc
	global_load_dwordx2 v[10:11], v[10:11], off
	s_waitcnt vmcnt(0)
	v_subrev_u32_e32 v10, s2, v10
	v_subrev_u32_e32 v34, s2, v11
	v_add_u32_e32 v16, v10, v0
	v_cmp_lt_i32_e64 s[0:1], v16, v34
	s_cbranch_scc0 .LBB143_12
; %bb.5:
	v_mov_b32_e32 v20, 0
	v_mov_b32_e32 v26, 0
	;; [unrolled: 1-line block ×16, first 2 shown]
	s_and_saveexec_b64 s[6:7], s[0:1]
	s_cbranch_execz .LBB143_11
; %bb.6:
	s_add_u32 s3, s14, 16
	s_addc_u32 s16, s15, 0
	v_lshlrev_b32_e32 v28, 5, v16
	v_mov_b32_e32 v20, 0
	v_mov_b32_e32 v26, 0
	;; [unrolled: 1-line block ×8, first 2 shown]
	v_or_b32_e32 v17, 4, v28
	v_mov_b32_e32 v21, 0
	s_mov_b64 s[8:9], 0
	v_mov_b32_e32 v30, 0
	v_mov_b32_e32 v35, s13
	;; [unrolled: 1-line block ×12, first 2 shown]
.LBB143_7:                              ; =>This Loop Header: Depth=1
                                        ;     Child Loop BB143_8 Depth 2
	v_ashrrev_i32_e32 v32, 31, v31
	v_lshlrev_b64 v[32:33], 2, v[31:32]
	v_mov_b32_e32 v29, v30
	v_add_co_u32_e32 v32, vcc, s10, v32
	v_addc_co_u32_e32 v33, vcc, v36, v33, vcc
	global_load_dword v40, v[32:33], off
	v_lshlrev_b64 v[32:33], 4, v[28:29]
	s_mov_b64 s[16:17], 0
	v_add_co_u32_e32 v38, vcc, s12, v32
	v_addc_co_u32_e32 v39, vcc, v35, v33, vcc
	s_waitcnt vmcnt(0)
	v_subrev_u32_e32 v29, s2, v40
	v_lshlrev_b32_e32 v29, 3, v29
	v_lshlrev_b64 v[32:33], 4, v[29:30]
	v_mov_b32_e32 v29, v17
	v_add_co_u32_e32 v32, vcc, s3, v32
	v_addc_co_u32_e32 v33, vcc, v37, v33, vcc
.LBB143_8:                              ;   Parent Loop BB143_7 Depth=1
                                        ; =>  This Inner Loop Header: Depth=2
	v_mov_b32_e32 v48, s17
	v_add_co_u32_e32 v64, vcc, s16, v38
	v_addc_co_u32_e32 v65, vcc, v39, v48, vcc
	global_load_dwordx4 v[40:43], v[32:33], off
	global_load_dwordx4 v[44:47], v[32:33], off offset:-16
	global_load_dwordx4 v[48:51], v[64:65], off
	global_load_dwordx4 v[52:55], v[64:65], off offset:16
	global_load_dwordx4 v[56:59], v[64:65], off offset:32
	global_load_dwordx4 v[60:63], v[64:65], off offset:48
	v_lshlrev_b64 v[64:65], 4, v[29:30]
	v_mov_b32_e32 v66, s13
	v_add_co_u32_e32 v80, vcc, s12, v64
	v_addc_co_u32_e32 v81, vcc, v66, v65, vcc
	global_load_dwordx4 v[64:67], v[80:81], off
	global_load_dwordx4 v[68:71], v[80:81], off offset:16
	global_load_dwordx4 v[72:75], v[80:81], off offset:32
	;; [unrolled: 1-line block ×3, first 2 shown]
	s_add_u32 s16, s16, 0x80
	v_add_co_u32_e32 v32, vcc, 32, v32
	s_addc_u32 s17, s17, 0
	v_add_u32_e32 v29, 8, v29
	s_cmpk_eq_i32 s16, 0x200
	v_addc_co_u32_e32 v33, vcc, 0, v33, vcc
	s_waitcnt vmcnt(7)
	v_fma_f64 v[26:27], v[48:49], v[44:45], v[26:27]
	v_fma_f64 v[20:21], v[50:51], v[44:45], v[20:21]
	s_waitcnt vmcnt(6)
	v_fma_f64 v[22:23], v[52:53], v[44:45], v[22:23]
	v_fma_f64 v[24:25], v[54:55], v[44:45], v[24:25]
	;; [unrolled: 3-line block ×4, first 2 shown]
	v_fma_f64 v[26:27], -v[50:51], v[46:47], v[26:27]
	v_fma_f64 v[20:21], v[48:49], v[46:47], v[20:21]
	v_fma_f64 v[22:23], -v[54:55], v[46:47], v[22:23]
	v_fma_f64 v[24:25], v[52:53], v[46:47], v[24:25]
	;; [unrolled: 2-line block ×4, first 2 shown]
	s_waitcnt vmcnt(3)
	v_fma_f64 v[26:27], v[64:65], v[40:41], v[26:27]
	v_fma_f64 v[20:21], v[66:67], v[40:41], v[20:21]
	s_waitcnt vmcnt(2)
	v_fma_f64 v[22:23], v[68:69], v[40:41], v[22:23]
	v_fma_f64 v[24:25], v[70:71], v[40:41], v[24:25]
	;; [unrolled: 3-line block ×4, first 2 shown]
	v_fma_f64 v[26:27], -v[66:67], v[42:43], v[26:27]
	v_fma_f64 v[20:21], v[64:65], v[42:43], v[20:21]
	v_fma_f64 v[22:23], -v[70:71], v[42:43], v[22:23]
	v_fma_f64 v[24:25], v[68:69], v[42:43], v[24:25]
	;; [unrolled: 2-line block ×4, first 2 shown]
	s_cbranch_scc0 .LBB143_8
; %bb.9:                                ;   in Loop: Header=BB143_7 Depth=1
	v_add_u32_e32 v31, 16, v31
	v_cmp_ge_i32_e32 vcc, v31, v34
	v_add_u32_e32 v17, 0x200, v17
	s_or_b64 s[8:9], vcc, s[8:9]
	v_add_u32_e32 v28, 0x200, v28
	s_andn2_b64 exec, exec, s[8:9]
	s_cbranch_execnz .LBB143_7
; %bb.10:
	s_or_b64 exec, exec, s[8:9]
.LBB143_11:
	s_or_b64 exec, exec, s[6:7]
	s_cbranch_execz .LBB143_13
	s_branch .LBB143_20
.LBB143_12:
                                        ; implicit-def: $vgpr20_vgpr21
                                        ; implicit-def: $vgpr26_vgpr27
                                        ; implicit-def: $vgpr12_vgpr13
                                        ; implicit-def: $vgpr10_vgpr11
                                        ; implicit-def: $vgpr18_vgpr19
                                        ; implicit-def: $vgpr14_vgpr15
                                        ; implicit-def: $vgpr22_vgpr23
                                        ; implicit-def: $vgpr24_vgpr25
.LBB143_13:
	v_mov_b32_e32 v20, 0
	v_mov_b32_e32 v26, 0
	;; [unrolled: 1-line block ×16, first 2 shown]
	s_and_saveexec_b64 s[6:7], s[0:1]
	s_cbranch_execz .LBB143_19
; %bb.14:
	v_mov_b32_e32 v20, 0
	v_mov_b32_e32 v26, 0
	;; [unrolled: 1-line block ×8, first 2 shown]
	v_lshlrev_b32_e32 v28, 5, v16
	v_mov_b32_e32 v21, 0
	s_mov_b64 s[8:9], 0
	v_mov_b32_e32 v29, 0
	v_mov_b32_e32 v30, s13
	;; [unrolled: 1-line block ×11, first 2 shown]
.LBB143_15:                             ; =>This Loop Header: Depth=1
                                        ;     Child Loop BB143_16 Depth 2
	v_ashrrev_i32_e32 v17, 31, v16
	v_lshlrev_b64 v[35:36], 2, v[16:17]
	v_mov_b32_e32 v37, v29
	v_add_co_u32_e32 v35, vcc, s10, v35
	v_addc_co_u32_e32 v36, vcc, v31, v36, vcc
	global_load_dword v38, v[35:36], off
	v_lshlrev_b64 v[35:36], 4, v[28:29]
	s_mov_b64 s[16:17], 0
	v_add_co_u32_e32 v17, vcc, s12, v35
	v_addc_co_u32_e32 v33, vcc, v30, v36, vcc
	s_waitcnt vmcnt(0)
	v_subrev_u32_e32 v35, s2, v38
	v_lshlrev_b32_e32 v36, 3, v35
	v_lshlrev_b64 v[35:36], 4, v[36:37]
	v_add_co_u32_e32 v35, vcc, s14, v35
	v_addc_co_u32_e32 v36, vcc, v32, v36, vcc
.LBB143_16:                             ;   Parent Loop BB143_15 Depth=1
                                        ; =>  This Inner Loop Header: Depth=2
	v_mov_b32_e32 v37, s17
	v_add_co_u32_e64 v79, s[0:1], s16, v17
	v_add_co_u32_e32 v77, vcc, s16, v35
	v_addc_co_u32_e64 v80, s[0:1], v33, v37, s[0:1]
	v_addc_co_u32_e32 v78, vcc, v36, v37, vcc
	global_load_dwordx4 v[37:40], v[79:80], off
	global_load_dwordx4 v[41:44], v[77:78], off
	global_load_dwordx4 v[45:48], v[79:80], off offset:128
	global_load_dwordx4 v[49:52], v[79:80], off offset:256
	;; [unrolled: 1-line block ×8, first 2 shown]
	s_add_u32 s16, s16, 32
	s_addc_u32 s17, s17, 0
	s_cmpk_eq_i32 s16, 0x80
	s_waitcnt vmcnt(8)
	v_fma_f64 v[26:27], v[37:38], v[41:42], v[26:27]
	v_fma_f64 v[20:21], v[39:40], v[41:42], v[20:21]
	s_waitcnt vmcnt(7)
	v_fma_f64 v[22:23], v[45:46], v[41:42], v[22:23]
	v_fma_f64 v[24:25], v[47:48], v[41:42], v[24:25]
	;; [unrolled: 3-line block ×4, first 2 shown]
	v_fma_f64 v[26:27], -v[39:40], v[43:44], v[26:27]
	v_fma_f64 v[20:21], v[37:38], v[43:44], v[20:21]
	v_fma_f64 v[22:23], -v[47:48], v[43:44], v[22:23]
	v_fma_f64 v[24:25], v[45:46], v[43:44], v[24:25]
	;; [unrolled: 2-line block ×4, first 2 shown]
	s_waitcnt vmcnt(3)
	v_fma_f64 v[26:27], v[57:58], v[61:62], v[26:27]
	v_fma_f64 v[20:21], v[59:60], v[61:62], v[20:21]
	s_waitcnt vmcnt(2)
	v_fma_f64 v[22:23], v[65:66], v[61:62], v[22:23]
	v_fma_f64 v[24:25], v[67:68], v[61:62], v[24:25]
	s_waitcnt vmcnt(1)
	v_fma_f64 v[18:19], v[69:70], v[61:62], v[18:19]
	v_fma_f64 v[14:15], v[71:72], v[61:62], v[14:15]
	s_waitcnt vmcnt(0)
	v_fma_f64 v[12:13], v[73:74], v[61:62], v[12:13]
	v_fma_f64 v[10:11], v[75:76], v[61:62], v[10:11]
	v_fma_f64 v[26:27], -v[59:60], v[63:64], v[26:27]
	v_fma_f64 v[20:21], v[57:58], v[63:64], v[20:21]
	v_fma_f64 v[22:23], -v[67:68], v[63:64], v[22:23]
	v_fma_f64 v[24:25], v[65:66], v[63:64], v[24:25]
	;; [unrolled: 2-line block ×4, first 2 shown]
	s_cbranch_scc0 .LBB143_16
; %bb.17:                               ;   in Loop: Header=BB143_15 Depth=1
	v_add_u32_e32 v16, 16, v16
	v_cmp_ge_i32_e32 vcc, v16, v34
	s_or_b64 s[8:9], vcc, s[8:9]
	v_add_u32_e32 v28, 0x200, v28
	s_andn2_b64 exec, exec, s[8:9]
	s_cbranch_execnz .LBB143_15
; %bb.18:
	s_or_b64 exec, exec, s[8:9]
.LBB143_19:
	s_or_b64 exec, exec, s[6:7]
.LBB143_20:
	v_mov_b32_dpp v16, v26 row_shr:1 row_mask:0xf bank_mask:0xf
	v_mov_b32_dpp v17, v27 row_shr:1 row_mask:0xf bank_mask:0xf
	v_add_f64 v[16:17], v[26:27], v[16:17]
	v_mov_b32_dpp v26, v20 row_shr:1 row_mask:0xf bank_mask:0xf
	v_mov_b32_dpp v27, v21 row_shr:1 row_mask:0xf bank_mask:0xf
	v_add_f64 v[20:21], v[20:21], v[26:27]
	;; [unrolled: 3-line block ×3, first 2 shown]
	v_mov_b32_dpp v35, v14 row_shr:1 row_mask:0xf bank_mask:0xf
	v_mov_b32_dpp v28, v16 row_shr:2 row_mask:0xf bank_mask:0xf
	;; [unrolled: 1-line block ×3, first 2 shown]
	v_add_f64 v[16:17], v[16:17], v[28:29]
	v_mov_b32_dpp v28, v20 row_shr:2 row_mask:0xf bank_mask:0xf
	v_mov_b32_dpp v29, v21 row_shr:2 row_mask:0xf bank_mask:0xf
	v_add_f64 v[20:21], v[20:21], v[28:29]
	v_mov_b32_dpp v28, v24 row_shr:1 row_mask:0xf bank_mask:0xf
	v_mov_b32_dpp v29, v25 row_shr:1 row_mask:0xf bank_mask:0xf
	;; [unrolled: 3-line block ×3, first 2 shown]
	v_add_f64 v[22:23], v[22:23], v[28:29]
	v_mov_b32_dpp v36, v15 row_shr:1 row_mask:0xf bank_mask:0xf
	v_add_f64 v[14:15], v[14:15], v[35:36]
	v_mov_b32_dpp v35, v12 row_shr:1 row_mask:0xf bank_mask:0xf
	v_mov_b32_dpp v36, v13 row_shr:1 row_mask:0xf bank_mask:0xf
	;; [unrolled: 1-line block ×4, first 2 shown]
	v_add_f64 v[24:25], v[24:25], v[28:29]
	v_mov_b32_dpp v28, v18 row_shr:1 row_mask:0xf bank_mask:0xf
	v_mov_b32_dpp v29, v19 row_shr:1 row_mask:0xf bank_mask:0xf
	v_add_f64 v[28:29], v[18:19], v[28:29]
	v_add_f64 v[12:13], v[12:13], v[35:36]
	v_mov_b32_dpp v35, v10 row_shr:1 row_mask:0xf bank_mask:0xf
	v_mov_b32_dpp v36, v11 row_shr:1 row_mask:0xf bank_mask:0xf
	v_add_f64 v[10:11], v[10:11], v[35:36]
	v_mov_b32_dpp v26, v16 row_shr:4 row_mask:0xf bank_mask:0xe
	v_mov_b32_dpp v27, v17 row_shr:4 row_mask:0xf bank_mask:0xe
	;; [unrolled: 3-line block ×14, first 2 shown]
	v_mov_b32_dpp v24, v18 row_shr:8 row_mask:0xf bank_mask:0xc
	v_mov_b32_dpp v25, v19 row_shr:8 row_mask:0xf bank_mask:0xc
	;; [unrolled: 1-line block ×14, first 2 shown]
	v_cmp_eq_u32_e32 vcc, 15, v0
	s_and_b64 exec, exec, vcc
	s_cbranch_execz .LBB143_25
; %bb.21:
	v_cmp_eq_f64_e32 vcc, 0, v[5:6]
	v_cmp_eq_f64_e64 s[0:1], 0, v[7:8]
	v_add_f64 v[16:17], v[16:17], v[30:31]
	v_add_f64 v[24:25], v[18:19], v[24:25]
	;; [unrolled: 1-line block ×8, first 2 shown]
	s_load_dwordx2 s[2:3], s[4:5], 0x48
	s_and_b64 s[0:1], vcc, s[0:1]
	s_and_saveexec_b64 s[4:5], s[0:1]
	s_xor_b64 s[0:1], exec, s[4:5]
	s_cbranch_execz .LBB143_23
; %bb.22:
	v_mul_f64 v[5:6], v[24:25], -v[3:4]
	v_mul_f64 v[7:8], v[1:2], v[24:25]
	v_mul_f64 v[26:27], v[22:23], -v[3:4]
	v_mul_f64 v[22:23], v[1:2], v[22:23]
	;; [unrolled: 2-line block ×4, first 2 shown]
	v_fma_f64 v[5:6], v[1:2], v[16:17], v[5:6]
	v_fma_f64 v[7:8], v[3:4], v[16:17], v[7:8]
	;; [unrolled: 1-line block ×4, first 2 shown]
	v_lshlrev_b32_e32 v24, 2, v9
	v_fma_f64 v[9:10], v[1:2], v[12:13], v[28:29]
	v_fma_f64 v[11:12], v[3:4], v[12:13], v[20:21]
	v_ashrrev_i32_e32 v25, 31, v24
	v_fma_f64 v[0:1], v[1:2], v[14:15], v[30:31]
	v_fma_f64 v[2:3], v[3:4], v[14:15], v[32:33]
	v_lshlrev_b64 v[24:25], 4, v[24:25]
	s_waitcnt lgkmcnt(0)
	v_mov_b32_e32 v34, s3
	v_add_co_u32_e32 v13, vcc, s2, v24
	v_addc_co_u32_e32 v14, vcc, v34, v25, vcc
	global_store_dwordx4 v[13:14], v[5:8], off
	global_store_dwordx4 v[13:14], v[16:19], off offset:16
	global_store_dwordx4 v[13:14], v[9:12], off offset:32
	;; [unrolled: 1-line block ×3, first 2 shown]
                                        ; implicit-def: $vgpr9
                                        ; implicit-def: $vgpr16_vgpr17
                                        ; implicit-def: $vgpr24_vgpr25
                                        ; implicit-def: $vgpr10_vgpr11
                                        ; implicit-def: $vgpr22_vgpr23
                                        ; implicit-def: $vgpr12_vgpr13
                                        ; implicit-def: $vgpr20_vgpr21
                                        ; implicit-def: $vgpr14_vgpr15
                                        ; implicit-def: $vgpr18_vgpr19
                                        ; implicit-def: $vgpr7_vgpr8
                                        ; implicit-def: $vgpr3_vgpr4
.LBB143_23:
	s_andn2_saveexec_b64 s[0:1], s[0:1]
	s_cbranch_execz .LBB143_25
; %bb.24:
	v_lshlrev_b32_e32 v26, 2, v9
	v_ashrrev_i32_e32 v27, 31, v26
	v_lshlrev_b64 v[26:27], 4, v[26:27]
	s_waitcnt lgkmcnt(0)
	v_mov_b32_e32 v0, s3
	v_add_co_u32_e32 v42, vcc, s2, v26
	v_addc_co_u32_e32 v43, vcc, v0, v27, vcc
	global_load_dwordx4 v[26:29], v[42:43], off
	global_load_dwordx4 v[30:33], v[42:43], off offset:16
	global_load_dwordx4 v[34:37], v[42:43], off offset:32
	;; [unrolled: 1-line block ×3, first 2 shown]
	v_mul_f64 v[44:45], v[24:25], -v[3:4]
	v_mul_f64 v[24:25], v[1:2], v[24:25]
	v_mul_f64 v[46:47], v[22:23], -v[3:4]
	v_mul_f64 v[22:23], v[1:2], v[22:23]
	;; [unrolled: 2-line block ×4, first 2 shown]
	v_fma_f64 v[44:45], v[1:2], v[16:17], v[44:45]
	v_fma_f64 v[16:17], v[3:4], v[16:17], v[24:25]
	;; [unrolled: 1-line block ×8, first 2 shown]
	s_waitcnt vmcnt(3)
	v_fma_f64 v[13:14], v[5:6], v[26:27], v[44:45]
	v_fma_f64 v[15:16], v[7:8], v[26:27], v[16:17]
	s_waitcnt vmcnt(2)
	v_fma_f64 v[17:18], v[5:6], v[30:31], v[24:25]
	v_fma_f64 v[19:20], v[7:8], v[30:31], v[9:10]
	;; [unrolled: 3-line block ×4, first 2 shown]
	v_fma_f64 v[0:1], -v[7:8], v[28:29], v[13:14]
	v_fma_f64 v[2:3], v[5:6], v[28:29], v[15:16]
	v_fma_f64 v[9:10], -v[7:8], v[32:33], v[17:18]
	v_fma_f64 v[11:12], v[5:6], v[32:33], v[19:20]
	v_fma_f64 v[13:14], -v[7:8], v[36:37], v[21:22]
	v_fma_f64 v[15:16], v[5:6], v[36:37], v[23:24]
	v_fma_f64 v[17:18], -v[7:8], v[40:41], v[25:26]
	v_fma_f64 v[19:20], v[5:6], v[40:41], v[30:31]
	global_store_dwordx4 v[42:43], v[0:3], off
	global_store_dwordx4 v[42:43], v[9:12], off offset:16
	global_store_dwordx4 v[42:43], v[13:16], off offset:32
	;; [unrolled: 1-line block ×3, first 2 shown]
.LBB143_25:
	s_endpgm
	.section	.rodata,"a",@progbits
	.p2align	6, 0x0
	.amdhsa_kernel _ZN9rocsparseL19gebsrmvn_4xn_kernelILj128ELj8ELj16E21rocsparse_complex_numIdEEEvi20rocsparse_direction_NS_24const_host_device_scalarIT2_EEPKiS8_PKS5_SA_S6_PS5_21rocsparse_index_base_b
		.amdhsa_group_segment_fixed_size 0
		.amdhsa_private_segment_fixed_size 0
		.amdhsa_kernarg_size 88
		.amdhsa_user_sgpr_count 6
		.amdhsa_user_sgpr_private_segment_buffer 1
		.amdhsa_user_sgpr_dispatch_ptr 0
		.amdhsa_user_sgpr_queue_ptr 0
		.amdhsa_user_sgpr_kernarg_segment_ptr 1
		.amdhsa_user_sgpr_dispatch_id 0
		.amdhsa_user_sgpr_flat_scratch_init 0
		.amdhsa_user_sgpr_private_segment_size 0
		.amdhsa_uses_dynamic_stack 0
		.amdhsa_system_sgpr_private_segment_wavefront_offset 0
		.amdhsa_system_sgpr_workgroup_id_x 1
		.amdhsa_system_sgpr_workgroup_id_y 0
		.amdhsa_system_sgpr_workgroup_id_z 0
		.amdhsa_system_sgpr_workgroup_info 0
		.amdhsa_system_vgpr_workitem_id 0
		.amdhsa_next_free_vgpr 82
		.amdhsa_next_free_sgpr 18
		.amdhsa_reserve_vcc 1
		.amdhsa_reserve_flat_scratch 0
		.amdhsa_float_round_mode_32 0
		.amdhsa_float_round_mode_16_64 0
		.amdhsa_float_denorm_mode_32 3
		.amdhsa_float_denorm_mode_16_64 3
		.amdhsa_dx10_clamp 1
		.amdhsa_ieee_mode 1
		.amdhsa_fp16_overflow 0
		.amdhsa_exception_fp_ieee_invalid_op 0
		.amdhsa_exception_fp_denorm_src 0
		.amdhsa_exception_fp_ieee_div_zero 0
		.amdhsa_exception_fp_ieee_overflow 0
		.amdhsa_exception_fp_ieee_underflow 0
		.amdhsa_exception_fp_ieee_inexact 0
		.amdhsa_exception_int_div_zero 0
	.end_amdhsa_kernel
	.section	.text._ZN9rocsparseL19gebsrmvn_4xn_kernelILj128ELj8ELj16E21rocsparse_complex_numIdEEEvi20rocsparse_direction_NS_24const_host_device_scalarIT2_EEPKiS8_PKS5_SA_S6_PS5_21rocsparse_index_base_b,"axG",@progbits,_ZN9rocsparseL19gebsrmvn_4xn_kernelILj128ELj8ELj16E21rocsparse_complex_numIdEEEvi20rocsparse_direction_NS_24const_host_device_scalarIT2_EEPKiS8_PKS5_SA_S6_PS5_21rocsparse_index_base_b,comdat
.Lfunc_end143:
	.size	_ZN9rocsparseL19gebsrmvn_4xn_kernelILj128ELj8ELj16E21rocsparse_complex_numIdEEEvi20rocsparse_direction_NS_24const_host_device_scalarIT2_EEPKiS8_PKS5_SA_S6_PS5_21rocsparse_index_base_b, .Lfunc_end143-_ZN9rocsparseL19gebsrmvn_4xn_kernelILj128ELj8ELj16E21rocsparse_complex_numIdEEEvi20rocsparse_direction_NS_24const_host_device_scalarIT2_EEPKiS8_PKS5_SA_S6_PS5_21rocsparse_index_base_b
                                        ; -- End function
	.set _ZN9rocsparseL19gebsrmvn_4xn_kernelILj128ELj8ELj16E21rocsparse_complex_numIdEEEvi20rocsparse_direction_NS_24const_host_device_scalarIT2_EEPKiS8_PKS5_SA_S6_PS5_21rocsparse_index_base_b.num_vgpr, 82
	.set _ZN9rocsparseL19gebsrmvn_4xn_kernelILj128ELj8ELj16E21rocsparse_complex_numIdEEEvi20rocsparse_direction_NS_24const_host_device_scalarIT2_EEPKiS8_PKS5_SA_S6_PS5_21rocsparse_index_base_b.num_agpr, 0
	.set _ZN9rocsparseL19gebsrmvn_4xn_kernelILj128ELj8ELj16E21rocsparse_complex_numIdEEEvi20rocsparse_direction_NS_24const_host_device_scalarIT2_EEPKiS8_PKS5_SA_S6_PS5_21rocsparse_index_base_b.numbered_sgpr, 18
	.set _ZN9rocsparseL19gebsrmvn_4xn_kernelILj128ELj8ELj16E21rocsparse_complex_numIdEEEvi20rocsparse_direction_NS_24const_host_device_scalarIT2_EEPKiS8_PKS5_SA_S6_PS5_21rocsparse_index_base_b.num_named_barrier, 0
	.set _ZN9rocsparseL19gebsrmvn_4xn_kernelILj128ELj8ELj16E21rocsparse_complex_numIdEEEvi20rocsparse_direction_NS_24const_host_device_scalarIT2_EEPKiS8_PKS5_SA_S6_PS5_21rocsparse_index_base_b.private_seg_size, 0
	.set _ZN9rocsparseL19gebsrmvn_4xn_kernelILj128ELj8ELj16E21rocsparse_complex_numIdEEEvi20rocsparse_direction_NS_24const_host_device_scalarIT2_EEPKiS8_PKS5_SA_S6_PS5_21rocsparse_index_base_b.uses_vcc, 1
	.set _ZN9rocsparseL19gebsrmvn_4xn_kernelILj128ELj8ELj16E21rocsparse_complex_numIdEEEvi20rocsparse_direction_NS_24const_host_device_scalarIT2_EEPKiS8_PKS5_SA_S6_PS5_21rocsparse_index_base_b.uses_flat_scratch, 0
	.set _ZN9rocsparseL19gebsrmvn_4xn_kernelILj128ELj8ELj16E21rocsparse_complex_numIdEEEvi20rocsparse_direction_NS_24const_host_device_scalarIT2_EEPKiS8_PKS5_SA_S6_PS5_21rocsparse_index_base_b.has_dyn_sized_stack, 0
	.set _ZN9rocsparseL19gebsrmvn_4xn_kernelILj128ELj8ELj16E21rocsparse_complex_numIdEEEvi20rocsparse_direction_NS_24const_host_device_scalarIT2_EEPKiS8_PKS5_SA_S6_PS5_21rocsparse_index_base_b.has_recursion, 0
	.set _ZN9rocsparseL19gebsrmvn_4xn_kernelILj128ELj8ELj16E21rocsparse_complex_numIdEEEvi20rocsparse_direction_NS_24const_host_device_scalarIT2_EEPKiS8_PKS5_SA_S6_PS5_21rocsparse_index_base_b.has_indirect_call, 0
	.section	.AMDGPU.csdata,"",@progbits
; Kernel info:
; codeLenInByte = 3096
; TotalNumSgprs: 22
; NumVgprs: 82
; ScratchSize: 0
; MemoryBound: 0
; FloatMode: 240
; IeeeMode: 1
; LDSByteSize: 0 bytes/workgroup (compile time only)
; SGPRBlocks: 2
; VGPRBlocks: 20
; NumSGPRsForWavesPerEU: 22
; NumVGPRsForWavesPerEU: 82
; Occupancy: 3
; WaveLimiterHint : 1
; COMPUTE_PGM_RSRC2:SCRATCH_EN: 0
; COMPUTE_PGM_RSRC2:USER_SGPR: 6
; COMPUTE_PGM_RSRC2:TRAP_HANDLER: 0
; COMPUTE_PGM_RSRC2:TGID_X_EN: 1
; COMPUTE_PGM_RSRC2:TGID_Y_EN: 0
; COMPUTE_PGM_RSRC2:TGID_Z_EN: 0
; COMPUTE_PGM_RSRC2:TIDIG_COMP_CNT: 0
	.section	.text._ZN9rocsparseL19gebsrmvn_4xn_kernelILj128ELj8ELj32E21rocsparse_complex_numIdEEEvi20rocsparse_direction_NS_24const_host_device_scalarIT2_EEPKiS8_PKS5_SA_S6_PS5_21rocsparse_index_base_b,"axG",@progbits,_ZN9rocsparseL19gebsrmvn_4xn_kernelILj128ELj8ELj32E21rocsparse_complex_numIdEEEvi20rocsparse_direction_NS_24const_host_device_scalarIT2_EEPKiS8_PKS5_SA_S6_PS5_21rocsparse_index_base_b,comdat
	.globl	_ZN9rocsparseL19gebsrmvn_4xn_kernelILj128ELj8ELj32E21rocsparse_complex_numIdEEEvi20rocsparse_direction_NS_24const_host_device_scalarIT2_EEPKiS8_PKS5_SA_S6_PS5_21rocsparse_index_base_b ; -- Begin function _ZN9rocsparseL19gebsrmvn_4xn_kernelILj128ELj8ELj32E21rocsparse_complex_numIdEEEvi20rocsparse_direction_NS_24const_host_device_scalarIT2_EEPKiS8_PKS5_SA_S6_PS5_21rocsparse_index_base_b
	.p2align	8
	.type	_ZN9rocsparseL19gebsrmvn_4xn_kernelILj128ELj8ELj32E21rocsparse_complex_numIdEEEvi20rocsparse_direction_NS_24const_host_device_scalarIT2_EEPKiS8_PKS5_SA_S6_PS5_21rocsparse_index_base_b,@function
_ZN9rocsparseL19gebsrmvn_4xn_kernelILj128ELj8ELj32E21rocsparse_complex_numIdEEEvi20rocsparse_direction_NS_24const_host_device_scalarIT2_EEPKiS8_PKS5_SA_S6_PS5_21rocsparse_index_base_b: ; @_ZN9rocsparseL19gebsrmvn_4xn_kernelILj128ELj8ELj32E21rocsparse_complex_numIdEEEvi20rocsparse_direction_NS_24const_host_device_scalarIT2_EEPKiS8_PKS5_SA_S6_PS5_21rocsparse_index_base_b
; %bb.0:
	s_load_dwordx2 s[0:1], s[4:5], 0x8
	s_load_dwordx2 s[8:9], s[4:5], 0x38
	;; [unrolled: 1-line block ×3, first 2 shown]
	s_add_u32 s7, s4, 8
	s_addc_u32 s10, s5, 0
	s_add_u32 s11, s4, 56
	s_addc_u32 s12, s5, 0
	s_waitcnt lgkmcnt(0)
	s_bitcmp1_b32 s3, 0
	s_cselect_b32 s1, s10, s1
	s_cselect_b32 s0, s7, s0
	v_mov_b32_e32 v1, s0
	v_mov_b32_e32 v2, s1
	flat_load_dwordx4 v[1:4], v[1:2]
	s_cselect_b32 s0, s12, s9
	s_cselect_b32 s1, s11, s8
	v_mov_b32_e32 v5, s1
	v_mov_b32_e32 v6, s0
	flat_load_dwordx4 v[5:8], v[5:6]
	s_waitcnt vmcnt(0) lgkmcnt(0)
	v_cmp_eq_f64_e32 vcc, 0, v[1:2]
	v_cmp_eq_f64_e64 s[0:1], 0, v[3:4]
	s_and_b64 s[10:11], vcc, s[0:1]
	s_mov_b64 s[0:1], -1
	s_and_saveexec_b64 s[8:9], s[10:11]
	s_cbranch_execz .LBB144_2
; %bb.1:
	v_cmp_neq_f64_e32 vcc, 1.0, v[5:6]
	v_cmp_neq_f64_e64 s[0:1], 0, v[7:8]
	s_or_b64 s[0:1], vcc, s[0:1]
	s_orn2_b64 s[0:1], s[0:1], exec
.LBB144_2:
	s_or_b64 exec, exec, s[8:9]
	s_and_saveexec_b64 s[8:9], s[0:1]
	s_cbranch_execz .LBB144_25
; %bb.3:
	s_load_dwordx2 s[0:1], s[4:5], 0x0
	v_lshrrev_b32_e32 v9, 5, v0
	v_lshl_or_b32 v9, s6, 2, v9
	s_waitcnt lgkmcnt(0)
	v_cmp_gt_i32_e32 vcc, s0, v9
	s_and_b64 exec, exec, vcc
	s_cbranch_execz .LBB144_25
; %bb.4:
	s_load_dwordx8 s[8:15], s[4:5], 0x18
	v_ashrrev_i32_e32 v10, 31, v9
	v_lshlrev_b64 v[10:11], 2, v[9:10]
	v_and_b32_e32 v0, 31, v0
	s_cmp_lg_u32 s1, 0
	s_waitcnt lgkmcnt(0)
	v_mov_b32_e32 v12, s9
	v_add_co_u32_e32 v10, vcc, s8, v10
	v_addc_co_u32_e32 v11, vcc, v12, v11, vcc
	global_load_dwordx2 v[10:11], v[10:11], off
	s_waitcnt vmcnt(0)
	v_subrev_u32_e32 v10, s2, v10
	v_subrev_u32_e32 v34, s2, v11
	v_add_u32_e32 v18, v10, v0
	v_cmp_lt_i32_e64 s[0:1], v18, v34
	s_cbranch_scc0 .LBB144_12
; %bb.5:
	v_mov_b32_e32 v20, 0
	v_mov_b32_e32 v26, 0
	;; [unrolled: 1-line block ×16, first 2 shown]
	s_and_saveexec_b64 s[6:7], s[0:1]
	s_cbranch_execz .LBB144_11
; %bb.6:
	s_add_u32 s3, s14, 16
	s_addc_u32 s16, s15, 0
	v_lshlrev_b32_e32 v28, 5, v18
	v_mov_b32_e32 v20, 0
	v_mov_b32_e32 v26, 0
	;; [unrolled: 1-line block ×8, first 2 shown]
	v_or_b32_e32 v19, 4, v28
	v_mov_b32_e32 v21, 0
	s_mov_b64 s[8:9], 0
	v_mov_b32_e32 v30, 0
	v_mov_b32_e32 v35, s13
	v_mov_b32_e32 v36, s11
	v_mov_b32_e32 v37, s16
	v_mov_b32_e32 v27, 0
	v_mov_b32_e32 v13, 0
	v_mov_b32_e32 v11, 0
	v_mov_b32_e32 v17, 0
	v_mov_b32_e32 v15, 0
	v_mov_b32_e32 v25, 0
	v_mov_b32_e32 v23, 0
	v_mov_b32_e32 v31, v18
.LBB144_7:                              ; =>This Loop Header: Depth=1
                                        ;     Child Loop BB144_8 Depth 2
	v_ashrrev_i32_e32 v32, 31, v31
	v_lshlrev_b64 v[32:33], 2, v[31:32]
	v_mov_b32_e32 v29, v30
	v_add_co_u32_e32 v32, vcc, s10, v32
	v_addc_co_u32_e32 v33, vcc, v36, v33, vcc
	global_load_dword v40, v[32:33], off
	v_lshlrev_b64 v[32:33], 4, v[28:29]
	s_mov_b64 s[16:17], 0
	v_add_co_u32_e32 v38, vcc, s12, v32
	v_addc_co_u32_e32 v39, vcc, v35, v33, vcc
	s_waitcnt vmcnt(0)
	v_subrev_u32_e32 v29, s2, v40
	v_lshlrev_b32_e32 v29, 3, v29
	v_lshlrev_b64 v[32:33], 4, v[29:30]
	v_mov_b32_e32 v29, v19
	v_add_co_u32_e32 v32, vcc, s3, v32
	v_addc_co_u32_e32 v33, vcc, v37, v33, vcc
.LBB144_8:                              ;   Parent Loop BB144_7 Depth=1
                                        ; =>  This Inner Loop Header: Depth=2
	v_mov_b32_e32 v48, s17
	v_add_co_u32_e32 v64, vcc, s16, v38
	v_addc_co_u32_e32 v65, vcc, v39, v48, vcc
	global_load_dwordx4 v[40:43], v[32:33], off
	global_load_dwordx4 v[44:47], v[32:33], off offset:-16
	global_load_dwordx4 v[48:51], v[64:65], off
	global_load_dwordx4 v[52:55], v[64:65], off offset:16
	global_load_dwordx4 v[56:59], v[64:65], off offset:32
	;; [unrolled: 1-line block ×3, first 2 shown]
	v_lshlrev_b64 v[64:65], 4, v[29:30]
	v_mov_b32_e32 v66, s13
	v_add_co_u32_e32 v80, vcc, s12, v64
	v_addc_co_u32_e32 v81, vcc, v66, v65, vcc
	global_load_dwordx4 v[64:67], v[80:81], off
	global_load_dwordx4 v[68:71], v[80:81], off offset:16
	global_load_dwordx4 v[72:75], v[80:81], off offset:32
	;; [unrolled: 1-line block ×3, first 2 shown]
	s_add_u32 s16, s16, 0x80
	v_add_co_u32_e32 v32, vcc, 32, v32
	s_addc_u32 s17, s17, 0
	v_add_u32_e32 v29, 8, v29
	s_cmpk_eq_i32 s16, 0x200
	v_addc_co_u32_e32 v33, vcc, 0, v33, vcc
	s_waitcnt vmcnt(7)
	v_fma_f64 v[26:27], v[48:49], v[44:45], v[26:27]
	v_fma_f64 v[20:21], v[50:51], v[44:45], v[20:21]
	s_waitcnt vmcnt(6)
	v_fma_f64 v[24:25], v[52:53], v[44:45], v[24:25]
	v_fma_f64 v[22:23], v[54:55], v[44:45], v[22:23]
	;; [unrolled: 3-line block ×4, first 2 shown]
	v_fma_f64 v[26:27], -v[50:51], v[46:47], v[26:27]
	v_fma_f64 v[20:21], v[48:49], v[46:47], v[20:21]
	v_fma_f64 v[24:25], -v[54:55], v[46:47], v[24:25]
	v_fma_f64 v[22:23], v[52:53], v[46:47], v[22:23]
	;; [unrolled: 2-line block ×4, first 2 shown]
	s_waitcnt vmcnt(3)
	v_fma_f64 v[26:27], v[64:65], v[40:41], v[26:27]
	v_fma_f64 v[20:21], v[66:67], v[40:41], v[20:21]
	s_waitcnt vmcnt(2)
	v_fma_f64 v[24:25], v[68:69], v[40:41], v[24:25]
	v_fma_f64 v[22:23], v[70:71], v[40:41], v[22:23]
	;; [unrolled: 3-line block ×4, first 2 shown]
	v_fma_f64 v[26:27], -v[66:67], v[42:43], v[26:27]
	v_fma_f64 v[20:21], v[64:65], v[42:43], v[20:21]
	v_fma_f64 v[24:25], -v[70:71], v[42:43], v[24:25]
	v_fma_f64 v[22:23], v[68:69], v[42:43], v[22:23]
	;; [unrolled: 2-line block ×4, first 2 shown]
	s_cbranch_scc0 .LBB144_8
; %bb.9:                                ;   in Loop: Header=BB144_7 Depth=1
	v_add_u32_e32 v31, 32, v31
	v_cmp_ge_i32_e32 vcc, v31, v34
	v_add_u32_e32 v19, 0x400, v19
	s_or_b64 s[8:9], vcc, s[8:9]
	v_add_u32_e32 v28, 0x400, v28
	s_andn2_b64 exec, exec, s[8:9]
	s_cbranch_execnz .LBB144_7
; %bb.10:
	s_or_b64 exec, exec, s[8:9]
.LBB144_11:
	s_or_b64 exec, exec, s[6:7]
	s_cbranch_execz .LBB144_13
	s_branch .LBB144_20
.LBB144_12:
                                        ; implicit-def: $vgpr20_vgpr21
                                        ; implicit-def: $vgpr26_vgpr27
                                        ; implicit-def: $vgpr12_vgpr13
                                        ; implicit-def: $vgpr10_vgpr11
                                        ; implicit-def: $vgpr16_vgpr17
                                        ; implicit-def: $vgpr14_vgpr15
                                        ; implicit-def: $vgpr24_vgpr25
                                        ; implicit-def: $vgpr22_vgpr23
.LBB144_13:
	v_mov_b32_e32 v20, 0
	v_mov_b32_e32 v26, 0
	;; [unrolled: 1-line block ×16, first 2 shown]
	s_and_saveexec_b64 s[6:7], s[0:1]
	s_cbranch_execz .LBB144_19
; %bb.14:
	v_mov_b32_e32 v20, 0
	v_mov_b32_e32 v26, 0
	;; [unrolled: 1-line block ×8, first 2 shown]
	v_lshlrev_b32_e32 v28, 5, v18
	v_mov_b32_e32 v21, 0
	s_mov_b64 s[8:9], 0
	v_mov_b32_e32 v29, 0
	v_mov_b32_e32 v30, s13
	;; [unrolled: 1-line block ×11, first 2 shown]
.LBB144_15:                             ; =>This Loop Header: Depth=1
                                        ;     Child Loop BB144_16 Depth 2
	v_ashrrev_i32_e32 v19, 31, v18
	v_lshlrev_b64 v[35:36], 2, v[18:19]
	v_mov_b32_e32 v37, v29
	v_add_co_u32_e32 v35, vcc, s10, v35
	v_addc_co_u32_e32 v36, vcc, v31, v36, vcc
	global_load_dword v38, v[35:36], off
	v_lshlrev_b64 v[35:36], 4, v[28:29]
	s_mov_b64 s[16:17], 0
	v_add_co_u32_e32 v19, vcc, s12, v35
	v_addc_co_u32_e32 v33, vcc, v30, v36, vcc
	s_waitcnt vmcnt(0)
	v_subrev_u32_e32 v35, s2, v38
	v_lshlrev_b32_e32 v36, 3, v35
	v_lshlrev_b64 v[35:36], 4, v[36:37]
	v_add_co_u32_e32 v35, vcc, s14, v35
	v_addc_co_u32_e32 v36, vcc, v32, v36, vcc
.LBB144_16:                             ;   Parent Loop BB144_15 Depth=1
                                        ; =>  This Inner Loop Header: Depth=2
	v_mov_b32_e32 v37, s17
	v_add_co_u32_e64 v79, s[0:1], s16, v19
	v_add_co_u32_e32 v77, vcc, s16, v35
	v_addc_co_u32_e64 v80, s[0:1], v33, v37, s[0:1]
	v_addc_co_u32_e32 v78, vcc, v36, v37, vcc
	global_load_dwordx4 v[37:40], v[79:80], off
	global_load_dwordx4 v[41:44], v[77:78], off
	global_load_dwordx4 v[45:48], v[79:80], off offset:128
	global_load_dwordx4 v[49:52], v[79:80], off offset:256
	;; [unrolled: 1-line block ×8, first 2 shown]
	s_add_u32 s16, s16, 32
	s_addc_u32 s17, s17, 0
	s_cmpk_eq_i32 s16, 0x80
	s_waitcnt vmcnt(8)
	v_fma_f64 v[26:27], v[37:38], v[41:42], v[26:27]
	v_fma_f64 v[20:21], v[39:40], v[41:42], v[20:21]
	s_waitcnt vmcnt(7)
	v_fma_f64 v[24:25], v[45:46], v[41:42], v[24:25]
	v_fma_f64 v[22:23], v[47:48], v[41:42], v[22:23]
	;; [unrolled: 3-line block ×4, first 2 shown]
	v_fma_f64 v[26:27], -v[39:40], v[43:44], v[26:27]
	v_fma_f64 v[20:21], v[37:38], v[43:44], v[20:21]
	v_fma_f64 v[24:25], -v[47:48], v[43:44], v[24:25]
	v_fma_f64 v[22:23], v[45:46], v[43:44], v[22:23]
	;; [unrolled: 2-line block ×4, first 2 shown]
	s_waitcnt vmcnt(3)
	v_fma_f64 v[26:27], v[57:58], v[61:62], v[26:27]
	v_fma_f64 v[20:21], v[59:60], v[61:62], v[20:21]
	s_waitcnt vmcnt(2)
	v_fma_f64 v[24:25], v[65:66], v[61:62], v[24:25]
	v_fma_f64 v[22:23], v[67:68], v[61:62], v[22:23]
	;; [unrolled: 3-line block ×4, first 2 shown]
	v_fma_f64 v[26:27], -v[59:60], v[63:64], v[26:27]
	v_fma_f64 v[20:21], v[57:58], v[63:64], v[20:21]
	v_fma_f64 v[24:25], -v[67:68], v[63:64], v[24:25]
	v_fma_f64 v[22:23], v[65:66], v[63:64], v[22:23]
	;; [unrolled: 2-line block ×4, first 2 shown]
	s_cbranch_scc0 .LBB144_16
; %bb.17:                               ;   in Loop: Header=BB144_15 Depth=1
	v_add_u32_e32 v18, 32, v18
	v_cmp_ge_i32_e32 vcc, v18, v34
	s_or_b64 s[8:9], vcc, s[8:9]
	v_add_u32_e32 v28, 0x400, v28
	s_andn2_b64 exec, exec, s[8:9]
	s_cbranch_execnz .LBB144_15
; %bb.18:
	s_or_b64 exec, exec, s[8:9]
.LBB144_19:
	s_or_b64 exec, exec, s[6:7]
.LBB144_20:
	v_mov_b32_dpp v18, v26 row_shr:1 row_mask:0xf bank_mask:0xf
	v_mov_b32_dpp v19, v27 row_shr:1 row_mask:0xf bank_mask:0xf
	v_add_f64 v[18:19], v[26:27], v[18:19]
	v_mov_b32_dpp v26, v20 row_shr:1 row_mask:0xf bank_mask:0xf
	v_mov_b32_dpp v27, v21 row_shr:1 row_mask:0xf bank_mask:0xf
	v_add_f64 v[20:21], v[20:21], v[26:27]
	v_mov_b32_dpp v26, v24 row_shr:1 row_mask:0xf bank_mask:0xf
	v_mov_b32_dpp v29, v23 row_shr:1 row_mask:0xf bank_mask:0xf
	v_cmp_eq_u32_e32 vcc, 31, v0
	v_mov_b32_dpp v27, v18 row_shr:2 row_mask:0xf bank_mask:0xf
	v_mov_b32_dpp v28, v19 row_shr:2 row_mask:0xf bank_mask:0xf
	v_add_f64 v[18:19], v[18:19], v[27:28]
	v_mov_b32_dpp v27, v25 row_shr:1 row_mask:0xf bank_mask:0xf
	v_add_f64 v[24:25], v[24:25], v[26:27]
	v_mov_b32_dpp v26, v20 row_shr:2 row_mask:0xf bank_mask:0xf
	v_mov_b32_dpp v27, v21 row_shr:2 row_mask:0xf bank_mask:0xf
	;; [unrolled: 1-line block ×3, first 2 shown]
	v_add_f64 v[20:21], v[20:21], v[26:27]
	v_add_f64 v[22:23], v[22:23], v[28:29]
	v_mov_b32_dpp v26, v18 row_shr:4 row_mask:0xf bank_mask:0xe
	v_mov_b32_dpp v27, v19 row_shr:4 row_mask:0xf bank_mask:0xe
	v_add_f64 v[18:19], v[18:19], v[26:27]
	v_mov_b32_dpp v26, v24 row_shr:2 row_mask:0xf bank_mask:0xf
	v_mov_b32_dpp v27, v25 row_shr:2 row_mask:0xf bank_mask:0xf
	;; [unrolled: 3-line block ×5, first 2 shown]
	v_mov_b32_dpp v29, v25 row_shr:4 row_mask:0xf bank_mask:0xe
	v_add_f64 v[24:25], v[24:25], v[28:29]
	v_mov_b32_dpp v27, v19 row_shr:8 row_mask:0xf bank_mask:0xc
	v_add_f64 v[18:19], v[18:19], v[26:27]
	v_mov_b32_dpp v26, v20 row_shr:8 row_mask:0xf bank_mask:0xc
	v_mov_b32_dpp v28, v22 row_shr:4 row_mask:0xf bank_mask:0xe
	v_mov_b32_dpp v29, v23 row_shr:4 row_mask:0xf bank_mask:0xe
	v_add_f64 v[28:29], v[22:23], v[28:29]
	v_mov_b32_dpp v22, v16 row_shr:1 row_mask:0xf bank_mask:0xf
	v_mov_b32_dpp v23, v17 row_shr:1 row_mask:0xf bank_mask:0xf
	v_add_f64 v[16:17], v[16:17], v[22:23]
	v_mov_b32_dpp v27, v21 row_shr:8 row_mask:0xf bank_mask:0xc
	v_add_f64 v[20:21], v[20:21], v[26:27]
	v_mov_b32_dpp v22, v24 row_shr:8 row_mask:0xf bank_mask:0xc
	v_mov_b32_dpp v23, v25 row_shr:8 row_mask:0xf bank_mask:0xc
	v_add_f64 v[22:23], v[24:25], v[22:23]
	v_mov_b32_dpp v24, v28 row_shr:8 row_mask:0xf bank_mask:0xc
	v_mov_b32_dpp v25, v29 row_shr:8 row_mask:0xf bank_mask:0xc
	;; [unrolled: 1-line block ×4, first 2 shown]
	v_add_f64 v[32:33], v[16:17], v[26:27]
	v_add_f64 v[24:25], v[28:29], v[24:25]
	v_mov_b32_dpp v16, v18 row_bcast:15 row_mask:0xa bank_mask:0xf
	v_mov_b32_dpp v17, v19 row_bcast:15 row_mask:0xa bank_mask:0xf
	;; [unrolled: 1-line block ×6, first 2 shown]
	v_mov_b32_dpp v34, v32 row_shr:4 row_mask:0xf bank_mask:0xe
	v_mov_b32_dpp v35, v33 row_shr:4 row_mask:0xf bank_mask:0xe
	v_add_f64 v[32:33], v[32:33], v[34:35]
	v_mov_b32_dpp v34, v14 row_shr:1 row_mask:0xf bank_mask:0xf
	v_mov_b32_dpp v35, v15 row_shr:1 row_mask:0xf bank_mask:0xf
	v_add_f64 v[14:15], v[14:15], v[34:35]
	;; [unrolled: 3-line block ×4, first 2 shown]
	v_mov_b32_dpp v34, v32 row_shr:8 row_mask:0xf bank_mask:0xc
	v_mov_b32_dpp v35, v14 row_shr:2 row_mask:0xf bank_mask:0xf
	;; [unrolled: 1-line block ×3, first 2 shown]
	v_add_f64 v[14:15], v[14:15], v[35:36]
	v_mov_b32_dpp v35, v12 row_shr:2 row_mask:0xf bank_mask:0xf
	v_mov_b32_dpp v36, v13 row_shr:2 row_mask:0xf bank_mask:0xf
	v_add_f64 v[12:13], v[12:13], v[35:36]
	v_mov_b32_dpp v35, v10 row_shr:2 row_mask:0xf bank_mask:0xf
	v_mov_b32_dpp v36, v11 row_shr:2 row_mask:0xf bank_mask:0xf
	;; [unrolled: 3-line block ×3, first 2 shown]
	v_mov_b32_dpp v37, v15 row_shr:4 row_mask:0xf bank_mask:0xe
	v_add_f64 v[14:15], v[14:15], v[36:37]
	v_mov_b32_dpp v36, v12 row_shr:4 row_mask:0xf bank_mask:0xe
	v_mov_b32_dpp v37, v13 row_shr:4 row_mask:0xf bank_mask:0xe
	v_add_f64 v[36:37], v[12:13], v[36:37]
	v_mov_b32_dpp v12, v10 row_shr:4 row_mask:0xf bank_mask:0xe
	v_mov_b32_dpp v13, v11 row_shr:4 row_mask:0xf bank_mask:0xe
	v_add_f64 v[10:11], v[10:11], v[12:13]
	v_add_f64 v[12:13], v[32:33], v[34:35]
	v_mov_b32_dpp v32, v14 row_shr:8 row_mask:0xf bank_mask:0xc
	v_mov_b32_dpp v33, v15 row_shr:8 row_mask:0xf bank_mask:0xc
	v_add_f64 v[14:15], v[14:15], v[32:33]
	v_mov_b32_dpp v32, v36 row_shr:8 row_mask:0xf bank_mask:0xc
	v_mov_b32_dpp v33, v37 row_shr:8 row_mask:0xf bank_mask:0xc
	;; [unrolled: 3-line block ×3, first 2 shown]
	v_add_f64 v[32:33], v[10:11], v[32:33]
	v_mov_b32_dpp v26, v24 row_bcast:15 row_mask:0xa bank_mask:0xf
	v_mov_b32_dpp v27, v25 row_bcast:15 row_mask:0xa bank_mask:0xf
	;; [unrolled: 1-line block ×10, first 2 shown]
	s_and_b64 exec, exec, vcc
	s_cbranch_execz .LBB144_25
; %bb.21:
	v_cmp_eq_f64_e32 vcc, 0, v[5:6]
	v_cmp_eq_f64_e64 s[0:1], 0, v[7:8]
	v_add_f64 v[16:17], v[18:19], v[16:17]
	v_add_f64 v[30:31], v[20:21], v[30:31]
	;; [unrolled: 1-line block ×8, first 2 shown]
	s_load_dwordx2 s[2:3], s[4:5], 0x48
	s_and_b64 s[0:1], vcc, s[0:1]
	s_and_saveexec_b64 s[4:5], s[0:1]
	s_xor_b64 s[0:1], exec, s[4:5]
	s_cbranch_execz .LBB144_23
; %bb.22:
	v_mul_f64 v[5:6], v[30:31], -v[3:4]
	v_mul_f64 v[7:8], v[1:2], v[30:31]
	v_mul_f64 v[26:27], v[22:23], -v[3:4]
	v_mul_f64 v[22:23], v[1:2], v[22:23]
	;; [unrolled: 2-line block ×4, first 2 shown]
	v_fma_f64 v[5:6], v[1:2], v[16:17], v[5:6]
	v_fma_f64 v[7:8], v[3:4], v[16:17], v[7:8]
	;; [unrolled: 1-line block ×4, first 2 shown]
	v_lshlrev_b32_e32 v24, 2, v9
	v_fma_f64 v[9:10], v[1:2], v[12:13], v[28:29]
	v_fma_f64 v[11:12], v[3:4], v[12:13], v[20:21]
	v_ashrrev_i32_e32 v25, 31, v24
	v_fma_f64 v[0:1], v[1:2], v[14:15], v[30:31]
	v_fma_f64 v[2:3], v[3:4], v[14:15], v[32:33]
	v_lshlrev_b64 v[24:25], 4, v[24:25]
	s_waitcnt lgkmcnt(0)
	v_mov_b32_e32 v34, s3
	v_add_co_u32_e32 v13, vcc, s2, v24
	v_addc_co_u32_e32 v14, vcc, v34, v25, vcc
	global_store_dwordx4 v[13:14], v[5:8], off
	global_store_dwordx4 v[13:14], v[16:19], off offset:16
	global_store_dwordx4 v[13:14], v[9:12], off offset:32
	;; [unrolled: 1-line block ×3, first 2 shown]
                                        ; implicit-def: $vgpr9
                                        ; implicit-def: $vgpr16_vgpr17
                                        ; implicit-def: $vgpr30_vgpr31
                                        ; implicit-def: $vgpr10_vgpr11
                                        ; implicit-def: $vgpr22_vgpr23
                                        ; implicit-def: $vgpr12_vgpr13
                                        ; implicit-def: $vgpr20_vgpr21
                                        ; implicit-def: $vgpr14_vgpr15
                                        ; implicit-def: $vgpr18_vgpr19
                                        ; implicit-def: $vgpr7_vgpr8
                                        ; implicit-def: $vgpr3_vgpr4
.LBB144_23:
	s_andn2_saveexec_b64 s[0:1], s[0:1]
	s_cbranch_execz .LBB144_25
; %bb.24:
	v_lshlrev_b32_e32 v24, 2, v9
	v_ashrrev_i32_e32 v25, 31, v24
	v_lshlrev_b64 v[24:25], 4, v[24:25]
	s_waitcnt lgkmcnt(0)
	v_mov_b32_e32 v0, s3
	v_add_co_u32_e32 v28, vcc, s2, v24
	v_addc_co_u32_e32 v29, vcc, v0, v25, vcc
	global_load_dwordx4 v[24:27], v[28:29], off
	global_load_dwordx4 v[32:35], v[28:29], off offset:16
	global_load_dwordx4 v[36:39], v[28:29], off offset:32
	;; [unrolled: 1-line block ×3, first 2 shown]
	v_mul_f64 v[44:45], v[30:31], -v[3:4]
	v_mul_f64 v[30:31], v[1:2], v[30:31]
	v_mul_f64 v[46:47], v[22:23], -v[3:4]
	v_mul_f64 v[22:23], v[1:2], v[22:23]
	;; [unrolled: 2-line block ×4, first 2 shown]
	v_fma_f64 v[44:45], v[1:2], v[16:17], v[44:45]
	v_fma_f64 v[16:17], v[3:4], v[16:17], v[30:31]
	;; [unrolled: 1-line block ×8, first 2 shown]
	s_waitcnt vmcnt(3)
	v_fma_f64 v[13:14], v[5:6], v[24:25], v[44:45]
	v_fma_f64 v[15:16], v[7:8], v[24:25], v[16:17]
	s_waitcnt vmcnt(2)
	v_fma_f64 v[17:18], v[5:6], v[32:33], v[30:31]
	v_fma_f64 v[19:20], v[7:8], v[32:33], v[9:10]
	;; [unrolled: 3-line block ×4, first 2 shown]
	v_fma_f64 v[0:1], -v[7:8], v[26:27], v[13:14]
	v_fma_f64 v[2:3], v[5:6], v[26:27], v[15:16]
	v_fma_f64 v[9:10], -v[7:8], v[34:35], v[17:18]
	v_fma_f64 v[11:12], v[5:6], v[34:35], v[19:20]
	v_fma_f64 v[13:14], -v[7:8], v[38:39], v[21:22]
	v_fma_f64 v[15:16], v[5:6], v[38:39], v[23:24]
	v_fma_f64 v[17:18], -v[7:8], v[42:43], v[30:31]
	v_fma_f64 v[19:20], v[5:6], v[42:43], v[32:33]
	global_store_dwordx4 v[28:29], v[0:3], off
	global_store_dwordx4 v[28:29], v[9:12], off offset:16
	global_store_dwordx4 v[28:29], v[13:16], off offset:32
	;; [unrolled: 1-line block ×3, first 2 shown]
.LBB144_25:
	s_endpgm
	.section	.rodata,"a",@progbits
	.p2align	6, 0x0
	.amdhsa_kernel _ZN9rocsparseL19gebsrmvn_4xn_kernelILj128ELj8ELj32E21rocsparse_complex_numIdEEEvi20rocsparse_direction_NS_24const_host_device_scalarIT2_EEPKiS8_PKS5_SA_S6_PS5_21rocsparse_index_base_b
		.amdhsa_group_segment_fixed_size 0
		.amdhsa_private_segment_fixed_size 0
		.amdhsa_kernarg_size 88
		.amdhsa_user_sgpr_count 6
		.amdhsa_user_sgpr_private_segment_buffer 1
		.amdhsa_user_sgpr_dispatch_ptr 0
		.amdhsa_user_sgpr_queue_ptr 0
		.amdhsa_user_sgpr_kernarg_segment_ptr 1
		.amdhsa_user_sgpr_dispatch_id 0
		.amdhsa_user_sgpr_flat_scratch_init 0
		.amdhsa_user_sgpr_private_segment_size 0
		.amdhsa_uses_dynamic_stack 0
		.amdhsa_system_sgpr_private_segment_wavefront_offset 0
		.amdhsa_system_sgpr_workgroup_id_x 1
		.amdhsa_system_sgpr_workgroup_id_y 0
		.amdhsa_system_sgpr_workgroup_id_z 0
		.amdhsa_system_sgpr_workgroup_info 0
		.amdhsa_system_vgpr_workitem_id 0
		.amdhsa_next_free_vgpr 82
		.amdhsa_next_free_sgpr 18
		.amdhsa_reserve_vcc 1
		.amdhsa_reserve_flat_scratch 0
		.amdhsa_float_round_mode_32 0
		.amdhsa_float_round_mode_16_64 0
		.amdhsa_float_denorm_mode_32 3
		.amdhsa_float_denorm_mode_16_64 3
		.amdhsa_dx10_clamp 1
		.amdhsa_ieee_mode 1
		.amdhsa_fp16_overflow 0
		.amdhsa_exception_fp_ieee_invalid_op 0
		.amdhsa_exception_fp_denorm_src 0
		.amdhsa_exception_fp_ieee_div_zero 0
		.amdhsa_exception_fp_ieee_overflow 0
		.amdhsa_exception_fp_ieee_underflow 0
		.amdhsa_exception_fp_ieee_inexact 0
		.amdhsa_exception_int_div_zero 0
	.end_amdhsa_kernel
	.section	.text._ZN9rocsparseL19gebsrmvn_4xn_kernelILj128ELj8ELj32E21rocsparse_complex_numIdEEEvi20rocsparse_direction_NS_24const_host_device_scalarIT2_EEPKiS8_PKS5_SA_S6_PS5_21rocsparse_index_base_b,"axG",@progbits,_ZN9rocsparseL19gebsrmvn_4xn_kernelILj128ELj8ELj32E21rocsparse_complex_numIdEEEvi20rocsparse_direction_NS_24const_host_device_scalarIT2_EEPKiS8_PKS5_SA_S6_PS5_21rocsparse_index_base_b,comdat
.Lfunc_end144:
	.size	_ZN9rocsparseL19gebsrmvn_4xn_kernelILj128ELj8ELj32E21rocsparse_complex_numIdEEEvi20rocsparse_direction_NS_24const_host_device_scalarIT2_EEPKiS8_PKS5_SA_S6_PS5_21rocsparse_index_base_b, .Lfunc_end144-_ZN9rocsparseL19gebsrmvn_4xn_kernelILj128ELj8ELj32E21rocsparse_complex_numIdEEEvi20rocsparse_direction_NS_24const_host_device_scalarIT2_EEPKiS8_PKS5_SA_S6_PS5_21rocsparse_index_base_b
                                        ; -- End function
	.set _ZN9rocsparseL19gebsrmvn_4xn_kernelILj128ELj8ELj32E21rocsparse_complex_numIdEEEvi20rocsparse_direction_NS_24const_host_device_scalarIT2_EEPKiS8_PKS5_SA_S6_PS5_21rocsparse_index_base_b.num_vgpr, 82
	.set _ZN9rocsparseL19gebsrmvn_4xn_kernelILj128ELj8ELj32E21rocsparse_complex_numIdEEEvi20rocsparse_direction_NS_24const_host_device_scalarIT2_EEPKiS8_PKS5_SA_S6_PS5_21rocsparse_index_base_b.num_agpr, 0
	.set _ZN9rocsparseL19gebsrmvn_4xn_kernelILj128ELj8ELj32E21rocsparse_complex_numIdEEEvi20rocsparse_direction_NS_24const_host_device_scalarIT2_EEPKiS8_PKS5_SA_S6_PS5_21rocsparse_index_base_b.numbered_sgpr, 18
	.set _ZN9rocsparseL19gebsrmvn_4xn_kernelILj128ELj8ELj32E21rocsparse_complex_numIdEEEvi20rocsparse_direction_NS_24const_host_device_scalarIT2_EEPKiS8_PKS5_SA_S6_PS5_21rocsparse_index_base_b.num_named_barrier, 0
	.set _ZN9rocsparseL19gebsrmvn_4xn_kernelILj128ELj8ELj32E21rocsparse_complex_numIdEEEvi20rocsparse_direction_NS_24const_host_device_scalarIT2_EEPKiS8_PKS5_SA_S6_PS5_21rocsparse_index_base_b.private_seg_size, 0
	.set _ZN9rocsparseL19gebsrmvn_4xn_kernelILj128ELj8ELj32E21rocsparse_complex_numIdEEEvi20rocsparse_direction_NS_24const_host_device_scalarIT2_EEPKiS8_PKS5_SA_S6_PS5_21rocsparse_index_base_b.uses_vcc, 1
	.set _ZN9rocsparseL19gebsrmvn_4xn_kernelILj128ELj8ELj32E21rocsparse_complex_numIdEEEvi20rocsparse_direction_NS_24const_host_device_scalarIT2_EEPKiS8_PKS5_SA_S6_PS5_21rocsparse_index_base_b.uses_flat_scratch, 0
	.set _ZN9rocsparseL19gebsrmvn_4xn_kernelILj128ELj8ELj32E21rocsparse_complex_numIdEEEvi20rocsparse_direction_NS_24const_host_device_scalarIT2_EEPKiS8_PKS5_SA_S6_PS5_21rocsparse_index_base_b.has_dyn_sized_stack, 0
	.set _ZN9rocsparseL19gebsrmvn_4xn_kernelILj128ELj8ELj32E21rocsparse_complex_numIdEEEvi20rocsparse_direction_NS_24const_host_device_scalarIT2_EEPKiS8_PKS5_SA_S6_PS5_21rocsparse_index_base_b.has_recursion, 0
	.set _ZN9rocsparseL19gebsrmvn_4xn_kernelILj128ELj8ELj32E21rocsparse_complex_numIdEEEvi20rocsparse_direction_NS_24const_host_device_scalarIT2_EEPKiS8_PKS5_SA_S6_PS5_21rocsparse_index_base_b.has_indirect_call, 0
	.section	.AMDGPU.csdata,"",@progbits
; Kernel info:
; codeLenInByte = 3288
; TotalNumSgprs: 22
; NumVgprs: 82
; ScratchSize: 0
; MemoryBound: 0
; FloatMode: 240
; IeeeMode: 1
; LDSByteSize: 0 bytes/workgroup (compile time only)
; SGPRBlocks: 2
; VGPRBlocks: 20
; NumSGPRsForWavesPerEU: 22
; NumVGPRsForWavesPerEU: 82
; Occupancy: 3
; WaveLimiterHint : 1
; COMPUTE_PGM_RSRC2:SCRATCH_EN: 0
; COMPUTE_PGM_RSRC2:USER_SGPR: 6
; COMPUTE_PGM_RSRC2:TRAP_HANDLER: 0
; COMPUTE_PGM_RSRC2:TGID_X_EN: 1
; COMPUTE_PGM_RSRC2:TGID_Y_EN: 0
; COMPUTE_PGM_RSRC2:TGID_Z_EN: 0
; COMPUTE_PGM_RSRC2:TIDIG_COMP_CNT: 0
	.section	.text._ZN9rocsparseL19gebsrmvn_4xn_kernelILj128ELj8ELj64E21rocsparse_complex_numIdEEEvi20rocsparse_direction_NS_24const_host_device_scalarIT2_EEPKiS8_PKS5_SA_S6_PS5_21rocsparse_index_base_b,"axG",@progbits,_ZN9rocsparseL19gebsrmvn_4xn_kernelILj128ELj8ELj64E21rocsparse_complex_numIdEEEvi20rocsparse_direction_NS_24const_host_device_scalarIT2_EEPKiS8_PKS5_SA_S6_PS5_21rocsparse_index_base_b,comdat
	.globl	_ZN9rocsparseL19gebsrmvn_4xn_kernelILj128ELj8ELj64E21rocsparse_complex_numIdEEEvi20rocsparse_direction_NS_24const_host_device_scalarIT2_EEPKiS8_PKS5_SA_S6_PS5_21rocsparse_index_base_b ; -- Begin function _ZN9rocsparseL19gebsrmvn_4xn_kernelILj128ELj8ELj64E21rocsparse_complex_numIdEEEvi20rocsparse_direction_NS_24const_host_device_scalarIT2_EEPKiS8_PKS5_SA_S6_PS5_21rocsparse_index_base_b
	.p2align	8
	.type	_ZN9rocsparseL19gebsrmvn_4xn_kernelILj128ELj8ELj64E21rocsparse_complex_numIdEEEvi20rocsparse_direction_NS_24const_host_device_scalarIT2_EEPKiS8_PKS5_SA_S6_PS5_21rocsparse_index_base_b,@function
_ZN9rocsparseL19gebsrmvn_4xn_kernelILj128ELj8ELj64E21rocsparse_complex_numIdEEEvi20rocsparse_direction_NS_24const_host_device_scalarIT2_EEPKiS8_PKS5_SA_S6_PS5_21rocsparse_index_base_b: ; @_ZN9rocsparseL19gebsrmvn_4xn_kernelILj128ELj8ELj64E21rocsparse_complex_numIdEEEvi20rocsparse_direction_NS_24const_host_device_scalarIT2_EEPKiS8_PKS5_SA_S6_PS5_21rocsparse_index_base_b
; %bb.0:
	s_load_dwordx2 s[0:1], s[4:5], 0x8
	s_load_dwordx2 s[8:9], s[4:5], 0x38
	;; [unrolled: 1-line block ×3, first 2 shown]
	s_add_u32 s7, s4, 8
	s_addc_u32 s10, s5, 0
	s_add_u32 s11, s4, 56
	s_addc_u32 s12, s5, 0
	s_waitcnt lgkmcnt(0)
	s_bitcmp1_b32 s3, 0
	s_cselect_b32 s1, s10, s1
	s_cselect_b32 s0, s7, s0
	v_mov_b32_e32 v1, s0
	v_mov_b32_e32 v2, s1
	flat_load_dwordx4 v[1:4], v[1:2]
	s_cselect_b32 s0, s12, s9
	s_cselect_b32 s1, s11, s8
	v_mov_b32_e32 v5, s1
	v_mov_b32_e32 v6, s0
	flat_load_dwordx4 v[5:8], v[5:6]
	s_waitcnt vmcnt(0) lgkmcnt(0)
	v_cmp_eq_f64_e32 vcc, 0, v[1:2]
	v_cmp_eq_f64_e64 s[0:1], 0, v[3:4]
	s_and_b64 s[10:11], vcc, s[0:1]
	s_mov_b64 s[0:1], -1
	s_and_saveexec_b64 s[8:9], s[10:11]
	s_cbranch_execz .LBB145_2
; %bb.1:
	v_cmp_neq_f64_e32 vcc, 1.0, v[5:6]
	v_cmp_neq_f64_e64 s[0:1], 0, v[7:8]
	s_or_b64 s[0:1], vcc, s[0:1]
	s_orn2_b64 s[0:1], s[0:1], exec
.LBB145_2:
	s_or_b64 exec, exec, s[8:9]
	s_and_saveexec_b64 s[8:9], s[0:1]
	s_cbranch_execz .LBB145_25
; %bb.3:
	s_load_dwordx2 s[0:1], s[4:5], 0x0
	v_lshrrev_b32_e32 v9, 6, v0
	v_lshl_or_b32 v9, s6, 1, v9
	s_waitcnt lgkmcnt(0)
	v_cmp_gt_i32_e32 vcc, s0, v9
	s_and_b64 exec, exec, vcc
	s_cbranch_execz .LBB145_25
; %bb.4:
	s_load_dwordx8 s[8:15], s[4:5], 0x18
	v_ashrrev_i32_e32 v10, 31, v9
	v_lshlrev_b64 v[10:11], 2, v[9:10]
	v_and_b32_e32 v0, 63, v0
	s_cmp_lg_u32 s1, 0
	s_waitcnt lgkmcnt(0)
	v_mov_b32_e32 v12, s9
	v_add_co_u32_e32 v10, vcc, s8, v10
	v_addc_co_u32_e32 v11, vcc, v12, v11, vcc
	global_load_dwordx2 v[10:11], v[10:11], off
	s_waitcnt vmcnt(0)
	v_subrev_u32_e32 v10, s2, v10
	v_subrev_u32_e32 v34, s2, v11
	v_add_u32_e32 v18, v10, v0
	v_cmp_lt_i32_e64 s[0:1], v18, v34
	s_cbranch_scc0 .LBB145_12
; %bb.5:
	v_mov_b32_e32 v24, 0
	v_mov_b32_e32 v26, 0
	;; [unrolled: 1-line block ×16, first 2 shown]
	s_and_saveexec_b64 s[6:7], s[0:1]
	s_cbranch_execz .LBB145_11
; %bb.6:
	s_add_u32 s3, s14, 16
	s_addc_u32 s16, s15, 0
	v_lshlrev_b32_e32 v28, 5, v18
	v_mov_b32_e32 v24, 0
	v_mov_b32_e32 v26, 0
	;; [unrolled: 1-line block ×8, first 2 shown]
	v_or_b32_e32 v19, 4, v28
	v_mov_b32_e32 v25, 0
	s_mov_b64 s[8:9], 0
	v_mov_b32_e32 v30, 0
	v_mov_b32_e32 v35, s13
	;; [unrolled: 1-line block ×12, first 2 shown]
.LBB145_7:                              ; =>This Loop Header: Depth=1
                                        ;     Child Loop BB145_8 Depth 2
	v_ashrrev_i32_e32 v32, 31, v31
	v_lshlrev_b64 v[32:33], 2, v[31:32]
	v_mov_b32_e32 v29, v30
	v_add_co_u32_e32 v32, vcc, s10, v32
	v_addc_co_u32_e32 v33, vcc, v36, v33, vcc
	global_load_dword v40, v[32:33], off
	v_lshlrev_b64 v[32:33], 4, v[28:29]
	s_mov_b64 s[16:17], 0
	v_add_co_u32_e32 v38, vcc, s12, v32
	v_addc_co_u32_e32 v39, vcc, v35, v33, vcc
	s_waitcnt vmcnt(0)
	v_subrev_u32_e32 v29, s2, v40
	v_lshlrev_b32_e32 v29, 3, v29
	v_lshlrev_b64 v[32:33], 4, v[29:30]
	v_mov_b32_e32 v29, v19
	v_add_co_u32_e32 v32, vcc, s3, v32
	v_addc_co_u32_e32 v33, vcc, v37, v33, vcc
.LBB145_8:                              ;   Parent Loop BB145_7 Depth=1
                                        ; =>  This Inner Loop Header: Depth=2
	v_mov_b32_e32 v48, s17
	v_add_co_u32_e32 v64, vcc, s16, v38
	v_addc_co_u32_e32 v65, vcc, v39, v48, vcc
	global_load_dwordx4 v[40:43], v[32:33], off
	global_load_dwordx4 v[44:47], v[32:33], off offset:-16
	global_load_dwordx4 v[48:51], v[64:65], off
	global_load_dwordx4 v[52:55], v[64:65], off offset:16
	global_load_dwordx4 v[56:59], v[64:65], off offset:32
	;; [unrolled: 1-line block ×3, first 2 shown]
	v_lshlrev_b64 v[64:65], 4, v[29:30]
	v_mov_b32_e32 v66, s13
	v_add_co_u32_e32 v80, vcc, s12, v64
	v_addc_co_u32_e32 v81, vcc, v66, v65, vcc
	global_load_dwordx4 v[64:67], v[80:81], off
	global_load_dwordx4 v[68:71], v[80:81], off offset:16
	global_load_dwordx4 v[72:75], v[80:81], off offset:32
	global_load_dwordx4 v[76:79], v[80:81], off offset:48
	s_add_u32 s16, s16, 0x80
	v_add_co_u32_e32 v32, vcc, 32, v32
	s_addc_u32 s17, s17, 0
	v_add_u32_e32 v29, 8, v29
	s_cmpk_eq_i32 s16, 0x200
	v_addc_co_u32_e32 v33, vcc, 0, v33, vcc
	s_waitcnt vmcnt(7)
	v_fma_f64 v[26:27], v[48:49], v[44:45], v[26:27]
	v_fma_f64 v[24:25], v[50:51], v[44:45], v[24:25]
	s_waitcnt vmcnt(6)
	v_fma_f64 v[22:23], v[52:53], v[44:45], v[22:23]
	v_fma_f64 v[20:21], v[54:55], v[44:45], v[20:21]
	;; [unrolled: 3-line block ×4, first 2 shown]
	v_fma_f64 v[26:27], -v[50:51], v[46:47], v[26:27]
	v_fma_f64 v[24:25], v[48:49], v[46:47], v[24:25]
	v_fma_f64 v[22:23], -v[54:55], v[46:47], v[22:23]
	v_fma_f64 v[20:21], v[52:53], v[46:47], v[20:21]
	;; [unrolled: 2-line block ×4, first 2 shown]
	s_waitcnt vmcnt(3)
	v_fma_f64 v[26:27], v[64:65], v[40:41], v[26:27]
	v_fma_f64 v[24:25], v[66:67], v[40:41], v[24:25]
	s_waitcnt vmcnt(2)
	v_fma_f64 v[22:23], v[68:69], v[40:41], v[22:23]
	v_fma_f64 v[20:21], v[70:71], v[40:41], v[20:21]
	;; [unrolled: 3-line block ×4, first 2 shown]
	v_fma_f64 v[26:27], -v[66:67], v[42:43], v[26:27]
	v_fma_f64 v[24:25], v[64:65], v[42:43], v[24:25]
	v_fma_f64 v[22:23], -v[70:71], v[42:43], v[22:23]
	v_fma_f64 v[20:21], v[68:69], v[42:43], v[20:21]
	;; [unrolled: 2-line block ×4, first 2 shown]
	s_cbranch_scc0 .LBB145_8
; %bb.9:                                ;   in Loop: Header=BB145_7 Depth=1
	v_add_u32_e32 v31, 64, v31
	v_cmp_ge_i32_e32 vcc, v31, v34
	v_add_u32_e32 v19, 0x800, v19
	s_or_b64 s[8:9], vcc, s[8:9]
	v_add_u32_e32 v28, 0x800, v28
	s_andn2_b64 exec, exec, s[8:9]
	s_cbranch_execnz .LBB145_7
; %bb.10:
	s_or_b64 exec, exec, s[8:9]
.LBB145_11:
	s_or_b64 exec, exec, s[6:7]
	s_cbranch_execz .LBB145_13
	s_branch .LBB145_20
.LBB145_12:
                                        ; implicit-def: $vgpr24_vgpr25
                                        ; implicit-def: $vgpr26_vgpr27
                                        ; implicit-def: $vgpr12_vgpr13
                                        ; implicit-def: $vgpr10_vgpr11
                                        ; implicit-def: $vgpr16_vgpr17
                                        ; implicit-def: $vgpr14_vgpr15
                                        ; implicit-def: $vgpr22_vgpr23
                                        ; implicit-def: $vgpr20_vgpr21
.LBB145_13:
	v_mov_b32_e32 v24, 0
	v_mov_b32_e32 v26, 0
	;; [unrolled: 1-line block ×16, first 2 shown]
	s_and_saveexec_b64 s[6:7], s[0:1]
	s_cbranch_execz .LBB145_19
; %bb.14:
	v_mov_b32_e32 v24, 0
	v_mov_b32_e32 v26, 0
	;; [unrolled: 1-line block ×8, first 2 shown]
	v_lshlrev_b32_e32 v28, 5, v18
	v_mov_b32_e32 v25, 0
	s_mov_b64 s[8:9], 0
	v_mov_b32_e32 v29, 0
	v_mov_b32_e32 v30, s13
	;; [unrolled: 1-line block ×11, first 2 shown]
.LBB145_15:                             ; =>This Loop Header: Depth=1
                                        ;     Child Loop BB145_16 Depth 2
	v_ashrrev_i32_e32 v19, 31, v18
	v_lshlrev_b64 v[35:36], 2, v[18:19]
	v_mov_b32_e32 v37, v29
	v_add_co_u32_e32 v35, vcc, s10, v35
	v_addc_co_u32_e32 v36, vcc, v31, v36, vcc
	global_load_dword v38, v[35:36], off
	v_lshlrev_b64 v[35:36], 4, v[28:29]
	s_mov_b64 s[16:17], 0
	v_add_co_u32_e32 v19, vcc, s12, v35
	v_addc_co_u32_e32 v33, vcc, v30, v36, vcc
	s_waitcnt vmcnt(0)
	v_subrev_u32_e32 v35, s2, v38
	v_lshlrev_b32_e32 v36, 3, v35
	v_lshlrev_b64 v[35:36], 4, v[36:37]
	v_add_co_u32_e32 v35, vcc, s14, v35
	v_addc_co_u32_e32 v36, vcc, v32, v36, vcc
.LBB145_16:                             ;   Parent Loop BB145_15 Depth=1
                                        ; =>  This Inner Loop Header: Depth=2
	v_mov_b32_e32 v37, s17
	v_add_co_u32_e64 v79, s[0:1], s16, v19
	v_add_co_u32_e32 v77, vcc, s16, v35
	v_addc_co_u32_e64 v80, s[0:1], v33, v37, s[0:1]
	v_addc_co_u32_e32 v78, vcc, v36, v37, vcc
	global_load_dwordx4 v[37:40], v[79:80], off
	global_load_dwordx4 v[41:44], v[77:78], off
	global_load_dwordx4 v[45:48], v[79:80], off offset:128
	global_load_dwordx4 v[49:52], v[79:80], off offset:256
	;; [unrolled: 1-line block ×8, first 2 shown]
	s_add_u32 s16, s16, 32
	s_addc_u32 s17, s17, 0
	s_cmpk_eq_i32 s16, 0x80
	s_waitcnt vmcnt(8)
	v_fma_f64 v[26:27], v[37:38], v[41:42], v[26:27]
	v_fma_f64 v[24:25], v[39:40], v[41:42], v[24:25]
	s_waitcnt vmcnt(7)
	v_fma_f64 v[22:23], v[45:46], v[41:42], v[22:23]
	v_fma_f64 v[20:21], v[47:48], v[41:42], v[20:21]
	;; [unrolled: 3-line block ×4, first 2 shown]
	v_fma_f64 v[26:27], -v[39:40], v[43:44], v[26:27]
	v_fma_f64 v[24:25], v[37:38], v[43:44], v[24:25]
	v_fma_f64 v[22:23], -v[47:48], v[43:44], v[22:23]
	v_fma_f64 v[20:21], v[45:46], v[43:44], v[20:21]
	;; [unrolled: 2-line block ×4, first 2 shown]
	s_waitcnt vmcnt(3)
	v_fma_f64 v[26:27], v[57:58], v[61:62], v[26:27]
	v_fma_f64 v[24:25], v[59:60], v[61:62], v[24:25]
	s_waitcnt vmcnt(2)
	v_fma_f64 v[22:23], v[65:66], v[61:62], v[22:23]
	v_fma_f64 v[20:21], v[67:68], v[61:62], v[20:21]
	;; [unrolled: 3-line block ×4, first 2 shown]
	v_fma_f64 v[26:27], -v[59:60], v[63:64], v[26:27]
	v_fma_f64 v[24:25], v[57:58], v[63:64], v[24:25]
	v_fma_f64 v[22:23], -v[67:68], v[63:64], v[22:23]
	v_fma_f64 v[20:21], v[65:66], v[63:64], v[20:21]
	;; [unrolled: 2-line block ×4, first 2 shown]
	s_cbranch_scc0 .LBB145_16
; %bb.17:                               ;   in Loop: Header=BB145_15 Depth=1
	v_add_u32_e32 v18, 64, v18
	v_cmp_ge_i32_e32 vcc, v18, v34
	s_or_b64 s[8:9], vcc, s[8:9]
	v_add_u32_e32 v28, 0x800, v28
	s_andn2_b64 exec, exec, s[8:9]
	s_cbranch_execnz .LBB145_15
; %bb.18:
	s_or_b64 exec, exec, s[8:9]
.LBB145_19:
	s_or_b64 exec, exec, s[6:7]
.LBB145_20:
	v_mov_b32_dpp v18, v26 row_shr:1 row_mask:0xf bank_mask:0xf
	v_mov_b32_dpp v19, v27 row_shr:1 row_mask:0xf bank_mask:0xf
	v_add_f64 v[18:19], v[26:27], v[18:19]
	v_mov_b32_dpp v26, v24 row_shr:1 row_mask:0xf bank_mask:0xf
	v_mov_b32_dpp v27, v25 row_shr:1 row_mask:0xf bank_mask:0xf
	v_add_f64 v[24:25], v[24:25], v[26:27]
	v_mov_b32_dpp v28, v20 row_shr:1 row_mask:0xf bank_mask:0xf
	v_mov_b32_dpp v29, v21 row_shr:1 row_mask:0xf bank_mask:0xf
	v_add_f64 v[20:21], v[20:21], v[28:29]
	v_mov_b32_dpp v36, v14 row_shr:1 row_mask:0xf bank_mask:0xf
	v_mov_b32_dpp v26, v18 row_shr:2 row_mask:0xf bank_mask:0xf
	v_mov_b32_dpp v27, v19 row_shr:2 row_mask:0xf bank_mask:0xf
	v_add_f64 v[18:19], v[18:19], v[26:27]
	v_mov_b32_dpp v26, v24 row_shr:2 row_mask:0xf bank_mask:0xf
	v_mov_b32_dpp v27, v25 row_shr:2 row_mask:0xf bank_mask:0xf
	v_add_f64 v[24:25], v[24:25], v[26:27]
	v_mov_b32_dpp v26, v22 row_shr:1 row_mask:0xf bank_mask:0xf
	v_mov_b32_dpp v27, v23 row_shr:1 row_mask:0xf bank_mask:0xf
	v_add_f64 v[22:23], v[22:23], v[26:27]
	v_mov_b32_dpp v37, v15 row_shr:1 row_mask:0xf bank_mask:0xf
	;; [unrolled: 10-line block ×3, first 2 shown]
	v_mov_b32_dpp v28, v18 row_shr:8 row_mask:0xf bank_mask:0xc
	v_mov_b32_dpp v29, v19 row_shr:8 row_mask:0xf bank_mask:0xc
	v_add_f64 v[18:19], v[18:19], v[28:29]
	v_mov_b32_dpp v27, v21 row_shr:2 row_mask:0xf bank_mask:0xf
	v_add_f64 v[20:21], v[20:21], v[26:27]
	v_mov_b32_dpp v28, v24 row_shr:8 row_mask:0xf bank_mask:0xc
	v_mov_b32_dpp v29, v25 row_shr:8 row_mask:0xf bank_mask:0xc
	v_add_f64 v[24:25], v[24:25], v[28:29]
	v_mov_b32_dpp v28, v23 row_shr:4 row_mask:0xf bank_mask:0xe
	v_add_f64 v[14:15], v[14:15], v[36:37]
	v_mov_b32_dpp v26, v18 row_bcast:15 row_mask:0xa bank_mask:0xf
	v_mov_b32_dpp v27, v19 row_bcast:15 row_mask:0xa bank_mask:0xf
	v_add_f64 v[18:19], v[18:19], v[26:27]
	v_mov_b32_dpp v36, v12 row_shr:1 row_mask:0xf bank_mask:0xf
	v_mov_b32_dpp v27, v22 row_shr:4 row_mask:0xf bank_mask:0xe
	v_add_f64 v[22:23], v[22:23], v[27:28]
	v_mov_b32_dpp v28, v21 row_shr:4 row_mask:0xf bank_mask:0xe
	v_mov_b32_dpp v27, v20 row_shr:4 row_mask:0xf bank_mask:0xe
	;; [unrolled: 3-line block ×3, first 2 shown]
	v_add_f64 v[16:17], v[16:17], v[27:28]
	v_mov_b32_dpp v26, v24 row_bcast:15 row_mask:0xa bank_mask:0xf
	v_mov_b32_dpp v28, v22 row_shr:8 row_mask:0xf bank_mask:0xc
	v_mov_b32_dpp v29, v23 row_shr:8 row_mask:0xf bank_mask:0xc
	v_add_f64 v[22:23], v[22:23], v[28:29]
	v_mov_b32_dpp v28, v20 row_shr:8 row_mask:0xf bank_mask:0xc
	v_mov_b32_dpp v29, v21 row_shr:8 row_mask:0xf bank_mask:0xc
	v_add_f64 v[28:29], v[20:21], v[28:29]
	;; [unrolled: 3-line block ×3, first 2 shown]
	v_mov_b32_dpp v27, v25 row_bcast:15 row_mask:0xa bank_mask:0xf
	v_add_f64 v[20:21], v[24:25], v[26:27]
	v_mov_b32_dpp v37, v13 row_shr:1 row_mask:0xf bank_mask:0xf
	v_add_f64 v[12:13], v[12:13], v[36:37]
	v_mov_b32_dpp v36, v10 row_shr:1 row_mask:0xf bank_mask:0xf
	v_mov_b32_dpp v37, v11 row_shr:1 row_mask:0xf bank_mask:0xf
	v_add_f64 v[10:11], v[10:11], v[36:37]
	v_mov_b32_dpp v26, v16 row_shr:4 row_mask:0xf bank_mask:0xe
	v_mov_b32_dpp v27, v17 row_shr:4 row_mask:0xf bank_mask:0xe
	v_add_f64 v[32:33], v[16:17], v[26:27]
	v_mov_b32_dpp v24, v22 row_bcast:15 row_mask:0xa bank_mask:0xf
	v_mov_b32_dpp v25, v23 row_bcast:15 row_mask:0xa bank_mask:0xf
	v_add_f64 v[22:23], v[22:23], v[24:25]
	v_mov_b32_dpp v24, v28 row_bcast:15 row_mask:0xa bank_mask:0xf
	v_mov_b32_dpp v25, v29 row_bcast:15 row_mask:0xa bank_mask:0xf
	v_add_f64 v[24:25], v[28:29], v[24:25]
	v_mov_b32_dpp v16, v18 row_bcast:31 row_mask:0xc bank_mask:0xf
	v_mov_b32_dpp v34, v32 row_shr:8 row_mask:0xf bank_mask:0xc
	v_mov_b32_dpp v35, v33 row_shr:8 row_mask:0xf bank_mask:0xc
	v_add_f64 v[32:33], v[32:33], v[34:35]
	v_mov_b32_dpp v34, v14 row_shr:2 row_mask:0xf bank_mask:0xf
	v_mov_b32_dpp v35, v15 row_shr:2 row_mask:0xf bank_mask:0xf
	v_add_f64 v[14:15], v[14:15], v[34:35]
	;; [unrolled: 3-line block ×4, first 2 shown]
	v_mov_b32_dpp v34, v32 row_bcast:15 row_mask:0xa bank_mask:0xf
	v_mov_b32_dpp v35, v14 row_shr:4 row_mask:0xf bank_mask:0xe
	v_mov_b32_dpp v36, v15 row_shr:4 row_mask:0xf bank_mask:0xe
	v_add_f64 v[14:15], v[14:15], v[35:36]
	v_mov_b32_dpp v35, v12 row_shr:4 row_mask:0xf bank_mask:0xe
	v_mov_b32_dpp v36, v13 row_shr:4 row_mask:0xf bank_mask:0xe
	v_add_f64 v[12:13], v[12:13], v[35:36]
	;; [unrolled: 3-line block ×3, first 2 shown]
	v_mov_b32_dpp v35, v33 row_bcast:15 row_mask:0xa bank_mask:0xf
	v_mov_b32_dpp v36, v14 row_shr:8 row_mask:0xf bank_mask:0xc
	v_mov_b32_dpp v37, v15 row_shr:8 row_mask:0xf bank_mask:0xc
	v_add_f64 v[14:15], v[14:15], v[36:37]
	v_mov_b32_dpp v36, v12 row_shr:8 row_mask:0xf bank_mask:0xc
	v_mov_b32_dpp v37, v13 row_shr:8 row_mask:0xf bank_mask:0xc
	v_add_f64 v[36:37], v[12:13], v[36:37]
	;; [unrolled: 3-line block ×3, first 2 shown]
	v_add_f64 v[12:13], v[32:33], v[34:35]
	v_mov_b32_dpp v32, v14 row_bcast:15 row_mask:0xa bank_mask:0xf
	v_mov_b32_dpp v33, v15 row_bcast:15 row_mask:0xa bank_mask:0xf
	v_add_f64 v[14:15], v[14:15], v[32:33]
	v_mov_b32_dpp v32, v36 row_bcast:15 row_mask:0xa bank_mask:0xf
	v_mov_b32_dpp v33, v37 row_bcast:15 row_mask:0xa bank_mask:0xf
	;; [unrolled: 3-line block ×4, first 2 shown]
	v_mov_b32_dpp v31, v21 row_bcast:31 row_mask:0xc bank_mask:0xf
	v_mov_b32_dpp v28, v22 row_bcast:31 row_mask:0xc bank_mask:0xf
	;; [unrolled: 1-line block ×13, first 2 shown]
	v_cmp_eq_u32_e32 vcc, 63, v0
	s_and_b64 exec, exec, vcc
	s_cbranch_execz .LBB145_25
; %bb.21:
	v_cmp_eq_f64_e32 vcc, 0, v[5:6]
	v_cmp_eq_f64_e64 s[0:1], 0, v[7:8]
	v_add_f64 v[16:17], v[18:19], v[16:17]
	v_add_f64 v[30:31], v[20:21], v[30:31]
	;; [unrolled: 1-line block ×8, first 2 shown]
	s_load_dwordx2 s[2:3], s[4:5], 0x48
	s_and_b64 s[0:1], vcc, s[0:1]
	s_and_saveexec_b64 s[4:5], s[0:1]
	s_xor_b64 s[0:1], exec, s[4:5]
	s_cbranch_execz .LBB145_23
; %bb.22:
	v_mul_f64 v[5:6], v[30:31], -v[3:4]
	v_mul_f64 v[7:8], v[1:2], v[30:31]
	v_mul_f64 v[26:27], v[22:23], -v[3:4]
	v_mul_f64 v[22:23], v[1:2], v[22:23]
	;; [unrolled: 2-line block ×4, first 2 shown]
	v_fma_f64 v[5:6], v[1:2], v[16:17], v[5:6]
	v_fma_f64 v[7:8], v[3:4], v[16:17], v[7:8]
	;; [unrolled: 1-line block ×4, first 2 shown]
	v_lshlrev_b32_e32 v24, 2, v9
	v_fma_f64 v[9:10], v[1:2], v[12:13], v[28:29]
	v_fma_f64 v[11:12], v[3:4], v[12:13], v[20:21]
	v_ashrrev_i32_e32 v25, 31, v24
	v_fma_f64 v[0:1], v[1:2], v[14:15], v[30:31]
	v_fma_f64 v[2:3], v[3:4], v[14:15], v[32:33]
	v_lshlrev_b64 v[24:25], 4, v[24:25]
	s_waitcnt lgkmcnt(0)
	v_mov_b32_e32 v34, s3
	v_add_co_u32_e32 v13, vcc, s2, v24
	v_addc_co_u32_e32 v14, vcc, v34, v25, vcc
	global_store_dwordx4 v[13:14], v[5:8], off
	global_store_dwordx4 v[13:14], v[16:19], off offset:16
	global_store_dwordx4 v[13:14], v[9:12], off offset:32
	;; [unrolled: 1-line block ×3, first 2 shown]
                                        ; implicit-def: $vgpr9
                                        ; implicit-def: $vgpr16_vgpr17
                                        ; implicit-def: $vgpr30_vgpr31
                                        ; implicit-def: $vgpr10_vgpr11
                                        ; implicit-def: $vgpr22_vgpr23
                                        ; implicit-def: $vgpr12_vgpr13
                                        ; implicit-def: $vgpr20_vgpr21
                                        ; implicit-def: $vgpr14_vgpr15
                                        ; implicit-def: $vgpr18_vgpr19
                                        ; implicit-def: $vgpr7_vgpr8
                                        ; implicit-def: $vgpr3_vgpr4
.LBB145_23:
	s_andn2_saveexec_b64 s[0:1], s[0:1]
	s_cbranch_execz .LBB145_25
; %bb.24:
	v_lshlrev_b32_e32 v24, 2, v9
	v_ashrrev_i32_e32 v25, 31, v24
	v_lshlrev_b64 v[24:25], 4, v[24:25]
	s_waitcnt lgkmcnt(0)
	v_mov_b32_e32 v0, s3
	v_add_co_u32_e32 v28, vcc, s2, v24
	v_addc_co_u32_e32 v29, vcc, v0, v25, vcc
	global_load_dwordx4 v[24:27], v[28:29], off
	global_load_dwordx4 v[32:35], v[28:29], off offset:16
	global_load_dwordx4 v[36:39], v[28:29], off offset:32
	global_load_dwordx4 v[40:43], v[28:29], off offset:48
	v_mul_f64 v[44:45], v[30:31], -v[3:4]
	v_mul_f64 v[30:31], v[1:2], v[30:31]
	v_mul_f64 v[46:47], v[22:23], -v[3:4]
	v_mul_f64 v[22:23], v[1:2], v[22:23]
	;; [unrolled: 2-line block ×4, first 2 shown]
	v_fma_f64 v[44:45], v[1:2], v[16:17], v[44:45]
	v_fma_f64 v[16:17], v[3:4], v[16:17], v[30:31]
	;; [unrolled: 1-line block ×8, first 2 shown]
	s_waitcnt vmcnt(3)
	v_fma_f64 v[13:14], v[5:6], v[24:25], v[44:45]
	v_fma_f64 v[15:16], v[7:8], v[24:25], v[16:17]
	s_waitcnt vmcnt(2)
	v_fma_f64 v[17:18], v[5:6], v[32:33], v[30:31]
	v_fma_f64 v[19:20], v[7:8], v[32:33], v[9:10]
	;; [unrolled: 3-line block ×4, first 2 shown]
	v_fma_f64 v[0:1], -v[7:8], v[26:27], v[13:14]
	v_fma_f64 v[2:3], v[5:6], v[26:27], v[15:16]
	v_fma_f64 v[9:10], -v[7:8], v[34:35], v[17:18]
	v_fma_f64 v[11:12], v[5:6], v[34:35], v[19:20]
	;; [unrolled: 2-line block ×4, first 2 shown]
	global_store_dwordx4 v[28:29], v[0:3], off
	global_store_dwordx4 v[28:29], v[9:12], off offset:16
	global_store_dwordx4 v[28:29], v[13:16], off offset:32
	;; [unrolled: 1-line block ×3, first 2 shown]
.LBB145_25:
	s_endpgm
	.section	.rodata,"a",@progbits
	.p2align	6, 0x0
	.amdhsa_kernel _ZN9rocsparseL19gebsrmvn_4xn_kernelILj128ELj8ELj64E21rocsparse_complex_numIdEEEvi20rocsparse_direction_NS_24const_host_device_scalarIT2_EEPKiS8_PKS5_SA_S6_PS5_21rocsparse_index_base_b
		.amdhsa_group_segment_fixed_size 0
		.amdhsa_private_segment_fixed_size 0
		.amdhsa_kernarg_size 88
		.amdhsa_user_sgpr_count 6
		.amdhsa_user_sgpr_private_segment_buffer 1
		.amdhsa_user_sgpr_dispatch_ptr 0
		.amdhsa_user_sgpr_queue_ptr 0
		.amdhsa_user_sgpr_kernarg_segment_ptr 1
		.amdhsa_user_sgpr_dispatch_id 0
		.amdhsa_user_sgpr_flat_scratch_init 0
		.amdhsa_user_sgpr_private_segment_size 0
		.amdhsa_uses_dynamic_stack 0
		.amdhsa_system_sgpr_private_segment_wavefront_offset 0
		.amdhsa_system_sgpr_workgroup_id_x 1
		.amdhsa_system_sgpr_workgroup_id_y 0
		.amdhsa_system_sgpr_workgroup_id_z 0
		.amdhsa_system_sgpr_workgroup_info 0
		.amdhsa_system_vgpr_workitem_id 0
		.amdhsa_next_free_vgpr 82
		.amdhsa_next_free_sgpr 18
		.amdhsa_reserve_vcc 1
		.amdhsa_reserve_flat_scratch 0
		.amdhsa_float_round_mode_32 0
		.amdhsa_float_round_mode_16_64 0
		.amdhsa_float_denorm_mode_32 3
		.amdhsa_float_denorm_mode_16_64 3
		.amdhsa_dx10_clamp 1
		.amdhsa_ieee_mode 1
		.amdhsa_fp16_overflow 0
		.amdhsa_exception_fp_ieee_invalid_op 0
		.amdhsa_exception_fp_denorm_src 0
		.amdhsa_exception_fp_ieee_div_zero 0
		.amdhsa_exception_fp_ieee_overflow 0
		.amdhsa_exception_fp_ieee_underflow 0
		.amdhsa_exception_fp_ieee_inexact 0
		.amdhsa_exception_int_div_zero 0
	.end_amdhsa_kernel
	.section	.text._ZN9rocsparseL19gebsrmvn_4xn_kernelILj128ELj8ELj64E21rocsparse_complex_numIdEEEvi20rocsparse_direction_NS_24const_host_device_scalarIT2_EEPKiS8_PKS5_SA_S6_PS5_21rocsparse_index_base_b,"axG",@progbits,_ZN9rocsparseL19gebsrmvn_4xn_kernelILj128ELj8ELj64E21rocsparse_complex_numIdEEEvi20rocsparse_direction_NS_24const_host_device_scalarIT2_EEPKiS8_PKS5_SA_S6_PS5_21rocsparse_index_base_b,comdat
.Lfunc_end145:
	.size	_ZN9rocsparseL19gebsrmvn_4xn_kernelILj128ELj8ELj64E21rocsparse_complex_numIdEEEvi20rocsparse_direction_NS_24const_host_device_scalarIT2_EEPKiS8_PKS5_SA_S6_PS5_21rocsparse_index_base_b, .Lfunc_end145-_ZN9rocsparseL19gebsrmvn_4xn_kernelILj128ELj8ELj64E21rocsparse_complex_numIdEEEvi20rocsparse_direction_NS_24const_host_device_scalarIT2_EEPKiS8_PKS5_SA_S6_PS5_21rocsparse_index_base_b
                                        ; -- End function
	.set _ZN9rocsparseL19gebsrmvn_4xn_kernelILj128ELj8ELj64E21rocsparse_complex_numIdEEEvi20rocsparse_direction_NS_24const_host_device_scalarIT2_EEPKiS8_PKS5_SA_S6_PS5_21rocsparse_index_base_b.num_vgpr, 82
	.set _ZN9rocsparseL19gebsrmvn_4xn_kernelILj128ELj8ELj64E21rocsparse_complex_numIdEEEvi20rocsparse_direction_NS_24const_host_device_scalarIT2_EEPKiS8_PKS5_SA_S6_PS5_21rocsparse_index_base_b.num_agpr, 0
	.set _ZN9rocsparseL19gebsrmvn_4xn_kernelILj128ELj8ELj64E21rocsparse_complex_numIdEEEvi20rocsparse_direction_NS_24const_host_device_scalarIT2_EEPKiS8_PKS5_SA_S6_PS5_21rocsparse_index_base_b.numbered_sgpr, 18
	.set _ZN9rocsparseL19gebsrmvn_4xn_kernelILj128ELj8ELj64E21rocsparse_complex_numIdEEEvi20rocsparse_direction_NS_24const_host_device_scalarIT2_EEPKiS8_PKS5_SA_S6_PS5_21rocsparse_index_base_b.num_named_barrier, 0
	.set _ZN9rocsparseL19gebsrmvn_4xn_kernelILj128ELj8ELj64E21rocsparse_complex_numIdEEEvi20rocsparse_direction_NS_24const_host_device_scalarIT2_EEPKiS8_PKS5_SA_S6_PS5_21rocsparse_index_base_b.private_seg_size, 0
	.set _ZN9rocsparseL19gebsrmvn_4xn_kernelILj128ELj8ELj64E21rocsparse_complex_numIdEEEvi20rocsparse_direction_NS_24const_host_device_scalarIT2_EEPKiS8_PKS5_SA_S6_PS5_21rocsparse_index_base_b.uses_vcc, 1
	.set _ZN9rocsparseL19gebsrmvn_4xn_kernelILj128ELj8ELj64E21rocsparse_complex_numIdEEEvi20rocsparse_direction_NS_24const_host_device_scalarIT2_EEPKiS8_PKS5_SA_S6_PS5_21rocsparse_index_base_b.uses_flat_scratch, 0
	.set _ZN9rocsparseL19gebsrmvn_4xn_kernelILj128ELj8ELj64E21rocsparse_complex_numIdEEEvi20rocsparse_direction_NS_24const_host_device_scalarIT2_EEPKiS8_PKS5_SA_S6_PS5_21rocsparse_index_base_b.has_dyn_sized_stack, 0
	.set _ZN9rocsparseL19gebsrmvn_4xn_kernelILj128ELj8ELj64E21rocsparse_complex_numIdEEEvi20rocsparse_direction_NS_24const_host_device_scalarIT2_EEPKiS8_PKS5_SA_S6_PS5_21rocsparse_index_base_b.has_recursion, 0
	.set _ZN9rocsparseL19gebsrmvn_4xn_kernelILj128ELj8ELj64E21rocsparse_complex_numIdEEEvi20rocsparse_direction_NS_24const_host_device_scalarIT2_EEPKiS8_PKS5_SA_S6_PS5_21rocsparse_index_base_b.has_indirect_call, 0
	.section	.AMDGPU.csdata,"",@progbits
; Kernel info:
; codeLenInByte = 3480
; TotalNumSgprs: 22
; NumVgprs: 82
; ScratchSize: 0
; MemoryBound: 0
; FloatMode: 240
; IeeeMode: 1
; LDSByteSize: 0 bytes/workgroup (compile time only)
; SGPRBlocks: 2
; VGPRBlocks: 20
; NumSGPRsForWavesPerEU: 22
; NumVGPRsForWavesPerEU: 82
; Occupancy: 3
; WaveLimiterHint : 1
; COMPUTE_PGM_RSRC2:SCRATCH_EN: 0
; COMPUTE_PGM_RSRC2:USER_SGPR: 6
; COMPUTE_PGM_RSRC2:TRAP_HANDLER: 0
; COMPUTE_PGM_RSRC2:TGID_X_EN: 1
; COMPUTE_PGM_RSRC2:TGID_Y_EN: 0
; COMPUTE_PGM_RSRC2:TGID_Z_EN: 0
; COMPUTE_PGM_RSRC2:TIDIG_COMP_CNT: 0
	.section	.text._ZN9rocsparseL23gebsrmvn_general_kernelILj64ELj16E21rocsparse_complex_numIdEEEvi20rocsparse_direction_NS_24const_host_device_scalarIT1_EEPKiS8_PKS5_iiSA_S6_PS5_21rocsparse_index_base_b,"axG",@progbits,_ZN9rocsparseL23gebsrmvn_general_kernelILj64ELj16E21rocsparse_complex_numIdEEEvi20rocsparse_direction_NS_24const_host_device_scalarIT1_EEPKiS8_PKS5_iiSA_S6_PS5_21rocsparse_index_base_b,comdat
	.globl	_ZN9rocsparseL23gebsrmvn_general_kernelILj64ELj16E21rocsparse_complex_numIdEEEvi20rocsparse_direction_NS_24const_host_device_scalarIT1_EEPKiS8_PKS5_iiSA_S6_PS5_21rocsparse_index_base_b ; -- Begin function _ZN9rocsparseL23gebsrmvn_general_kernelILj64ELj16E21rocsparse_complex_numIdEEEvi20rocsparse_direction_NS_24const_host_device_scalarIT1_EEPKiS8_PKS5_iiSA_S6_PS5_21rocsparse_index_base_b
	.p2align	8
	.type	_ZN9rocsparseL23gebsrmvn_general_kernelILj64ELj16E21rocsparse_complex_numIdEEEvi20rocsparse_direction_NS_24const_host_device_scalarIT1_EEPKiS8_PKS5_iiSA_S6_PS5_21rocsparse_index_base_b,@function
_ZN9rocsparseL23gebsrmvn_general_kernelILj64ELj16E21rocsparse_complex_numIdEEEvi20rocsparse_direction_NS_24const_host_device_scalarIT1_EEPKiS8_PKS5_iiSA_S6_PS5_21rocsparse_index_base_b: ; @_ZN9rocsparseL23gebsrmvn_general_kernelILj64ELj16E21rocsparse_complex_numIdEEEvi20rocsparse_direction_NS_24const_host_device_scalarIT1_EEPKiS8_PKS5_iiSA_S6_PS5_21rocsparse_index_base_b
; %bb.0:
	s_load_dwordx2 s[0:1], s[4:5], 0x8
	s_load_dwordx2 s[2:3], s[4:5], 0x40
	;; [unrolled: 1-line block ×3, first 2 shown]
	s_add_u32 s7, s4, 8
	s_addc_u32 s8, s5, 0
	s_add_u32 s9, s4, 64
	s_addc_u32 s10, s5, 0
	s_waitcnt lgkmcnt(0)
	s_bitcmp1_b32 s13, 0
	s_cselect_b32 s1, s8, s1
	s_cselect_b32 s0, s7, s0
	v_mov_b32_e32 v1, s0
	v_mov_b32_e32 v2, s1
	flat_load_dwordx4 v[1:4], v[1:2]
	s_cselect_b32 s0, s10, s3
	s_cselect_b32 s1, s9, s2
	v_mov_b32_e32 v5, s1
	v_mov_b32_e32 v6, s0
	flat_load_dwordx4 v[5:8], v[5:6]
	s_waitcnt vmcnt(0) lgkmcnt(0)
	v_cmp_eq_f64_e32 vcc, 0, v[1:2]
	v_cmp_eq_f64_e64 s[0:1], 0, v[3:4]
	s_and_b64 s[8:9], vcc, s[0:1]
	s_mov_b64 s[0:1], -1
	s_and_saveexec_b64 s[2:3], s[8:9]
	s_cbranch_execz .LBB146_2
; %bb.1:
	v_cmp_neq_f64_e32 vcc, 1.0, v[5:6]
	v_cmp_neq_f64_e64 s[0:1], 0, v[7:8]
	s_or_b64 s[0:1], vcc, s[0:1]
	s_orn2_b64 s[0:1], s[0:1], exec
.LBB146_2:
	s_or_b64 exec, exec, s[2:3]
	s_and_saveexec_b64 s[2:3], s[0:1]
	s_cbranch_execz .LBB146_22
; %bb.3:
	s_load_dwordx2 s[14:15], s[4:5], 0x30
	v_lshrrev_b32_e32 v13, 4, v0
	s_waitcnt lgkmcnt(0)
	v_cmp_gt_i32_e32 vcc, s14, v13
	s_and_b64 exec, exec, vcc
	s_cbranch_execz .LBB146_22
; %bb.4:
	s_load_dwordx4 s[8:11], s[4:5], 0x18
	s_load_dword s20, s[4:5], 0x4
	s_ashr_i32 s7, s6, 31
	s_lshl_b64 s[0:1], s[6:7], 2
	v_cmp_eq_f64_e32 vcc, 0, v[5:6]
	s_waitcnt lgkmcnt(0)
	s_add_u32 s0, s8, s0
	s_addc_u32 s1, s9, s1
	s_load_dwordx2 s[2:3], s[0:1], 0x0
	s_load_dwordx2 s[8:9], s[4:5], 0x50
	s_load_dwordx2 s[16:17], s[4:5], 0x28
	s_load_dwordx2 s[18:19], s[4:5], 0x38
	v_cmp_eq_f64_e64 s[4:5], 0, v[7:8]
	s_waitcnt lgkmcnt(0)
	s_sub_i32 s13, s2, s12
	s_sub_i32 s33, s3, s12
	s_cmp_lt_i32 s2, s3
	s_cselect_b64 s[26:27], -1, 0
	s_cmp_lg_u32 s20, 0
	s_cselect_b64 s[20:21], -1, 0
	v_and_b32_e32 v0, 15, v0
	s_and_b64 s[24:25], vcc, s[4:5]
	s_mul_i32 s4, s14, s13
	v_add_u32_e32 v9, s4, v13
	v_mul_lo_u32 v18, s15, v9
	v_cndmask_b32_e64 v9, 0, 1, s[26:27]
	v_cmp_gt_i32_e64 s[0:1], s15, v0
	v_cmp_eq_u32_e64 s[2:3], 15, v0
	s_mov_b64 s[22:23], 0
	s_mul_i32 s34, s14, s6
	s_lshl_b32 s35, s15, 2
	s_mul_i32 s36, s15, s14
	v_cmp_ne_u32_e64 s[4:5], 1, v9
	s_branch .LBB146_6
.LBB146_5:                              ;   in Loop: Header=BB146_6 Depth=1
	s_or_b64 exec, exec, s[6:7]
	v_add_u32_e32 v13, 4, v13
	v_cmp_le_i32_e32 vcc, s14, v13
	s_or_b64 s[22:23], vcc, s[22:23]
	v_add_u32_e32 v18, s35, v18
	s_andn2_b64 exec, exec, s[22:23]
	s_cbranch_execz .LBB146_22
.LBB146_6:                              ; =>This Loop Header: Depth=1
                                        ;     Child Loop BB146_10 Depth 2
                                        ;       Child Loop BB146_13 Depth 3
	v_mov_b32_e32 v9, 0
	v_mov_b32_e32 v11, 0
	;; [unrolled: 1-line block ×3, first 2 shown]
	s_and_b64 vcc, exec, s[4:5]
	v_mov_b32_e32 v12, 0
	s_cbranch_vccnz .LBB146_17
; %bb.7:                                ;   in Loop: Header=BB146_6 Depth=1
	v_mov_b32_e32 v9, 0
	v_mov_b32_e32 v11, 0
	;; [unrolled: 1-line block ×5, first 2 shown]
	s_mov_b32 s6, s13
	s_branch .LBB146_10
.LBB146_8:                              ;   in Loop: Header=BB146_10 Depth=2
	s_or_b64 exec, exec, s[28:29]
.LBB146_9:                              ;   in Loop: Header=BB146_10 Depth=2
	s_or_b64 exec, exec, s[26:27]
	s_add_i32 s6, s6, 1
	s_cmp_ge_i32 s6, s33
	v_add_u32_e32 v16, s36, v16
	s_cbranch_scc1 .LBB146_17
.LBB146_10:                             ;   Parent Loop BB146_6 Depth=1
                                        ; =>  This Loop Header: Depth=2
                                        ;       Child Loop BB146_13 Depth 3
	s_and_saveexec_b64 s[26:27], s[0:1]
	s_cbranch_execz .LBB146_9
; %bb.11:                               ;   in Loop: Header=BB146_10 Depth=2
	s_ashr_i32 s7, s6, 31
	s_lshl_b64 s[28:29], s[6:7], 2
	s_add_u32 s28, s10, s28
	s_addc_u32 s29, s11, s29
	s_load_dword s30, s[28:29], 0x0
	s_mul_i32 s7, s6, s15
	s_mov_b64 s[28:29], 0
	v_mov_b32_e32 v17, v0
	s_waitcnt lgkmcnt(0)
	s_sub_i32 s37, s30, s12
	s_mul_i32 s37, s37, s15
	s_branch .LBB146_13
.LBB146_12:                             ;   in Loop: Header=BB146_13 Depth=3
	v_ashrrev_i32_e32 v15, 31, v14
	v_lshlrev_b64 v[14:15], 4, v[14:15]
	v_mov_b32_e32 v19, s17
	v_add_co_u32_e32 v14, vcc, s16, v14
	v_addc_co_u32_e32 v15, vcc, v19, v15, vcc
	global_load_dwordx4 v[19:22], v[14:15], off
	v_add_u32_e32 v14, s37, v17
	v_ashrrev_i32_e32 v15, 31, v14
	v_lshlrev_b64 v[14:15], 4, v[14:15]
	v_mov_b32_e32 v23, s19
	v_add_co_u32_e32 v14, vcc, s18, v14
	v_addc_co_u32_e32 v15, vcc, v23, v15, vcc
	global_load_dwordx4 v[23:26], v[14:15], off
	v_add_u32_e32 v17, 16, v17
	v_cmp_le_i32_e32 vcc, s15, v17
	s_or_b64 s[28:29], vcc, s[28:29]
	s_waitcnt vmcnt(0)
	v_fma_f64 v[11:12], v[19:20], v[23:24], v[11:12]
	v_fma_f64 v[9:10], v[21:22], v[23:24], v[9:10]
	v_fma_f64 v[11:12], -v[21:22], v[25:26], v[11:12]
	v_fma_f64 v[9:10], v[19:20], v[25:26], v[9:10]
	s_andn2_b64 exec, exec, s[28:29]
	s_cbranch_execz .LBB146_8
.LBB146_13:                             ;   Parent Loop BB146_6 Depth=1
                                        ;     Parent Loop BB146_10 Depth=2
                                        ; =>    This Inner Loop Header: Depth=3
	s_and_b64 vcc, exec, s[20:21]
	s_cbranch_vccz .LBB146_15
; %bb.14:                               ;   in Loop: Header=BB146_13 Depth=3
	v_add_u32_e32 v14, s7, v17
	v_mad_u64_u32 v[14:15], s[30:31], v14, s14, v[13:14]
	s_cbranch_execnz .LBB146_12
	s_branch .LBB146_16
.LBB146_15:                             ;   in Loop: Header=BB146_13 Depth=3
                                        ; implicit-def: $vgpr14
.LBB146_16:                             ;   in Loop: Header=BB146_13 Depth=3
	v_add_u32_e32 v14, v16, v17
	s_branch .LBB146_12
.LBB146_17:                             ;   in Loop: Header=BB146_6 Depth=1
	s_nop 0
	v_mov_b32_dpp v14, v11 row_shr:1 row_mask:0xf bank_mask:0xf
	v_mov_b32_dpp v15, v12 row_shr:1 row_mask:0xf bank_mask:0xf
	v_add_f64 v[11:12], v[11:12], v[14:15]
	v_mov_b32_dpp v14, v9 row_shr:1 row_mask:0xf bank_mask:0xf
	v_mov_b32_dpp v15, v10 row_shr:1 row_mask:0xf bank_mask:0xf
	v_add_f64 v[9:10], v[9:10], v[14:15]
	;; [unrolled: 3-line block ×6, first 2 shown]
	v_mov_b32_dpp v14, v9 row_shr:8 row_mask:0xf bank_mask:0xc
	v_mov_b32_dpp v15, v10 row_shr:8 row_mask:0xf bank_mask:0xc
	v_mov_b32_dpp v16, v11 row_shr:8 row_mask:0xf bank_mask:0xc
	v_mov_b32_dpp v17, v12 row_shr:8 row_mask:0xf bank_mask:0xc
	s_and_saveexec_b64 s[6:7], s[2:3]
	s_cbranch_execz .LBB146_5
; %bb.18:                               ;   in Loop: Header=BB146_6 Depth=1
	v_add_f64 v[11:12], v[11:12], v[16:17]
	v_add_f64 v[14:15], v[9:10], v[14:15]
	v_mul_f64 v[9:10], v[11:12], -v[3:4]
	v_mul_f64 v[11:12], v[1:2], v[11:12]
	v_fma_f64 v[9:10], v[1:2], v[14:15], v[9:10]
	v_fma_f64 v[11:12], v[3:4], v[14:15], v[11:12]
	v_add_u32_e32 v14, s34, v13
	v_ashrrev_i32_e32 v15, 31, v14
	s_and_saveexec_b64 s[26:27], s[24:25]
	s_xor_b64 s[26:27], exec, s[26:27]
	s_cbranch_execz .LBB146_20
; %bb.19:                               ;   in Loop: Header=BB146_6 Depth=1
	v_lshlrev_b64 v[14:15], 4, v[14:15]
	v_mov_b32_e32 v16, s9
	v_add_co_u32_e32 v14, vcc, s8, v14
	v_addc_co_u32_e32 v15, vcc, v16, v15, vcc
	global_store_dwordx4 v[14:15], v[9:12], off
                                        ; implicit-def: $vgpr14
                                        ; implicit-def: $vgpr9_vgpr10
.LBB146_20:                             ;   in Loop: Header=BB146_6 Depth=1
	s_andn2_saveexec_b64 s[26:27], s[26:27]
	s_cbranch_execz .LBB146_5
; %bb.21:                               ;   in Loop: Header=BB146_6 Depth=1
	v_lshlrev_b64 v[14:15], 4, v[14:15]
	v_mov_b32_e32 v16, s9
	v_add_co_u32_e32 v19, vcc, s8, v14
	v_addc_co_u32_e32 v20, vcc, v16, v15, vcc
	global_load_dwordx4 v[14:17], v[19:20], off
	s_waitcnt vmcnt(0)
	v_fma_f64 v[9:10], v[5:6], v[14:15], v[9:10]
	v_fma_f64 v[11:12], v[7:8], v[14:15], v[11:12]
	v_fma_f64 v[9:10], -v[7:8], v[16:17], v[9:10]
	v_fma_f64 v[11:12], v[5:6], v[16:17], v[11:12]
	global_store_dwordx4 v[19:20], v[9:12], off
	s_branch .LBB146_5
.LBB146_22:
	s_endpgm
	.section	.rodata,"a",@progbits
	.p2align	6, 0x0
	.amdhsa_kernel _ZN9rocsparseL23gebsrmvn_general_kernelILj64ELj16E21rocsparse_complex_numIdEEEvi20rocsparse_direction_NS_24const_host_device_scalarIT1_EEPKiS8_PKS5_iiSA_S6_PS5_21rocsparse_index_base_b
		.amdhsa_group_segment_fixed_size 0
		.amdhsa_private_segment_fixed_size 0
		.amdhsa_kernarg_size 96
		.amdhsa_user_sgpr_count 6
		.amdhsa_user_sgpr_private_segment_buffer 1
		.amdhsa_user_sgpr_dispatch_ptr 0
		.amdhsa_user_sgpr_queue_ptr 0
		.amdhsa_user_sgpr_kernarg_segment_ptr 1
		.amdhsa_user_sgpr_dispatch_id 0
		.amdhsa_user_sgpr_flat_scratch_init 0
		.amdhsa_user_sgpr_private_segment_size 0
		.amdhsa_uses_dynamic_stack 0
		.amdhsa_system_sgpr_private_segment_wavefront_offset 0
		.amdhsa_system_sgpr_workgroup_id_x 1
		.amdhsa_system_sgpr_workgroup_id_y 0
		.amdhsa_system_sgpr_workgroup_id_z 0
		.amdhsa_system_sgpr_workgroup_info 0
		.amdhsa_system_vgpr_workitem_id 0
		.amdhsa_next_free_vgpr 27
		.amdhsa_next_free_sgpr 38
		.amdhsa_reserve_vcc 1
		.amdhsa_reserve_flat_scratch 0
		.amdhsa_float_round_mode_32 0
		.amdhsa_float_round_mode_16_64 0
		.amdhsa_float_denorm_mode_32 3
		.amdhsa_float_denorm_mode_16_64 3
		.amdhsa_dx10_clamp 1
		.amdhsa_ieee_mode 1
		.amdhsa_fp16_overflow 0
		.amdhsa_exception_fp_ieee_invalid_op 0
		.amdhsa_exception_fp_denorm_src 0
		.amdhsa_exception_fp_ieee_div_zero 0
		.amdhsa_exception_fp_ieee_overflow 0
		.amdhsa_exception_fp_ieee_underflow 0
		.amdhsa_exception_fp_ieee_inexact 0
		.amdhsa_exception_int_div_zero 0
	.end_amdhsa_kernel
	.section	.text._ZN9rocsparseL23gebsrmvn_general_kernelILj64ELj16E21rocsparse_complex_numIdEEEvi20rocsparse_direction_NS_24const_host_device_scalarIT1_EEPKiS8_PKS5_iiSA_S6_PS5_21rocsparse_index_base_b,"axG",@progbits,_ZN9rocsparseL23gebsrmvn_general_kernelILj64ELj16E21rocsparse_complex_numIdEEEvi20rocsparse_direction_NS_24const_host_device_scalarIT1_EEPKiS8_PKS5_iiSA_S6_PS5_21rocsparse_index_base_b,comdat
.Lfunc_end146:
	.size	_ZN9rocsparseL23gebsrmvn_general_kernelILj64ELj16E21rocsparse_complex_numIdEEEvi20rocsparse_direction_NS_24const_host_device_scalarIT1_EEPKiS8_PKS5_iiSA_S6_PS5_21rocsparse_index_base_b, .Lfunc_end146-_ZN9rocsparseL23gebsrmvn_general_kernelILj64ELj16E21rocsparse_complex_numIdEEEvi20rocsparse_direction_NS_24const_host_device_scalarIT1_EEPKiS8_PKS5_iiSA_S6_PS5_21rocsparse_index_base_b
                                        ; -- End function
	.set _ZN9rocsparseL23gebsrmvn_general_kernelILj64ELj16E21rocsparse_complex_numIdEEEvi20rocsparse_direction_NS_24const_host_device_scalarIT1_EEPKiS8_PKS5_iiSA_S6_PS5_21rocsparse_index_base_b.num_vgpr, 27
	.set _ZN9rocsparseL23gebsrmvn_general_kernelILj64ELj16E21rocsparse_complex_numIdEEEvi20rocsparse_direction_NS_24const_host_device_scalarIT1_EEPKiS8_PKS5_iiSA_S6_PS5_21rocsparse_index_base_b.num_agpr, 0
	.set _ZN9rocsparseL23gebsrmvn_general_kernelILj64ELj16E21rocsparse_complex_numIdEEEvi20rocsparse_direction_NS_24const_host_device_scalarIT1_EEPKiS8_PKS5_iiSA_S6_PS5_21rocsparse_index_base_b.numbered_sgpr, 38
	.set _ZN9rocsparseL23gebsrmvn_general_kernelILj64ELj16E21rocsparse_complex_numIdEEEvi20rocsparse_direction_NS_24const_host_device_scalarIT1_EEPKiS8_PKS5_iiSA_S6_PS5_21rocsparse_index_base_b.num_named_barrier, 0
	.set _ZN9rocsparseL23gebsrmvn_general_kernelILj64ELj16E21rocsparse_complex_numIdEEEvi20rocsparse_direction_NS_24const_host_device_scalarIT1_EEPKiS8_PKS5_iiSA_S6_PS5_21rocsparse_index_base_b.private_seg_size, 0
	.set _ZN9rocsparseL23gebsrmvn_general_kernelILj64ELj16E21rocsparse_complex_numIdEEEvi20rocsparse_direction_NS_24const_host_device_scalarIT1_EEPKiS8_PKS5_iiSA_S6_PS5_21rocsparse_index_base_b.uses_vcc, 1
	.set _ZN9rocsparseL23gebsrmvn_general_kernelILj64ELj16E21rocsparse_complex_numIdEEEvi20rocsparse_direction_NS_24const_host_device_scalarIT1_EEPKiS8_PKS5_iiSA_S6_PS5_21rocsparse_index_base_b.uses_flat_scratch, 0
	.set _ZN9rocsparseL23gebsrmvn_general_kernelILj64ELj16E21rocsparse_complex_numIdEEEvi20rocsparse_direction_NS_24const_host_device_scalarIT1_EEPKiS8_PKS5_iiSA_S6_PS5_21rocsparse_index_base_b.has_dyn_sized_stack, 0
	.set _ZN9rocsparseL23gebsrmvn_general_kernelILj64ELj16E21rocsparse_complex_numIdEEEvi20rocsparse_direction_NS_24const_host_device_scalarIT1_EEPKiS8_PKS5_iiSA_S6_PS5_21rocsparse_index_base_b.has_recursion, 0
	.set _ZN9rocsparseL23gebsrmvn_general_kernelILj64ELj16E21rocsparse_complex_numIdEEEvi20rocsparse_direction_NS_24const_host_device_scalarIT1_EEPKiS8_PKS5_iiSA_S6_PS5_21rocsparse_index_base_b.has_indirect_call, 0
	.section	.AMDGPU.csdata,"",@progbits
; Kernel info:
; codeLenInByte = 1068
; TotalNumSgprs: 42
; NumVgprs: 27
; ScratchSize: 0
; MemoryBound: 0
; FloatMode: 240
; IeeeMode: 1
; LDSByteSize: 0 bytes/workgroup (compile time only)
; SGPRBlocks: 5
; VGPRBlocks: 6
; NumSGPRsForWavesPerEU: 42
; NumVGPRsForWavesPerEU: 27
; Occupancy: 9
; WaveLimiterHint : 1
; COMPUTE_PGM_RSRC2:SCRATCH_EN: 0
; COMPUTE_PGM_RSRC2:USER_SGPR: 6
; COMPUTE_PGM_RSRC2:TRAP_HANDLER: 0
; COMPUTE_PGM_RSRC2:TGID_X_EN: 1
; COMPUTE_PGM_RSRC2:TGID_Y_EN: 0
; COMPUTE_PGM_RSRC2:TGID_Z_EN: 0
; COMPUTE_PGM_RSRC2:TIDIG_COMP_CNT: 0
	.section	.text._ZN9rocsparseL23gebsrmvn_general_kernelILj128ELj32E21rocsparse_complex_numIdEEEvi20rocsparse_direction_NS_24const_host_device_scalarIT1_EEPKiS8_PKS5_iiSA_S6_PS5_21rocsparse_index_base_b,"axG",@progbits,_ZN9rocsparseL23gebsrmvn_general_kernelILj128ELj32E21rocsparse_complex_numIdEEEvi20rocsparse_direction_NS_24const_host_device_scalarIT1_EEPKiS8_PKS5_iiSA_S6_PS5_21rocsparse_index_base_b,comdat
	.globl	_ZN9rocsparseL23gebsrmvn_general_kernelILj128ELj32E21rocsparse_complex_numIdEEEvi20rocsparse_direction_NS_24const_host_device_scalarIT1_EEPKiS8_PKS5_iiSA_S6_PS5_21rocsparse_index_base_b ; -- Begin function _ZN9rocsparseL23gebsrmvn_general_kernelILj128ELj32E21rocsparse_complex_numIdEEEvi20rocsparse_direction_NS_24const_host_device_scalarIT1_EEPKiS8_PKS5_iiSA_S6_PS5_21rocsparse_index_base_b
	.p2align	8
	.type	_ZN9rocsparseL23gebsrmvn_general_kernelILj128ELj32E21rocsparse_complex_numIdEEEvi20rocsparse_direction_NS_24const_host_device_scalarIT1_EEPKiS8_PKS5_iiSA_S6_PS5_21rocsparse_index_base_b,@function
_ZN9rocsparseL23gebsrmvn_general_kernelILj128ELj32E21rocsparse_complex_numIdEEEvi20rocsparse_direction_NS_24const_host_device_scalarIT1_EEPKiS8_PKS5_iiSA_S6_PS5_21rocsparse_index_base_b: ; @_ZN9rocsparseL23gebsrmvn_general_kernelILj128ELj32E21rocsparse_complex_numIdEEEvi20rocsparse_direction_NS_24const_host_device_scalarIT1_EEPKiS8_PKS5_iiSA_S6_PS5_21rocsparse_index_base_b
; %bb.0:
	s_load_dwordx2 s[0:1], s[4:5], 0x8
	s_load_dwordx2 s[2:3], s[4:5], 0x40
	;; [unrolled: 1-line block ×3, first 2 shown]
	s_add_u32 s7, s4, 8
	s_addc_u32 s8, s5, 0
	s_add_u32 s9, s4, 64
	s_addc_u32 s10, s5, 0
	s_waitcnt lgkmcnt(0)
	s_bitcmp1_b32 s13, 0
	s_cselect_b32 s1, s8, s1
	s_cselect_b32 s0, s7, s0
	v_mov_b32_e32 v1, s0
	v_mov_b32_e32 v2, s1
	flat_load_dwordx4 v[1:4], v[1:2]
	s_cselect_b32 s0, s10, s3
	s_cselect_b32 s1, s9, s2
	v_mov_b32_e32 v5, s1
	v_mov_b32_e32 v6, s0
	flat_load_dwordx4 v[5:8], v[5:6]
	s_waitcnt vmcnt(0) lgkmcnt(0)
	v_cmp_eq_f64_e32 vcc, 0, v[1:2]
	v_cmp_eq_f64_e64 s[0:1], 0, v[3:4]
	s_and_b64 s[8:9], vcc, s[0:1]
	s_mov_b64 s[0:1], -1
	s_and_saveexec_b64 s[2:3], s[8:9]
	s_cbranch_execz .LBB147_2
; %bb.1:
	v_cmp_neq_f64_e32 vcc, 1.0, v[5:6]
	v_cmp_neq_f64_e64 s[0:1], 0, v[7:8]
	s_or_b64 s[0:1], vcc, s[0:1]
	s_orn2_b64 s[0:1], s[0:1], exec
.LBB147_2:
	s_or_b64 exec, exec, s[2:3]
	s_and_saveexec_b64 s[2:3], s[0:1]
	s_cbranch_execz .LBB147_22
; %bb.3:
	s_load_dwordx2 s[14:15], s[4:5], 0x30
	v_lshrrev_b32_e32 v13, 5, v0
	s_waitcnt lgkmcnt(0)
	v_cmp_gt_i32_e32 vcc, s14, v13
	s_and_b64 exec, exec, vcc
	s_cbranch_execz .LBB147_22
; %bb.4:
	s_load_dwordx4 s[8:11], s[4:5], 0x18
	s_load_dword s20, s[4:5], 0x4
	s_ashr_i32 s7, s6, 31
	s_lshl_b64 s[0:1], s[6:7], 2
	v_cmp_eq_f64_e32 vcc, 0, v[5:6]
	s_waitcnt lgkmcnt(0)
	s_add_u32 s0, s8, s0
	s_addc_u32 s1, s9, s1
	s_load_dwordx2 s[2:3], s[0:1], 0x0
	s_load_dwordx2 s[8:9], s[4:5], 0x50
	;; [unrolled: 1-line block ×4, first 2 shown]
	v_cmp_eq_f64_e64 s[4:5], 0, v[7:8]
	s_waitcnt lgkmcnt(0)
	s_sub_i32 s13, s2, s12
	s_sub_i32 s33, s3, s12
	s_cmp_lt_i32 s2, s3
	s_cselect_b64 s[26:27], -1, 0
	s_cmp_lg_u32 s20, 0
	s_cselect_b64 s[20:21], -1, 0
	v_and_b32_e32 v0, 31, v0
	s_and_b64 s[24:25], vcc, s[4:5]
	s_mul_i32 s4, s14, s13
	v_add_u32_e32 v9, s4, v13
	v_mul_lo_u32 v18, s15, v9
	v_cndmask_b32_e64 v9, 0, 1, s[26:27]
	v_cmp_gt_i32_e64 s[0:1], s15, v0
	v_cmp_eq_u32_e64 s[2:3], 31, v0
	s_mov_b64 s[22:23], 0
	s_mul_i32 s34, s14, s6
	s_lshl_b32 s35, s15, 2
	s_mul_i32 s36, s15, s14
	v_cmp_ne_u32_e64 s[4:5], 1, v9
	s_branch .LBB147_6
.LBB147_5:                              ;   in Loop: Header=BB147_6 Depth=1
	s_or_b64 exec, exec, s[6:7]
	v_add_u32_e32 v13, 4, v13
	v_cmp_le_i32_e32 vcc, s14, v13
	s_or_b64 s[22:23], vcc, s[22:23]
	v_add_u32_e32 v18, s35, v18
	s_andn2_b64 exec, exec, s[22:23]
	s_cbranch_execz .LBB147_22
.LBB147_6:                              ; =>This Loop Header: Depth=1
                                        ;     Child Loop BB147_10 Depth 2
                                        ;       Child Loop BB147_13 Depth 3
	v_mov_b32_e32 v9, 0
	v_mov_b32_e32 v11, 0
	;; [unrolled: 1-line block ×3, first 2 shown]
	s_and_b64 vcc, exec, s[4:5]
	v_mov_b32_e32 v12, 0
	s_cbranch_vccnz .LBB147_17
; %bb.7:                                ;   in Loop: Header=BB147_6 Depth=1
	v_mov_b32_e32 v9, 0
	v_mov_b32_e32 v11, 0
	;; [unrolled: 1-line block ×5, first 2 shown]
	s_mov_b32 s6, s13
	s_branch .LBB147_10
.LBB147_8:                              ;   in Loop: Header=BB147_10 Depth=2
	s_or_b64 exec, exec, s[28:29]
.LBB147_9:                              ;   in Loop: Header=BB147_10 Depth=2
	s_or_b64 exec, exec, s[26:27]
	s_add_i32 s6, s6, 1
	s_cmp_ge_i32 s6, s33
	v_add_u32_e32 v16, s36, v16
	s_cbranch_scc1 .LBB147_17
.LBB147_10:                             ;   Parent Loop BB147_6 Depth=1
                                        ; =>  This Loop Header: Depth=2
                                        ;       Child Loop BB147_13 Depth 3
	s_and_saveexec_b64 s[26:27], s[0:1]
	s_cbranch_execz .LBB147_9
; %bb.11:                               ;   in Loop: Header=BB147_10 Depth=2
	s_ashr_i32 s7, s6, 31
	s_lshl_b64 s[28:29], s[6:7], 2
	s_add_u32 s28, s10, s28
	s_addc_u32 s29, s11, s29
	s_load_dword s30, s[28:29], 0x0
	s_mul_i32 s7, s6, s15
	s_mov_b64 s[28:29], 0
	v_mov_b32_e32 v17, v0
	s_waitcnt lgkmcnt(0)
	s_sub_i32 s37, s30, s12
	s_mul_i32 s37, s37, s15
	s_branch .LBB147_13
.LBB147_12:                             ;   in Loop: Header=BB147_13 Depth=3
	v_ashrrev_i32_e32 v15, 31, v14
	v_lshlrev_b64 v[14:15], 4, v[14:15]
	v_mov_b32_e32 v19, s17
	v_add_co_u32_e32 v14, vcc, s16, v14
	v_addc_co_u32_e32 v15, vcc, v19, v15, vcc
	global_load_dwordx4 v[19:22], v[14:15], off
	v_add_u32_e32 v14, s37, v17
	v_ashrrev_i32_e32 v15, 31, v14
	v_lshlrev_b64 v[14:15], 4, v[14:15]
	v_mov_b32_e32 v23, s19
	v_add_co_u32_e32 v14, vcc, s18, v14
	v_addc_co_u32_e32 v15, vcc, v23, v15, vcc
	global_load_dwordx4 v[23:26], v[14:15], off
	v_add_u32_e32 v17, 32, v17
	v_cmp_le_i32_e32 vcc, s15, v17
	s_or_b64 s[28:29], vcc, s[28:29]
	s_waitcnt vmcnt(0)
	v_fma_f64 v[11:12], v[19:20], v[23:24], v[11:12]
	v_fma_f64 v[9:10], v[21:22], v[23:24], v[9:10]
	v_fma_f64 v[11:12], -v[21:22], v[25:26], v[11:12]
	v_fma_f64 v[9:10], v[19:20], v[25:26], v[9:10]
	s_andn2_b64 exec, exec, s[28:29]
	s_cbranch_execz .LBB147_8
.LBB147_13:                             ;   Parent Loop BB147_6 Depth=1
                                        ;     Parent Loop BB147_10 Depth=2
                                        ; =>    This Inner Loop Header: Depth=3
	s_and_b64 vcc, exec, s[20:21]
	s_cbranch_vccz .LBB147_15
; %bb.14:                               ;   in Loop: Header=BB147_13 Depth=3
	v_add_u32_e32 v14, s7, v17
	v_mad_u64_u32 v[14:15], s[30:31], v14, s14, v[13:14]
	s_cbranch_execnz .LBB147_12
	s_branch .LBB147_16
.LBB147_15:                             ;   in Loop: Header=BB147_13 Depth=3
                                        ; implicit-def: $vgpr14
.LBB147_16:                             ;   in Loop: Header=BB147_13 Depth=3
	v_add_u32_e32 v14, v16, v17
	s_branch .LBB147_12
.LBB147_17:                             ;   in Loop: Header=BB147_6 Depth=1
	s_nop 0
	v_mov_b32_dpp v14, v11 row_shr:1 row_mask:0xf bank_mask:0xf
	v_mov_b32_dpp v15, v12 row_shr:1 row_mask:0xf bank_mask:0xf
	v_add_f64 v[11:12], v[11:12], v[14:15]
	v_mov_b32_dpp v14, v9 row_shr:1 row_mask:0xf bank_mask:0xf
	v_mov_b32_dpp v15, v10 row_shr:1 row_mask:0xf bank_mask:0xf
	v_add_f64 v[9:10], v[9:10], v[14:15]
	;; [unrolled: 3-line block ×8, first 2 shown]
	v_mov_b32_dpp v14, v9 row_bcast:15 row_mask:0xa bank_mask:0xf
	v_mov_b32_dpp v15, v10 row_bcast:15 row_mask:0xa bank_mask:0xf
	;; [unrolled: 1-line block ×4, first 2 shown]
	s_and_saveexec_b64 s[6:7], s[2:3]
	s_cbranch_execz .LBB147_5
; %bb.18:                               ;   in Loop: Header=BB147_6 Depth=1
	v_add_f64 v[11:12], v[11:12], v[16:17]
	v_add_f64 v[14:15], v[9:10], v[14:15]
	v_mul_f64 v[9:10], v[11:12], -v[3:4]
	v_mul_f64 v[11:12], v[1:2], v[11:12]
	v_fma_f64 v[9:10], v[1:2], v[14:15], v[9:10]
	v_fma_f64 v[11:12], v[3:4], v[14:15], v[11:12]
	v_add_u32_e32 v14, s34, v13
	v_ashrrev_i32_e32 v15, 31, v14
	s_and_saveexec_b64 s[26:27], s[24:25]
	s_xor_b64 s[26:27], exec, s[26:27]
	s_cbranch_execz .LBB147_20
; %bb.19:                               ;   in Loop: Header=BB147_6 Depth=1
	v_lshlrev_b64 v[14:15], 4, v[14:15]
	v_mov_b32_e32 v16, s9
	v_add_co_u32_e32 v14, vcc, s8, v14
	v_addc_co_u32_e32 v15, vcc, v16, v15, vcc
	global_store_dwordx4 v[14:15], v[9:12], off
                                        ; implicit-def: $vgpr14
                                        ; implicit-def: $vgpr9_vgpr10
.LBB147_20:                             ;   in Loop: Header=BB147_6 Depth=1
	s_andn2_saveexec_b64 s[26:27], s[26:27]
	s_cbranch_execz .LBB147_5
; %bb.21:                               ;   in Loop: Header=BB147_6 Depth=1
	v_lshlrev_b64 v[14:15], 4, v[14:15]
	v_mov_b32_e32 v16, s9
	v_add_co_u32_e32 v19, vcc, s8, v14
	v_addc_co_u32_e32 v20, vcc, v16, v15, vcc
	global_load_dwordx4 v[14:17], v[19:20], off
	s_waitcnt vmcnt(0)
	v_fma_f64 v[9:10], v[5:6], v[14:15], v[9:10]
	v_fma_f64 v[11:12], v[7:8], v[14:15], v[11:12]
	v_fma_f64 v[9:10], -v[7:8], v[16:17], v[9:10]
	v_fma_f64 v[11:12], v[5:6], v[16:17], v[11:12]
	global_store_dwordx4 v[19:20], v[9:12], off
	s_branch .LBB147_5
.LBB147_22:
	s_endpgm
	.section	.rodata,"a",@progbits
	.p2align	6, 0x0
	.amdhsa_kernel _ZN9rocsparseL23gebsrmvn_general_kernelILj128ELj32E21rocsparse_complex_numIdEEEvi20rocsparse_direction_NS_24const_host_device_scalarIT1_EEPKiS8_PKS5_iiSA_S6_PS5_21rocsparse_index_base_b
		.amdhsa_group_segment_fixed_size 0
		.amdhsa_private_segment_fixed_size 0
		.amdhsa_kernarg_size 96
		.amdhsa_user_sgpr_count 6
		.amdhsa_user_sgpr_private_segment_buffer 1
		.amdhsa_user_sgpr_dispatch_ptr 0
		.amdhsa_user_sgpr_queue_ptr 0
		.amdhsa_user_sgpr_kernarg_segment_ptr 1
		.amdhsa_user_sgpr_dispatch_id 0
		.amdhsa_user_sgpr_flat_scratch_init 0
		.amdhsa_user_sgpr_private_segment_size 0
		.amdhsa_uses_dynamic_stack 0
		.amdhsa_system_sgpr_private_segment_wavefront_offset 0
		.amdhsa_system_sgpr_workgroup_id_x 1
		.amdhsa_system_sgpr_workgroup_id_y 0
		.amdhsa_system_sgpr_workgroup_id_z 0
		.amdhsa_system_sgpr_workgroup_info 0
		.amdhsa_system_vgpr_workitem_id 0
		.amdhsa_next_free_vgpr 27
		.amdhsa_next_free_sgpr 38
		.amdhsa_reserve_vcc 1
		.amdhsa_reserve_flat_scratch 0
		.amdhsa_float_round_mode_32 0
		.amdhsa_float_round_mode_16_64 0
		.amdhsa_float_denorm_mode_32 3
		.amdhsa_float_denorm_mode_16_64 3
		.amdhsa_dx10_clamp 1
		.amdhsa_ieee_mode 1
		.amdhsa_fp16_overflow 0
		.amdhsa_exception_fp_ieee_invalid_op 0
		.amdhsa_exception_fp_denorm_src 0
		.amdhsa_exception_fp_ieee_div_zero 0
		.amdhsa_exception_fp_ieee_overflow 0
		.amdhsa_exception_fp_ieee_underflow 0
		.amdhsa_exception_fp_ieee_inexact 0
		.amdhsa_exception_int_div_zero 0
	.end_amdhsa_kernel
	.section	.text._ZN9rocsparseL23gebsrmvn_general_kernelILj128ELj32E21rocsparse_complex_numIdEEEvi20rocsparse_direction_NS_24const_host_device_scalarIT1_EEPKiS8_PKS5_iiSA_S6_PS5_21rocsparse_index_base_b,"axG",@progbits,_ZN9rocsparseL23gebsrmvn_general_kernelILj128ELj32E21rocsparse_complex_numIdEEEvi20rocsparse_direction_NS_24const_host_device_scalarIT1_EEPKiS8_PKS5_iiSA_S6_PS5_21rocsparse_index_base_b,comdat
.Lfunc_end147:
	.size	_ZN9rocsparseL23gebsrmvn_general_kernelILj128ELj32E21rocsparse_complex_numIdEEEvi20rocsparse_direction_NS_24const_host_device_scalarIT1_EEPKiS8_PKS5_iiSA_S6_PS5_21rocsparse_index_base_b, .Lfunc_end147-_ZN9rocsparseL23gebsrmvn_general_kernelILj128ELj32E21rocsparse_complex_numIdEEEvi20rocsparse_direction_NS_24const_host_device_scalarIT1_EEPKiS8_PKS5_iiSA_S6_PS5_21rocsparse_index_base_b
                                        ; -- End function
	.set _ZN9rocsparseL23gebsrmvn_general_kernelILj128ELj32E21rocsparse_complex_numIdEEEvi20rocsparse_direction_NS_24const_host_device_scalarIT1_EEPKiS8_PKS5_iiSA_S6_PS5_21rocsparse_index_base_b.num_vgpr, 27
	.set _ZN9rocsparseL23gebsrmvn_general_kernelILj128ELj32E21rocsparse_complex_numIdEEEvi20rocsparse_direction_NS_24const_host_device_scalarIT1_EEPKiS8_PKS5_iiSA_S6_PS5_21rocsparse_index_base_b.num_agpr, 0
	.set _ZN9rocsparseL23gebsrmvn_general_kernelILj128ELj32E21rocsparse_complex_numIdEEEvi20rocsparse_direction_NS_24const_host_device_scalarIT1_EEPKiS8_PKS5_iiSA_S6_PS5_21rocsparse_index_base_b.numbered_sgpr, 38
	.set _ZN9rocsparseL23gebsrmvn_general_kernelILj128ELj32E21rocsparse_complex_numIdEEEvi20rocsparse_direction_NS_24const_host_device_scalarIT1_EEPKiS8_PKS5_iiSA_S6_PS5_21rocsparse_index_base_b.num_named_barrier, 0
	.set _ZN9rocsparseL23gebsrmvn_general_kernelILj128ELj32E21rocsparse_complex_numIdEEEvi20rocsparse_direction_NS_24const_host_device_scalarIT1_EEPKiS8_PKS5_iiSA_S6_PS5_21rocsparse_index_base_b.private_seg_size, 0
	.set _ZN9rocsparseL23gebsrmvn_general_kernelILj128ELj32E21rocsparse_complex_numIdEEEvi20rocsparse_direction_NS_24const_host_device_scalarIT1_EEPKiS8_PKS5_iiSA_S6_PS5_21rocsparse_index_base_b.uses_vcc, 1
	.set _ZN9rocsparseL23gebsrmvn_general_kernelILj128ELj32E21rocsparse_complex_numIdEEEvi20rocsparse_direction_NS_24const_host_device_scalarIT1_EEPKiS8_PKS5_iiSA_S6_PS5_21rocsparse_index_base_b.uses_flat_scratch, 0
	.set _ZN9rocsparseL23gebsrmvn_general_kernelILj128ELj32E21rocsparse_complex_numIdEEEvi20rocsparse_direction_NS_24const_host_device_scalarIT1_EEPKiS8_PKS5_iiSA_S6_PS5_21rocsparse_index_base_b.has_dyn_sized_stack, 0
	.set _ZN9rocsparseL23gebsrmvn_general_kernelILj128ELj32E21rocsparse_complex_numIdEEEvi20rocsparse_direction_NS_24const_host_device_scalarIT1_EEPKiS8_PKS5_iiSA_S6_PS5_21rocsparse_index_base_b.has_recursion, 0
	.set _ZN9rocsparseL23gebsrmvn_general_kernelILj128ELj32E21rocsparse_complex_numIdEEEvi20rocsparse_direction_NS_24const_host_device_scalarIT1_EEPKiS8_PKS5_iiSA_S6_PS5_21rocsparse_index_base_b.has_indirect_call, 0
	.section	.AMDGPU.csdata,"",@progbits
; Kernel info:
; codeLenInByte = 1116
; TotalNumSgprs: 42
; NumVgprs: 27
; ScratchSize: 0
; MemoryBound: 0
; FloatMode: 240
; IeeeMode: 1
; LDSByteSize: 0 bytes/workgroup (compile time only)
; SGPRBlocks: 5
; VGPRBlocks: 6
; NumSGPRsForWavesPerEU: 42
; NumVGPRsForWavesPerEU: 27
; Occupancy: 9
; WaveLimiterHint : 1
; COMPUTE_PGM_RSRC2:SCRATCH_EN: 0
; COMPUTE_PGM_RSRC2:USER_SGPR: 6
; COMPUTE_PGM_RSRC2:TRAP_HANDLER: 0
; COMPUTE_PGM_RSRC2:TGID_X_EN: 1
; COMPUTE_PGM_RSRC2:TGID_Y_EN: 0
; COMPUTE_PGM_RSRC2:TGID_Z_EN: 0
; COMPUTE_PGM_RSRC2:TIDIG_COMP_CNT: 0
	.section	.AMDGPU.gpr_maximums,"",@progbits
	.set amdgpu.max_num_vgpr, 0
	.set amdgpu.max_num_agpr, 0
	.set amdgpu.max_num_sgpr, 0
	.section	.AMDGPU.csdata,"",@progbits
	.type	__hip_cuid_d74aac4be0de6d1a,@object ; @__hip_cuid_d74aac4be0de6d1a
	.section	.bss,"aw",@nobits
	.globl	__hip_cuid_d74aac4be0de6d1a
__hip_cuid_d74aac4be0de6d1a:
	.byte	0                               ; 0x0
	.size	__hip_cuid_d74aac4be0de6d1a, 1

	.ident	"AMD clang version 22.0.0git (https://github.com/RadeonOpenCompute/llvm-project roc-7.2.4 26084 f58b06dce1f9c15707c5f808fd002e18c2accf7e)"
	.section	".note.GNU-stack","",@progbits
	.addrsig
	.addrsig_sym __hip_cuid_d74aac4be0de6d1a
	.amdgpu_metadata
---
amdhsa.kernels:
  - .args:
      - .offset:         0
        .size:           4
        .value_kind:     by_value
      - .offset:         4
        .size:           4
        .value_kind:     by_value
      - .offset:         8
        .size:           8
        .value_kind:     by_value
      - .actual_access:  read_only
        .address_space:  global
        .offset:         16
        .size:           8
        .value_kind:     global_buffer
      - .actual_access:  read_only
        .address_space:  global
        .offset:         24
        .size:           8
        .value_kind:     global_buffer
      - .actual_access:  read_only
        .address_space:  global
        .offset:         32
        .size:           8
        .value_kind:     global_buffer
      - .actual_access:  read_only
        .address_space:  global
        .offset:         40
        .size:           8
        .value_kind:     global_buffer
      - .offset:         48
        .size:           8
        .value_kind:     by_value
      - .address_space:  global
        .offset:         56
        .size:           8
        .value_kind:     global_buffer
      - .offset:         64
        .size:           4
        .value_kind:     by_value
      - .offset:         68
        .size:           1
        .value_kind:     by_value
    .group_segment_fixed_size: 0
    .kernarg_segment_align: 8
    .kernarg_segment_size: 72
    .language:       OpenCL C
    .language_version:
      - 2
      - 0
    .max_flat_workgroup_size: 128
    .name:           _ZN9rocsparseL19gebsrmvn_4xn_kernelILj128ELj1ELj4EfEEvi20rocsparse_direction_NS_24const_host_device_scalarIT2_EEPKiS6_PKS3_S8_S4_PS3_21rocsparse_index_base_b
    .private_segment_fixed_size: 0
    .sgpr_count:     24
    .sgpr_spill_count: 0
    .symbol:         _ZN9rocsparseL19gebsrmvn_4xn_kernelILj128ELj1ELj4EfEEvi20rocsparse_direction_NS_24const_host_device_scalarIT2_EEPKiS6_PKS3_S8_S4_PS3_21rocsparse_index_base_b.kd
    .uniform_work_group_size: 1
    .uses_dynamic_stack: false
    .vgpr_count:     21
    .vgpr_spill_count: 0
    .wavefront_size: 64
  - .args:
      - .offset:         0
        .size:           4
        .value_kind:     by_value
      - .offset:         4
        .size:           4
        .value_kind:     by_value
      - .offset:         8
        .size:           8
        .value_kind:     by_value
      - .actual_access:  read_only
        .address_space:  global
        .offset:         16
        .size:           8
        .value_kind:     global_buffer
      - .actual_access:  read_only
        .address_space:  global
        .offset:         24
        .size:           8
        .value_kind:     global_buffer
      - .actual_access:  read_only
        .address_space:  global
        .offset:         32
        .size:           8
        .value_kind:     global_buffer
      - .actual_access:  read_only
        .address_space:  global
        .offset:         40
        .size:           8
        .value_kind:     global_buffer
      - .offset:         48
        .size:           8
        .value_kind:     by_value
      - .address_space:  global
        .offset:         56
        .size:           8
        .value_kind:     global_buffer
      - .offset:         64
        .size:           4
        .value_kind:     by_value
      - .offset:         68
        .size:           1
        .value_kind:     by_value
    .group_segment_fixed_size: 0
    .kernarg_segment_align: 8
    .kernarg_segment_size: 72
    .language:       OpenCL C
    .language_version:
      - 2
      - 0
    .max_flat_workgroup_size: 128
    .name:           _ZN9rocsparseL19gebsrmvn_4xn_kernelILj128ELj1ELj8EfEEvi20rocsparse_direction_NS_24const_host_device_scalarIT2_EEPKiS6_PKS3_S8_S4_PS3_21rocsparse_index_base_b
    .private_segment_fixed_size: 0
    .sgpr_count:     24
    .sgpr_spill_count: 0
    .symbol:         _ZN9rocsparseL19gebsrmvn_4xn_kernelILj128ELj1ELj8EfEEvi20rocsparse_direction_NS_24const_host_device_scalarIT2_EEPKiS6_PKS3_S8_S4_PS3_21rocsparse_index_base_b.kd
    .uniform_work_group_size: 1
    .uses_dynamic_stack: false
    .vgpr_count:     21
    .vgpr_spill_count: 0
    .wavefront_size: 64
  - .args:
      - .offset:         0
        .size:           4
        .value_kind:     by_value
      - .offset:         4
        .size:           4
        .value_kind:     by_value
      - .offset:         8
        .size:           8
        .value_kind:     by_value
      - .actual_access:  read_only
        .address_space:  global
        .offset:         16
        .size:           8
        .value_kind:     global_buffer
      - .actual_access:  read_only
        .address_space:  global
        .offset:         24
        .size:           8
        .value_kind:     global_buffer
      - .actual_access:  read_only
        .address_space:  global
        .offset:         32
        .size:           8
        .value_kind:     global_buffer
      - .actual_access:  read_only
        .address_space:  global
        .offset:         40
        .size:           8
        .value_kind:     global_buffer
      - .offset:         48
        .size:           8
        .value_kind:     by_value
      - .address_space:  global
        .offset:         56
        .size:           8
        .value_kind:     global_buffer
      - .offset:         64
        .size:           4
        .value_kind:     by_value
      - .offset:         68
        .size:           1
        .value_kind:     by_value
    .group_segment_fixed_size: 0
    .kernarg_segment_align: 8
    .kernarg_segment_size: 72
    .language:       OpenCL C
    .language_version:
      - 2
      - 0
    .max_flat_workgroup_size: 128
    .name:           _ZN9rocsparseL19gebsrmvn_4xn_kernelILj128ELj1ELj16EfEEvi20rocsparse_direction_NS_24const_host_device_scalarIT2_EEPKiS6_PKS3_S8_S4_PS3_21rocsparse_index_base_b
    .private_segment_fixed_size: 0
    .sgpr_count:     24
    .sgpr_spill_count: 0
    .symbol:         _ZN9rocsparseL19gebsrmvn_4xn_kernelILj128ELj1ELj16EfEEvi20rocsparse_direction_NS_24const_host_device_scalarIT2_EEPKiS6_PKS3_S8_S4_PS3_21rocsparse_index_base_b.kd
    .uniform_work_group_size: 1
    .uses_dynamic_stack: false
    .vgpr_count:     21
    .vgpr_spill_count: 0
    .wavefront_size: 64
  - .args:
      - .offset:         0
        .size:           4
        .value_kind:     by_value
      - .offset:         4
        .size:           4
        .value_kind:     by_value
      - .offset:         8
        .size:           8
        .value_kind:     by_value
      - .actual_access:  read_only
        .address_space:  global
        .offset:         16
        .size:           8
        .value_kind:     global_buffer
      - .actual_access:  read_only
        .address_space:  global
        .offset:         24
        .size:           8
        .value_kind:     global_buffer
      - .actual_access:  read_only
        .address_space:  global
        .offset:         32
        .size:           8
        .value_kind:     global_buffer
      - .actual_access:  read_only
        .address_space:  global
        .offset:         40
        .size:           8
        .value_kind:     global_buffer
      - .offset:         48
        .size:           8
        .value_kind:     by_value
      - .address_space:  global
        .offset:         56
        .size:           8
        .value_kind:     global_buffer
      - .offset:         64
        .size:           4
        .value_kind:     by_value
      - .offset:         68
        .size:           1
        .value_kind:     by_value
    .group_segment_fixed_size: 0
    .kernarg_segment_align: 8
    .kernarg_segment_size: 72
    .language:       OpenCL C
    .language_version:
      - 2
      - 0
    .max_flat_workgroup_size: 128
    .name:           _ZN9rocsparseL19gebsrmvn_4xn_kernelILj128ELj1ELj32EfEEvi20rocsparse_direction_NS_24const_host_device_scalarIT2_EEPKiS6_PKS3_S8_S4_PS3_21rocsparse_index_base_b
    .private_segment_fixed_size: 0
    .sgpr_count:     24
    .sgpr_spill_count: 0
    .symbol:         _ZN9rocsparseL19gebsrmvn_4xn_kernelILj128ELj1ELj32EfEEvi20rocsparse_direction_NS_24const_host_device_scalarIT2_EEPKiS6_PKS3_S8_S4_PS3_21rocsparse_index_base_b.kd
    .uniform_work_group_size: 1
    .uses_dynamic_stack: false
    .vgpr_count:     21
    .vgpr_spill_count: 0
    .wavefront_size: 64
  - .args:
      - .offset:         0
        .size:           4
        .value_kind:     by_value
      - .offset:         4
        .size:           4
        .value_kind:     by_value
      - .offset:         8
        .size:           8
        .value_kind:     by_value
      - .actual_access:  read_only
        .address_space:  global
        .offset:         16
        .size:           8
        .value_kind:     global_buffer
      - .actual_access:  read_only
        .address_space:  global
        .offset:         24
        .size:           8
        .value_kind:     global_buffer
      - .actual_access:  read_only
        .address_space:  global
        .offset:         32
        .size:           8
        .value_kind:     global_buffer
      - .actual_access:  read_only
        .address_space:  global
        .offset:         40
        .size:           8
        .value_kind:     global_buffer
      - .offset:         48
        .size:           8
        .value_kind:     by_value
      - .address_space:  global
        .offset:         56
        .size:           8
        .value_kind:     global_buffer
      - .offset:         64
        .size:           4
        .value_kind:     by_value
      - .offset:         68
        .size:           1
        .value_kind:     by_value
    .group_segment_fixed_size: 0
    .kernarg_segment_align: 8
    .kernarg_segment_size: 72
    .language:       OpenCL C
    .language_version:
      - 2
      - 0
    .max_flat_workgroup_size: 128
    .name:           _ZN9rocsparseL19gebsrmvn_4xn_kernelILj128ELj1ELj64EfEEvi20rocsparse_direction_NS_24const_host_device_scalarIT2_EEPKiS6_PKS3_S8_S4_PS3_21rocsparse_index_base_b
    .private_segment_fixed_size: 0
    .sgpr_count:     24
    .sgpr_spill_count: 0
    .symbol:         _ZN9rocsparseL19gebsrmvn_4xn_kernelILj128ELj1ELj64EfEEvi20rocsparse_direction_NS_24const_host_device_scalarIT2_EEPKiS6_PKS3_S8_S4_PS3_21rocsparse_index_base_b.kd
    .uniform_work_group_size: 1
    .uses_dynamic_stack: false
    .vgpr_count:     21
    .vgpr_spill_count: 0
    .wavefront_size: 64
  - .args:
      - .offset:         0
        .size:           4
        .value_kind:     by_value
      - .offset:         4
        .size:           4
        .value_kind:     by_value
      - .offset:         8
        .size:           8
        .value_kind:     by_value
      - .actual_access:  read_only
        .address_space:  global
        .offset:         16
        .size:           8
        .value_kind:     global_buffer
      - .actual_access:  read_only
        .address_space:  global
        .offset:         24
        .size:           8
        .value_kind:     global_buffer
      - .actual_access:  read_only
        .address_space:  global
        .offset:         32
        .size:           8
        .value_kind:     global_buffer
      - .actual_access:  read_only
        .address_space:  global
        .offset:         40
        .size:           8
        .value_kind:     global_buffer
      - .offset:         48
        .size:           8
        .value_kind:     by_value
      - .address_space:  global
        .offset:         56
        .size:           8
        .value_kind:     global_buffer
      - .offset:         64
        .size:           4
        .value_kind:     by_value
      - .offset:         68
        .size:           1
        .value_kind:     by_value
    .group_segment_fixed_size: 0
    .kernarg_segment_align: 8
    .kernarg_segment_size: 72
    .language:       OpenCL C
    .language_version:
      - 2
      - 0
    .max_flat_workgroup_size: 128
    .name:           _ZN9rocsparseL19gebsrmvn_4xn_kernelILj128ELj2ELj4EfEEvi20rocsparse_direction_NS_24const_host_device_scalarIT2_EEPKiS6_PKS3_S8_S4_PS3_21rocsparse_index_base_b
    .private_segment_fixed_size: 0
    .sgpr_count:     24
    .sgpr_spill_count: 0
    .symbol:         _ZN9rocsparseL19gebsrmvn_4xn_kernelILj128ELj2ELj4EfEEvi20rocsparse_direction_NS_24const_host_device_scalarIT2_EEPKiS6_PKS3_S8_S4_PS3_21rocsparse_index_base_b.kd
    .uniform_work_group_size: 1
    .uses_dynamic_stack: false
    .vgpr_count:     26
    .vgpr_spill_count: 0
    .wavefront_size: 64
  - .args:
      - .offset:         0
        .size:           4
        .value_kind:     by_value
      - .offset:         4
        .size:           4
        .value_kind:     by_value
      - .offset:         8
        .size:           8
        .value_kind:     by_value
      - .actual_access:  read_only
        .address_space:  global
        .offset:         16
        .size:           8
        .value_kind:     global_buffer
      - .actual_access:  read_only
        .address_space:  global
        .offset:         24
        .size:           8
        .value_kind:     global_buffer
      - .actual_access:  read_only
        .address_space:  global
        .offset:         32
        .size:           8
        .value_kind:     global_buffer
      - .actual_access:  read_only
        .address_space:  global
        .offset:         40
        .size:           8
        .value_kind:     global_buffer
      - .offset:         48
        .size:           8
        .value_kind:     by_value
      - .address_space:  global
        .offset:         56
        .size:           8
        .value_kind:     global_buffer
      - .offset:         64
        .size:           4
        .value_kind:     by_value
      - .offset:         68
        .size:           1
        .value_kind:     by_value
    .group_segment_fixed_size: 0
    .kernarg_segment_align: 8
    .kernarg_segment_size: 72
    .language:       OpenCL C
    .language_version:
      - 2
      - 0
    .max_flat_workgroup_size: 128
    .name:           _ZN9rocsparseL19gebsrmvn_4xn_kernelILj128ELj2ELj8EfEEvi20rocsparse_direction_NS_24const_host_device_scalarIT2_EEPKiS6_PKS3_S8_S4_PS3_21rocsparse_index_base_b
    .private_segment_fixed_size: 0
    .sgpr_count:     24
    .sgpr_spill_count: 0
    .symbol:         _ZN9rocsparseL19gebsrmvn_4xn_kernelILj128ELj2ELj8EfEEvi20rocsparse_direction_NS_24const_host_device_scalarIT2_EEPKiS6_PKS3_S8_S4_PS3_21rocsparse_index_base_b.kd
    .uniform_work_group_size: 1
    .uses_dynamic_stack: false
    .vgpr_count:     26
    .vgpr_spill_count: 0
    .wavefront_size: 64
  - .args:
      - .offset:         0
        .size:           4
        .value_kind:     by_value
      - .offset:         4
        .size:           4
        .value_kind:     by_value
      - .offset:         8
        .size:           8
        .value_kind:     by_value
      - .actual_access:  read_only
        .address_space:  global
        .offset:         16
        .size:           8
        .value_kind:     global_buffer
      - .actual_access:  read_only
        .address_space:  global
        .offset:         24
        .size:           8
        .value_kind:     global_buffer
      - .actual_access:  read_only
        .address_space:  global
        .offset:         32
        .size:           8
        .value_kind:     global_buffer
      - .actual_access:  read_only
        .address_space:  global
        .offset:         40
        .size:           8
        .value_kind:     global_buffer
      - .offset:         48
        .size:           8
        .value_kind:     by_value
      - .address_space:  global
        .offset:         56
        .size:           8
        .value_kind:     global_buffer
      - .offset:         64
        .size:           4
        .value_kind:     by_value
      - .offset:         68
        .size:           1
        .value_kind:     by_value
    .group_segment_fixed_size: 0
    .kernarg_segment_align: 8
    .kernarg_segment_size: 72
    .language:       OpenCL C
    .language_version:
      - 2
      - 0
    .max_flat_workgroup_size: 128
    .name:           _ZN9rocsparseL19gebsrmvn_4xn_kernelILj128ELj2ELj16EfEEvi20rocsparse_direction_NS_24const_host_device_scalarIT2_EEPKiS6_PKS3_S8_S4_PS3_21rocsparse_index_base_b
    .private_segment_fixed_size: 0
    .sgpr_count:     24
    .sgpr_spill_count: 0
    .symbol:         _ZN9rocsparseL19gebsrmvn_4xn_kernelILj128ELj2ELj16EfEEvi20rocsparse_direction_NS_24const_host_device_scalarIT2_EEPKiS6_PKS3_S8_S4_PS3_21rocsparse_index_base_b.kd
    .uniform_work_group_size: 1
    .uses_dynamic_stack: false
    .vgpr_count:     26
    .vgpr_spill_count: 0
    .wavefront_size: 64
  - .args:
      - .offset:         0
        .size:           4
        .value_kind:     by_value
      - .offset:         4
        .size:           4
        .value_kind:     by_value
      - .offset:         8
        .size:           8
        .value_kind:     by_value
      - .actual_access:  read_only
        .address_space:  global
        .offset:         16
        .size:           8
        .value_kind:     global_buffer
      - .actual_access:  read_only
        .address_space:  global
        .offset:         24
        .size:           8
        .value_kind:     global_buffer
      - .actual_access:  read_only
        .address_space:  global
        .offset:         32
        .size:           8
        .value_kind:     global_buffer
      - .actual_access:  read_only
        .address_space:  global
        .offset:         40
        .size:           8
        .value_kind:     global_buffer
      - .offset:         48
        .size:           8
        .value_kind:     by_value
      - .address_space:  global
        .offset:         56
        .size:           8
        .value_kind:     global_buffer
      - .offset:         64
        .size:           4
        .value_kind:     by_value
      - .offset:         68
        .size:           1
        .value_kind:     by_value
    .group_segment_fixed_size: 0
    .kernarg_segment_align: 8
    .kernarg_segment_size: 72
    .language:       OpenCL C
    .language_version:
      - 2
      - 0
    .max_flat_workgroup_size: 128
    .name:           _ZN9rocsparseL19gebsrmvn_4xn_kernelILj128ELj2ELj32EfEEvi20rocsparse_direction_NS_24const_host_device_scalarIT2_EEPKiS6_PKS3_S8_S4_PS3_21rocsparse_index_base_b
    .private_segment_fixed_size: 0
    .sgpr_count:     24
    .sgpr_spill_count: 0
    .symbol:         _ZN9rocsparseL19gebsrmvn_4xn_kernelILj128ELj2ELj32EfEEvi20rocsparse_direction_NS_24const_host_device_scalarIT2_EEPKiS6_PKS3_S8_S4_PS3_21rocsparse_index_base_b.kd
    .uniform_work_group_size: 1
    .uses_dynamic_stack: false
    .vgpr_count:     26
    .vgpr_spill_count: 0
    .wavefront_size: 64
  - .args:
      - .offset:         0
        .size:           4
        .value_kind:     by_value
      - .offset:         4
        .size:           4
        .value_kind:     by_value
      - .offset:         8
        .size:           8
        .value_kind:     by_value
      - .actual_access:  read_only
        .address_space:  global
        .offset:         16
        .size:           8
        .value_kind:     global_buffer
      - .actual_access:  read_only
        .address_space:  global
        .offset:         24
        .size:           8
        .value_kind:     global_buffer
      - .actual_access:  read_only
        .address_space:  global
        .offset:         32
        .size:           8
        .value_kind:     global_buffer
      - .actual_access:  read_only
        .address_space:  global
        .offset:         40
        .size:           8
        .value_kind:     global_buffer
      - .offset:         48
        .size:           8
        .value_kind:     by_value
      - .address_space:  global
        .offset:         56
        .size:           8
        .value_kind:     global_buffer
      - .offset:         64
        .size:           4
        .value_kind:     by_value
      - .offset:         68
        .size:           1
        .value_kind:     by_value
    .group_segment_fixed_size: 0
    .kernarg_segment_align: 8
    .kernarg_segment_size: 72
    .language:       OpenCL C
    .language_version:
      - 2
      - 0
    .max_flat_workgroup_size: 128
    .name:           _ZN9rocsparseL19gebsrmvn_4xn_kernelILj128ELj2ELj64EfEEvi20rocsparse_direction_NS_24const_host_device_scalarIT2_EEPKiS6_PKS3_S8_S4_PS3_21rocsparse_index_base_b
    .private_segment_fixed_size: 0
    .sgpr_count:     24
    .sgpr_spill_count: 0
    .symbol:         _ZN9rocsparseL19gebsrmvn_4xn_kernelILj128ELj2ELj64EfEEvi20rocsparse_direction_NS_24const_host_device_scalarIT2_EEPKiS6_PKS3_S8_S4_PS3_21rocsparse_index_base_b.kd
    .uniform_work_group_size: 1
    .uses_dynamic_stack: false
    .vgpr_count:     26
    .vgpr_spill_count: 0
    .wavefront_size: 64
  - .args:
      - .offset:         0
        .size:           4
        .value_kind:     by_value
      - .offset:         4
        .size:           4
        .value_kind:     by_value
      - .offset:         8
        .size:           8
        .value_kind:     by_value
      - .actual_access:  read_only
        .address_space:  global
        .offset:         16
        .size:           8
        .value_kind:     global_buffer
      - .actual_access:  read_only
        .address_space:  global
        .offset:         24
        .size:           8
        .value_kind:     global_buffer
      - .actual_access:  read_only
        .address_space:  global
        .offset:         32
        .size:           8
        .value_kind:     global_buffer
      - .actual_access:  read_only
        .address_space:  global
        .offset:         40
        .size:           8
        .value_kind:     global_buffer
      - .offset:         48
        .size:           8
        .value_kind:     by_value
      - .address_space:  global
        .offset:         56
        .size:           8
        .value_kind:     global_buffer
      - .offset:         64
        .size:           4
        .value_kind:     by_value
      - .offset:         68
        .size:           1
        .value_kind:     by_value
    .group_segment_fixed_size: 0
    .kernarg_segment_align: 8
    .kernarg_segment_size: 72
    .language:       OpenCL C
    .language_version:
      - 2
      - 0
    .max_flat_workgroup_size: 128
    .name:           _ZN9rocsparseL19gebsrmvn_4xn_kernelILj128ELj3ELj4EfEEvi20rocsparse_direction_NS_24const_host_device_scalarIT2_EEPKiS6_PKS3_S8_S4_PS3_21rocsparse_index_base_b
    .private_segment_fixed_size: 0
    .sgpr_count:     24
    .sgpr_spill_count: 0
    .symbol:         _ZN9rocsparseL19gebsrmvn_4xn_kernelILj128ELj3ELj4EfEEvi20rocsparse_direction_NS_24const_host_device_scalarIT2_EEPKiS6_PKS3_S8_S4_PS3_21rocsparse_index_base_b.kd
    .uniform_work_group_size: 1
    .uses_dynamic_stack: false
    .vgpr_count:     36
    .vgpr_spill_count: 0
    .wavefront_size: 64
  - .args:
      - .offset:         0
        .size:           4
        .value_kind:     by_value
      - .offset:         4
        .size:           4
        .value_kind:     by_value
      - .offset:         8
        .size:           8
        .value_kind:     by_value
      - .actual_access:  read_only
        .address_space:  global
        .offset:         16
        .size:           8
        .value_kind:     global_buffer
      - .actual_access:  read_only
        .address_space:  global
        .offset:         24
        .size:           8
        .value_kind:     global_buffer
      - .actual_access:  read_only
        .address_space:  global
        .offset:         32
        .size:           8
        .value_kind:     global_buffer
      - .actual_access:  read_only
        .address_space:  global
        .offset:         40
        .size:           8
        .value_kind:     global_buffer
      - .offset:         48
        .size:           8
        .value_kind:     by_value
      - .address_space:  global
        .offset:         56
        .size:           8
        .value_kind:     global_buffer
      - .offset:         64
        .size:           4
        .value_kind:     by_value
      - .offset:         68
        .size:           1
        .value_kind:     by_value
    .group_segment_fixed_size: 0
    .kernarg_segment_align: 8
    .kernarg_segment_size: 72
    .language:       OpenCL C
    .language_version:
      - 2
      - 0
    .max_flat_workgroup_size: 128
    .name:           _ZN9rocsparseL19gebsrmvn_4xn_kernelILj128ELj3ELj8EfEEvi20rocsparse_direction_NS_24const_host_device_scalarIT2_EEPKiS6_PKS3_S8_S4_PS3_21rocsparse_index_base_b
    .private_segment_fixed_size: 0
    .sgpr_count:     24
    .sgpr_spill_count: 0
    .symbol:         _ZN9rocsparseL19gebsrmvn_4xn_kernelILj128ELj3ELj8EfEEvi20rocsparse_direction_NS_24const_host_device_scalarIT2_EEPKiS6_PKS3_S8_S4_PS3_21rocsparse_index_base_b.kd
    .uniform_work_group_size: 1
    .uses_dynamic_stack: false
    .vgpr_count:     36
    .vgpr_spill_count: 0
    .wavefront_size: 64
  - .args:
      - .offset:         0
        .size:           4
        .value_kind:     by_value
      - .offset:         4
        .size:           4
        .value_kind:     by_value
      - .offset:         8
        .size:           8
        .value_kind:     by_value
      - .actual_access:  read_only
        .address_space:  global
        .offset:         16
        .size:           8
        .value_kind:     global_buffer
      - .actual_access:  read_only
        .address_space:  global
        .offset:         24
        .size:           8
        .value_kind:     global_buffer
      - .actual_access:  read_only
        .address_space:  global
        .offset:         32
        .size:           8
        .value_kind:     global_buffer
      - .actual_access:  read_only
        .address_space:  global
        .offset:         40
        .size:           8
        .value_kind:     global_buffer
      - .offset:         48
        .size:           8
        .value_kind:     by_value
      - .address_space:  global
        .offset:         56
        .size:           8
        .value_kind:     global_buffer
      - .offset:         64
        .size:           4
        .value_kind:     by_value
      - .offset:         68
        .size:           1
        .value_kind:     by_value
    .group_segment_fixed_size: 0
    .kernarg_segment_align: 8
    .kernarg_segment_size: 72
    .language:       OpenCL C
    .language_version:
      - 2
      - 0
    .max_flat_workgroup_size: 128
    .name:           _ZN9rocsparseL19gebsrmvn_4xn_kernelILj128ELj3ELj16EfEEvi20rocsparse_direction_NS_24const_host_device_scalarIT2_EEPKiS6_PKS3_S8_S4_PS3_21rocsparse_index_base_b
    .private_segment_fixed_size: 0
    .sgpr_count:     24
    .sgpr_spill_count: 0
    .symbol:         _ZN9rocsparseL19gebsrmvn_4xn_kernelILj128ELj3ELj16EfEEvi20rocsparse_direction_NS_24const_host_device_scalarIT2_EEPKiS6_PKS3_S8_S4_PS3_21rocsparse_index_base_b.kd
    .uniform_work_group_size: 1
    .uses_dynamic_stack: false
    .vgpr_count:     36
    .vgpr_spill_count: 0
    .wavefront_size: 64
  - .args:
      - .offset:         0
        .size:           4
        .value_kind:     by_value
      - .offset:         4
        .size:           4
        .value_kind:     by_value
      - .offset:         8
        .size:           8
        .value_kind:     by_value
      - .actual_access:  read_only
        .address_space:  global
        .offset:         16
        .size:           8
        .value_kind:     global_buffer
      - .actual_access:  read_only
        .address_space:  global
        .offset:         24
        .size:           8
        .value_kind:     global_buffer
      - .actual_access:  read_only
        .address_space:  global
        .offset:         32
        .size:           8
        .value_kind:     global_buffer
      - .actual_access:  read_only
        .address_space:  global
        .offset:         40
        .size:           8
        .value_kind:     global_buffer
      - .offset:         48
        .size:           8
        .value_kind:     by_value
      - .address_space:  global
        .offset:         56
        .size:           8
        .value_kind:     global_buffer
      - .offset:         64
        .size:           4
        .value_kind:     by_value
      - .offset:         68
        .size:           1
        .value_kind:     by_value
    .group_segment_fixed_size: 0
    .kernarg_segment_align: 8
    .kernarg_segment_size: 72
    .language:       OpenCL C
    .language_version:
      - 2
      - 0
    .max_flat_workgroup_size: 128
    .name:           _ZN9rocsparseL19gebsrmvn_4xn_kernelILj128ELj3ELj32EfEEvi20rocsparse_direction_NS_24const_host_device_scalarIT2_EEPKiS6_PKS3_S8_S4_PS3_21rocsparse_index_base_b
    .private_segment_fixed_size: 0
    .sgpr_count:     24
    .sgpr_spill_count: 0
    .symbol:         _ZN9rocsparseL19gebsrmvn_4xn_kernelILj128ELj3ELj32EfEEvi20rocsparse_direction_NS_24const_host_device_scalarIT2_EEPKiS6_PKS3_S8_S4_PS3_21rocsparse_index_base_b.kd
    .uniform_work_group_size: 1
    .uses_dynamic_stack: false
    .vgpr_count:     36
    .vgpr_spill_count: 0
    .wavefront_size: 64
  - .args:
      - .offset:         0
        .size:           4
        .value_kind:     by_value
      - .offset:         4
        .size:           4
        .value_kind:     by_value
      - .offset:         8
        .size:           8
        .value_kind:     by_value
      - .actual_access:  read_only
        .address_space:  global
        .offset:         16
        .size:           8
        .value_kind:     global_buffer
      - .actual_access:  read_only
        .address_space:  global
        .offset:         24
        .size:           8
        .value_kind:     global_buffer
      - .actual_access:  read_only
        .address_space:  global
        .offset:         32
        .size:           8
        .value_kind:     global_buffer
      - .actual_access:  read_only
        .address_space:  global
        .offset:         40
        .size:           8
        .value_kind:     global_buffer
      - .offset:         48
        .size:           8
        .value_kind:     by_value
      - .address_space:  global
        .offset:         56
        .size:           8
        .value_kind:     global_buffer
      - .offset:         64
        .size:           4
        .value_kind:     by_value
      - .offset:         68
        .size:           1
        .value_kind:     by_value
    .group_segment_fixed_size: 0
    .kernarg_segment_align: 8
    .kernarg_segment_size: 72
    .language:       OpenCL C
    .language_version:
      - 2
      - 0
    .max_flat_workgroup_size: 128
    .name:           _ZN9rocsparseL19gebsrmvn_4xn_kernelILj128ELj3ELj64EfEEvi20rocsparse_direction_NS_24const_host_device_scalarIT2_EEPKiS6_PKS3_S8_S4_PS3_21rocsparse_index_base_b
    .private_segment_fixed_size: 0
    .sgpr_count:     24
    .sgpr_spill_count: 0
    .symbol:         _ZN9rocsparseL19gebsrmvn_4xn_kernelILj128ELj3ELj64EfEEvi20rocsparse_direction_NS_24const_host_device_scalarIT2_EEPKiS6_PKS3_S8_S4_PS3_21rocsparse_index_base_b.kd
    .uniform_work_group_size: 1
    .uses_dynamic_stack: false
    .vgpr_count:     36
    .vgpr_spill_count: 0
    .wavefront_size: 64
  - .args:
      - .offset:         0
        .size:           4
        .value_kind:     by_value
      - .offset:         4
        .size:           4
        .value_kind:     by_value
      - .offset:         8
        .size:           8
        .value_kind:     by_value
      - .actual_access:  read_only
        .address_space:  global
        .offset:         16
        .size:           8
        .value_kind:     global_buffer
      - .actual_access:  read_only
        .address_space:  global
        .offset:         24
        .size:           8
        .value_kind:     global_buffer
      - .actual_access:  read_only
        .address_space:  global
        .offset:         32
        .size:           8
        .value_kind:     global_buffer
      - .actual_access:  read_only
        .address_space:  global
        .offset:         40
        .size:           8
        .value_kind:     global_buffer
      - .offset:         48
        .size:           8
        .value_kind:     by_value
      - .address_space:  global
        .offset:         56
        .size:           8
        .value_kind:     global_buffer
      - .offset:         64
        .size:           4
        .value_kind:     by_value
      - .offset:         68
        .size:           1
        .value_kind:     by_value
    .group_segment_fixed_size: 0
    .kernarg_segment_align: 8
    .kernarg_segment_size: 72
    .language:       OpenCL C
    .language_version:
      - 2
      - 0
    .max_flat_workgroup_size: 128
    .name:           _ZN9rocsparseL19gebsrmvn_4xn_kernelILj128ELj5ELj4EfEEvi20rocsparse_direction_NS_24const_host_device_scalarIT2_EEPKiS6_PKS3_S8_S4_PS3_21rocsparse_index_base_b
    .private_segment_fixed_size: 0
    .sgpr_count:     24
    .sgpr_spill_count: 0
    .symbol:         _ZN9rocsparseL19gebsrmvn_4xn_kernelILj128ELj5ELj4EfEEvi20rocsparse_direction_NS_24const_host_device_scalarIT2_EEPKiS6_PKS3_S8_S4_PS3_21rocsparse_index_base_b.kd
    .uniform_work_group_size: 1
    .uses_dynamic_stack: false
    .vgpr_count:     44
    .vgpr_spill_count: 0
    .wavefront_size: 64
  - .args:
      - .offset:         0
        .size:           4
        .value_kind:     by_value
      - .offset:         4
        .size:           4
        .value_kind:     by_value
      - .offset:         8
        .size:           8
        .value_kind:     by_value
      - .actual_access:  read_only
        .address_space:  global
        .offset:         16
        .size:           8
        .value_kind:     global_buffer
      - .actual_access:  read_only
        .address_space:  global
        .offset:         24
        .size:           8
        .value_kind:     global_buffer
      - .actual_access:  read_only
        .address_space:  global
        .offset:         32
        .size:           8
        .value_kind:     global_buffer
      - .actual_access:  read_only
        .address_space:  global
        .offset:         40
        .size:           8
        .value_kind:     global_buffer
      - .offset:         48
        .size:           8
        .value_kind:     by_value
      - .address_space:  global
        .offset:         56
        .size:           8
        .value_kind:     global_buffer
      - .offset:         64
        .size:           4
        .value_kind:     by_value
      - .offset:         68
        .size:           1
        .value_kind:     by_value
    .group_segment_fixed_size: 0
    .kernarg_segment_align: 8
    .kernarg_segment_size: 72
    .language:       OpenCL C
    .language_version:
      - 2
      - 0
    .max_flat_workgroup_size: 128
    .name:           _ZN9rocsparseL19gebsrmvn_4xn_kernelILj128ELj5ELj8EfEEvi20rocsparse_direction_NS_24const_host_device_scalarIT2_EEPKiS6_PKS3_S8_S4_PS3_21rocsparse_index_base_b
    .private_segment_fixed_size: 0
    .sgpr_count:     24
    .sgpr_spill_count: 0
    .symbol:         _ZN9rocsparseL19gebsrmvn_4xn_kernelILj128ELj5ELj8EfEEvi20rocsparse_direction_NS_24const_host_device_scalarIT2_EEPKiS6_PKS3_S8_S4_PS3_21rocsparse_index_base_b.kd
    .uniform_work_group_size: 1
    .uses_dynamic_stack: false
    .vgpr_count:     44
    .vgpr_spill_count: 0
    .wavefront_size: 64
  - .args:
      - .offset:         0
        .size:           4
        .value_kind:     by_value
      - .offset:         4
        .size:           4
        .value_kind:     by_value
      - .offset:         8
        .size:           8
        .value_kind:     by_value
      - .actual_access:  read_only
        .address_space:  global
        .offset:         16
        .size:           8
        .value_kind:     global_buffer
      - .actual_access:  read_only
        .address_space:  global
        .offset:         24
        .size:           8
        .value_kind:     global_buffer
      - .actual_access:  read_only
        .address_space:  global
        .offset:         32
        .size:           8
        .value_kind:     global_buffer
      - .actual_access:  read_only
        .address_space:  global
        .offset:         40
        .size:           8
        .value_kind:     global_buffer
      - .offset:         48
        .size:           8
        .value_kind:     by_value
      - .address_space:  global
        .offset:         56
        .size:           8
        .value_kind:     global_buffer
      - .offset:         64
        .size:           4
        .value_kind:     by_value
      - .offset:         68
        .size:           1
        .value_kind:     by_value
    .group_segment_fixed_size: 0
    .kernarg_segment_align: 8
    .kernarg_segment_size: 72
    .language:       OpenCL C
    .language_version:
      - 2
      - 0
    .max_flat_workgroup_size: 128
    .name:           _ZN9rocsparseL19gebsrmvn_4xn_kernelILj128ELj5ELj16EfEEvi20rocsparse_direction_NS_24const_host_device_scalarIT2_EEPKiS6_PKS3_S8_S4_PS3_21rocsparse_index_base_b
    .private_segment_fixed_size: 0
    .sgpr_count:     24
    .sgpr_spill_count: 0
    .symbol:         _ZN9rocsparseL19gebsrmvn_4xn_kernelILj128ELj5ELj16EfEEvi20rocsparse_direction_NS_24const_host_device_scalarIT2_EEPKiS6_PKS3_S8_S4_PS3_21rocsparse_index_base_b.kd
    .uniform_work_group_size: 1
    .uses_dynamic_stack: false
    .vgpr_count:     44
    .vgpr_spill_count: 0
    .wavefront_size: 64
  - .args:
      - .offset:         0
        .size:           4
        .value_kind:     by_value
      - .offset:         4
        .size:           4
        .value_kind:     by_value
      - .offset:         8
        .size:           8
        .value_kind:     by_value
      - .actual_access:  read_only
        .address_space:  global
        .offset:         16
        .size:           8
        .value_kind:     global_buffer
      - .actual_access:  read_only
        .address_space:  global
        .offset:         24
        .size:           8
        .value_kind:     global_buffer
      - .actual_access:  read_only
        .address_space:  global
        .offset:         32
        .size:           8
        .value_kind:     global_buffer
      - .actual_access:  read_only
        .address_space:  global
        .offset:         40
        .size:           8
        .value_kind:     global_buffer
      - .offset:         48
        .size:           8
        .value_kind:     by_value
      - .address_space:  global
        .offset:         56
        .size:           8
        .value_kind:     global_buffer
      - .offset:         64
        .size:           4
        .value_kind:     by_value
      - .offset:         68
        .size:           1
        .value_kind:     by_value
    .group_segment_fixed_size: 0
    .kernarg_segment_align: 8
    .kernarg_segment_size: 72
    .language:       OpenCL C
    .language_version:
      - 2
      - 0
    .max_flat_workgroup_size: 128
    .name:           _ZN9rocsparseL19gebsrmvn_4xn_kernelILj128ELj5ELj32EfEEvi20rocsparse_direction_NS_24const_host_device_scalarIT2_EEPKiS6_PKS3_S8_S4_PS3_21rocsparse_index_base_b
    .private_segment_fixed_size: 0
    .sgpr_count:     24
    .sgpr_spill_count: 0
    .symbol:         _ZN9rocsparseL19gebsrmvn_4xn_kernelILj128ELj5ELj32EfEEvi20rocsparse_direction_NS_24const_host_device_scalarIT2_EEPKiS6_PKS3_S8_S4_PS3_21rocsparse_index_base_b.kd
    .uniform_work_group_size: 1
    .uses_dynamic_stack: false
    .vgpr_count:     44
    .vgpr_spill_count: 0
    .wavefront_size: 64
  - .args:
      - .offset:         0
        .size:           4
        .value_kind:     by_value
      - .offset:         4
        .size:           4
        .value_kind:     by_value
      - .offset:         8
        .size:           8
        .value_kind:     by_value
      - .actual_access:  read_only
        .address_space:  global
        .offset:         16
        .size:           8
        .value_kind:     global_buffer
      - .actual_access:  read_only
        .address_space:  global
        .offset:         24
        .size:           8
        .value_kind:     global_buffer
      - .actual_access:  read_only
        .address_space:  global
        .offset:         32
        .size:           8
        .value_kind:     global_buffer
      - .actual_access:  read_only
        .address_space:  global
        .offset:         40
        .size:           8
        .value_kind:     global_buffer
      - .offset:         48
        .size:           8
        .value_kind:     by_value
      - .address_space:  global
        .offset:         56
        .size:           8
        .value_kind:     global_buffer
      - .offset:         64
        .size:           4
        .value_kind:     by_value
      - .offset:         68
        .size:           1
        .value_kind:     by_value
    .group_segment_fixed_size: 0
    .kernarg_segment_align: 8
    .kernarg_segment_size: 72
    .language:       OpenCL C
    .language_version:
      - 2
      - 0
    .max_flat_workgroup_size: 128
    .name:           _ZN9rocsparseL19gebsrmvn_4xn_kernelILj128ELj5ELj64EfEEvi20rocsparse_direction_NS_24const_host_device_scalarIT2_EEPKiS6_PKS3_S8_S4_PS3_21rocsparse_index_base_b
    .private_segment_fixed_size: 0
    .sgpr_count:     24
    .sgpr_spill_count: 0
    .symbol:         _ZN9rocsparseL19gebsrmvn_4xn_kernelILj128ELj5ELj64EfEEvi20rocsparse_direction_NS_24const_host_device_scalarIT2_EEPKiS6_PKS3_S8_S4_PS3_21rocsparse_index_base_b.kd
    .uniform_work_group_size: 1
    .uses_dynamic_stack: false
    .vgpr_count:     44
    .vgpr_spill_count: 0
    .wavefront_size: 64
  - .args:
      - .offset:         0
        .size:           4
        .value_kind:     by_value
      - .offset:         4
        .size:           4
        .value_kind:     by_value
      - .offset:         8
        .size:           8
        .value_kind:     by_value
      - .actual_access:  read_only
        .address_space:  global
        .offset:         16
        .size:           8
        .value_kind:     global_buffer
      - .actual_access:  read_only
        .address_space:  global
        .offset:         24
        .size:           8
        .value_kind:     global_buffer
      - .actual_access:  read_only
        .address_space:  global
        .offset:         32
        .size:           8
        .value_kind:     global_buffer
      - .actual_access:  read_only
        .address_space:  global
        .offset:         40
        .size:           8
        .value_kind:     global_buffer
      - .offset:         48
        .size:           8
        .value_kind:     by_value
      - .address_space:  global
        .offset:         56
        .size:           8
        .value_kind:     global_buffer
      - .offset:         64
        .size:           4
        .value_kind:     by_value
      - .offset:         68
        .size:           1
        .value_kind:     by_value
    .group_segment_fixed_size: 0
    .kernarg_segment_align: 8
    .kernarg_segment_size: 72
    .language:       OpenCL C
    .language_version:
      - 2
      - 0
    .max_flat_workgroup_size: 128
    .name:           _ZN9rocsparseL19gebsrmvn_4xn_kernelILj128ELj6ELj4EfEEvi20rocsparse_direction_NS_24const_host_device_scalarIT2_EEPKiS6_PKS3_S8_S4_PS3_21rocsparse_index_base_b
    .private_segment_fixed_size: 0
    .sgpr_count:     24
    .sgpr_spill_count: 0
    .symbol:         _ZN9rocsparseL19gebsrmvn_4xn_kernelILj128ELj6ELj4EfEEvi20rocsparse_direction_NS_24const_host_device_scalarIT2_EEPKiS6_PKS3_S8_S4_PS3_21rocsparse_index_base_b.kd
    .uniform_work_group_size: 1
    .uses_dynamic_stack: false
    .vgpr_count:     51
    .vgpr_spill_count: 0
    .wavefront_size: 64
  - .args:
      - .offset:         0
        .size:           4
        .value_kind:     by_value
      - .offset:         4
        .size:           4
        .value_kind:     by_value
      - .offset:         8
        .size:           8
        .value_kind:     by_value
      - .actual_access:  read_only
        .address_space:  global
        .offset:         16
        .size:           8
        .value_kind:     global_buffer
      - .actual_access:  read_only
        .address_space:  global
        .offset:         24
        .size:           8
        .value_kind:     global_buffer
      - .actual_access:  read_only
        .address_space:  global
        .offset:         32
        .size:           8
        .value_kind:     global_buffer
      - .actual_access:  read_only
        .address_space:  global
        .offset:         40
        .size:           8
        .value_kind:     global_buffer
      - .offset:         48
        .size:           8
        .value_kind:     by_value
      - .address_space:  global
        .offset:         56
        .size:           8
        .value_kind:     global_buffer
      - .offset:         64
        .size:           4
        .value_kind:     by_value
      - .offset:         68
        .size:           1
        .value_kind:     by_value
    .group_segment_fixed_size: 0
    .kernarg_segment_align: 8
    .kernarg_segment_size: 72
    .language:       OpenCL C
    .language_version:
      - 2
      - 0
    .max_flat_workgroup_size: 128
    .name:           _ZN9rocsparseL19gebsrmvn_4xn_kernelILj128ELj6ELj8EfEEvi20rocsparse_direction_NS_24const_host_device_scalarIT2_EEPKiS6_PKS3_S8_S4_PS3_21rocsparse_index_base_b
    .private_segment_fixed_size: 0
    .sgpr_count:     24
    .sgpr_spill_count: 0
    .symbol:         _ZN9rocsparseL19gebsrmvn_4xn_kernelILj128ELj6ELj8EfEEvi20rocsparse_direction_NS_24const_host_device_scalarIT2_EEPKiS6_PKS3_S8_S4_PS3_21rocsparse_index_base_b.kd
    .uniform_work_group_size: 1
    .uses_dynamic_stack: false
    .vgpr_count:     51
    .vgpr_spill_count: 0
    .wavefront_size: 64
  - .args:
      - .offset:         0
        .size:           4
        .value_kind:     by_value
      - .offset:         4
        .size:           4
        .value_kind:     by_value
      - .offset:         8
        .size:           8
        .value_kind:     by_value
      - .actual_access:  read_only
        .address_space:  global
        .offset:         16
        .size:           8
        .value_kind:     global_buffer
      - .actual_access:  read_only
        .address_space:  global
        .offset:         24
        .size:           8
        .value_kind:     global_buffer
      - .actual_access:  read_only
        .address_space:  global
        .offset:         32
        .size:           8
        .value_kind:     global_buffer
      - .actual_access:  read_only
        .address_space:  global
        .offset:         40
        .size:           8
        .value_kind:     global_buffer
      - .offset:         48
        .size:           8
        .value_kind:     by_value
      - .address_space:  global
        .offset:         56
        .size:           8
        .value_kind:     global_buffer
      - .offset:         64
        .size:           4
        .value_kind:     by_value
      - .offset:         68
        .size:           1
        .value_kind:     by_value
    .group_segment_fixed_size: 0
    .kernarg_segment_align: 8
    .kernarg_segment_size: 72
    .language:       OpenCL C
    .language_version:
      - 2
      - 0
    .max_flat_workgroup_size: 128
    .name:           _ZN9rocsparseL19gebsrmvn_4xn_kernelILj128ELj6ELj16EfEEvi20rocsparse_direction_NS_24const_host_device_scalarIT2_EEPKiS6_PKS3_S8_S4_PS3_21rocsparse_index_base_b
    .private_segment_fixed_size: 0
    .sgpr_count:     24
    .sgpr_spill_count: 0
    .symbol:         _ZN9rocsparseL19gebsrmvn_4xn_kernelILj128ELj6ELj16EfEEvi20rocsparse_direction_NS_24const_host_device_scalarIT2_EEPKiS6_PKS3_S8_S4_PS3_21rocsparse_index_base_b.kd
    .uniform_work_group_size: 1
    .uses_dynamic_stack: false
    .vgpr_count:     51
    .vgpr_spill_count: 0
    .wavefront_size: 64
  - .args:
      - .offset:         0
        .size:           4
        .value_kind:     by_value
      - .offset:         4
        .size:           4
        .value_kind:     by_value
      - .offset:         8
        .size:           8
        .value_kind:     by_value
      - .actual_access:  read_only
        .address_space:  global
        .offset:         16
        .size:           8
        .value_kind:     global_buffer
      - .actual_access:  read_only
        .address_space:  global
        .offset:         24
        .size:           8
        .value_kind:     global_buffer
      - .actual_access:  read_only
        .address_space:  global
        .offset:         32
        .size:           8
        .value_kind:     global_buffer
      - .actual_access:  read_only
        .address_space:  global
        .offset:         40
        .size:           8
        .value_kind:     global_buffer
      - .offset:         48
        .size:           8
        .value_kind:     by_value
      - .address_space:  global
        .offset:         56
        .size:           8
        .value_kind:     global_buffer
      - .offset:         64
        .size:           4
        .value_kind:     by_value
      - .offset:         68
        .size:           1
        .value_kind:     by_value
    .group_segment_fixed_size: 0
    .kernarg_segment_align: 8
    .kernarg_segment_size: 72
    .language:       OpenCL C
    .language_version:
      - 2
      - 0
    .max_flat_workgroup_size: 128
    .name:           _ZN9rocsparseL19gebsrmvn_4xn_kernelILj128ELj6ELj32EfEEvi20rocsparse_direction_NS_24const_host_device_scalarIT2_EEPKiS6_PKS3_S8_S4_PS3_21rocsparse_index_base_b
    .private_segment_fixed_size: 0
    .sgpr_count:     24
    .sgpr_spill_count: 0
    .symbol:         _ZN9rocsparseL19gebsrmvn_4xn_kernelILj128ELj6ELj32EfEEvi20rocsparse_direction_NS_24const_host_device_scalarIT2_EEPKiS6_PKS3_S8_S4_PS3_21rocsparse_index_base_b.kd
    .uniform_work_group_size: 1
    .uses_dynamic_stack: false
    .vgpr_count:     51
    .vgpr_spill_count: 0
    .wavefront_size: 64
  - .args:
      - .offset:         0
        .size:           4
        .value_kind:     by_value
      - .offset:         4
        .size:           4
        .value_kind:     by_value
      - .offset:         8
        .size:           8
        .value_kind:     by_value
      - .actual_access:  read_only
        .address_space:  global
        .offset:         16
        .size:           8
        .value_kind:     global_buffer
      - .actual_access:  read_only
        .address_space:  global
        .offset:         24
        .size:           8
        .value_kind:     global_buffer
      - .actual_access:  read_only
        .address_space:  global
        .offset:         32
        .size:           8
        .value_kind:     global_buffer
      - .actual_access:  read_only
        .address_space:  global
        .offset:         40
        .size:           8
        .value_kind:     global_buffer
      - .offset:         48
        .size:           8
        .value_kind:     by_value
      - .address_space:  global
        .offset:         56
        .size:           8
        .value_kind:     global_buffer
      - .offset:         64
        .size:           4
        .value_kind:     by_value
      - .offset:         68
        .size:           1
        .value_kind:     by_value
    .group_segment_fixed_size: 0
    .kernarg_segment_align: 8
    .kernarg_segment_size: 72
    .language:       OpenCL C
    .language_version:
      - 2
      - 0
    .max_flat_workgroup_size: 128
    .name:           _ZN9rocsparseL19gebsrmvn_4xn_kernelILj128ELj6ELj64EfEEvi20rocsparse_direction_NS_24const_host_device_scalarIT2_EEPKiS6_PKS3_S8_S4_PS3_21rocsparse_index_base_b
    .private_segment_fixed_size: 0
    .sgpr_count:     24
    .sgpr_spill_count: 0
    .symbol:         _ZN9rocsparseL19gebsrmvn_4xn_kernelILj128ELj6ELj64EfEEvi20rocsparse_direction_NS_24const_host_device_scalarIT2_EEPKiS6_PKS3_S8_S4_PS3_21rocsparse_index_base_b.kd
    .uniform_work_group_size: 1
    .uses_dynamic_stack: false
    .vgpr_count:     51
    .vgpr_spill_count: 0
    .wavefront_size: 64
  - .args:
      - .offset:         0
        .size:           4
        .value_kind:     by_value
      - .offset:         4
        .size:           4
        .value_kind:     by_value
      - .offset:         8
        .size:           8
        .value_kind:     by_value
      - .actual_access:  read_only
        .address_space:  global
        .offset:         16
        .size:           8
        .value_kind:     global_buffer
      - .actual_access:  read_only
        .address_space:  global
        .offset:         24
        .size:           8
        .value_kind:     global_buffer
      - .actual_access:  read_only
        .address_space:  global
        .offset:         32
        .size:           8
        .value_kind:     global_buffer
      - .actual_access:  read_only
        .address_space:  global
        .offset:         40
        .size:           8
        .value_kind:     global_buffer
      - .offset:         48
        .size:           8
        .value_kind:     by_value
      - .address_space:  global
        .offset:         56
        .size:           8
        .value_kind:     global_buffer
      - .offset:         64
        .size:           4
        .value_kind:     by_value
      - .offset:         68
        .size:           1
        .value_kind:     by_value
    .group_segment_fixed_size: 0
    .kernarg_segment_align: 8
    .kernarg_segment_size: 72
    .language:       OpenCL C
    .language_version:
      - 2
      - 0
    .max_flat_workgroup_size: 128
    .name:           _ZN9rocsparseL19gebsrmvn_4xn_kernelILj128ELj7ELj4EfEEvi20rocsparse_direction_NS_24const_host_device_scalarIT2_EEPKiS6_PKS3_S8_S4_PS3_21rocsparse_index_base_b
    .private_segment_fixed_size: 0
    .sgpr_count:     24
    .sgpr_spill_count: 0
    .symbol:         _ZN9rocsparseL19gebsrmvn_4xn_kernelILj128ELj7ELj4EfEEvi20rocsparse_direction_NS_24const_host_device_scalarIT2_EEPKiS6_PKS3_S8_S4_PS3_21rocsparse_index_base_b.kd
    .uniform_work_group_size: 1
    .uses_dynamic_stack: false
    .vgpr_count:     29
    .vgpr_spill_count: 0
    .wavefront_size: 64
  - .args:
      - .offset:         0
        .size:           4
        .value_kind:     by_value
      - .offset:         4
        .size:           4
        .value_kind:     by_value
      - .offset:         8
        .size:           8
        .value_kind:     by_value
      - .actual_access:  read_only
        .address_space:  global
        .offset:         16
        .size:           8
        .value_kind:     global_buffer
      - .actual_access:  read_only
        .address_space:  global
        .offset:         24
        .size:           8
        .value_kind:     global_buffer
      - .actual_access:  read_only
        .address_space:  global
        .offset:         32
        .size:           8
        .value_kind:     global_buffer
      - .actual_access:  read_only
        .address_space:  global
        .offset:         40
        .size:           8
        .value_kind:     global_buffer
      - .offset:         48
        .size:           8
        .value_kind:     by_value
      - .address_space:  global
        .offset:         56
        .size:           8
        .value_kind:     global_buffer
      - .offset:         64
        .size:           4
        .value_kind:     by_value
      - .offset:         68
        .size:           1
        .value_kind:     by_value
    .group_segment_fixed_size: 0
    .kernarg_segment_align: 8
    .kernarg_segment_size: 72
    .language:       OpenCL C
    .language_version:
      - 2
      - 0
    .max_flat_workgroup_size: 128
    .name:           _ZN9rocsparseL19gebsrmvn_4xn_kernelILj128ELj7ELj8EfEEvi20rocsparse_direction_NS_24const_host_device_scalarIT2_EEPKiS6_PKS3_S8_S4_PS3_21rocsparse_index_base_b
    .private_segment_fixed_size: 0
    .sgpr_count:     24
    .sgpr_spill_count: 0
    .symbol:         _ZN9rocsparseL19gebsrmvn_4xn_kernelILj128ELj7ELj8EfEEvi20rocsparse_direction_NS_24const_host_device_scalarIT2_EEPKiS6_PKS3_S8_S4_PS3_21rocsparse_index_base_b.kd
    .uniform_work_group_size: 1
    .uses_dynamic_stack: false
    .vgpr_count:     29
    .vgpr_spill_count: 0
    .wavefront_size: 64
  - .args:
      - .offset:         0
        .size:           4
        .value_kind:     by_value
      - .offset:         4
        .size:           4
        .value_kind:     by_value
      - .offset:         8
        .size:           8
        .value_kind:     by_value
      - .actual_access:  read_only
        .address_space:  global
        .offset:         16
        .size:           8
        .value_kind:     global_buffer
      - .actual_access:  read_only
        .address_space:  global
        .offset:         24
        .size:           8
        .value_kind:     global_buffer
      - .actual_access:  read_only
        .address_space:  global
        .offset:         32
        .size:           8
        .value_kind:     global_buffer
      - .actual_access:  read_only
        .address_space:  global
        .offset:         40
        .size:           8
        .value_kind:     global_buffer
      - .offset:         48
        .size:           8
        .value_kind:     by_value
      - .address_space:  global
        .offset:         56
        .size:           8
        .value_kind:     global_buffer
      - .offset:         64
        .size:           4
        .value_kind:     by_value
      - .offset:         68
        .size:           1
        .value_kind:     by_value
    .group_segment_fixed_size: 0
    .kernarg_segment_align: 8
    .kernarg_segment_size: 72
    .language:       OpenCL C
    .language_version:
      - 2
      - 0
    .max_flat_workgroup_size: 128
    .name:           _ZN9rocsparseL19gebsrmvn_4xn_kernelILj128ELj7ELj16EfEEvi20rocsparse_direction_NS_24const_host_device_scalarIT2_EEPKiS6_PKS3_S8_S4_PS3_21rocsparse_index_base_b
    .private_segment_fixed_size: 0
    .sgpr_count:     24
    .sgpr_spill_count: 0
    .symbol:         _ZN9rocsparseL19gebsrmvn_4xn_kernelILj128ELj7ELj16EfEEvi20rocsparse_direction_NS_24const_host_device_scalarIT2_EEPKiS6_PKS3_S8_S4_PS3_21rocsparse_index_base_b.kd
    .uniform_work_group_size: 1
    .uses_dynamic_stack: false
    .vgpr_count:     29
    .vgpr_spill_count: 0
    .wavefront_size: 64
  - .args:
      - .offset:         0
        .size:           4
        .value_kind:     by_value
      - .offset:         4
        .size:           4
        .value_kind:     by_value
      - .offset:         8
        .size:           8
        .value_kind:     by_value
      - .actual_access:  read_only
        .address_space:  global
        .offset:         16
        .size:           8
        .value_kind:     global_buffer
      - .actual_access:  read_only
        .address_space:  global
        .offset:         24
        .size:           8
        .value_kind:     global_buffer
      - .actual_access:  read_only
        .address_space:  global
        .offset:         32
        .size:           8
        .value_kind:     global_buffer
      - .actual_access:  read_only
        .address_space:  global
        .offset:         40
        .size:           8
        .value_kind:     global_buffer
      - .offset:         48
        .size:           8
        .value_kind:     by_value
      - .address_space:  global
        .offset:         56
        .size:           8
        .value_kind:     global_buffer
      - .offset:         64
        .size:           4
        .value_kind:     by_value
      - .offset:         68
        .size:           1
        .value_kind:     by_value
    .group_segment_fixed_size: 0
    .kernarg_segment_align: 8
    .kernarg_segment_size: 72
    .language:       OpenCL C
    .language_version:
      - 2
      - 0
    .max_flat_workgroup_size: 128
    .name:           _ZN9rocsparseL19gebsrmvn_4xn_kernelILj128ELj7ELj32EfEEvi20rocsparse_direction_NS_24const_host_device_scalarIT2_EEPKiS6_PKS3_S8_S4_PS3_21rocsparse_index_base_b
    .private_segment_fixed_size: 0
    .sgpr_count:     24
    .sgpr_spill_count: 0
    .symbol:         _ZN9rocsparseL19gebsrmvn_4xn_kernelILj128ELj7ELj32EfEEvi20rocsparse_direction_NS_24const_host_device_scalarIT2_EEPKiS6_PKS3_S8_S4_PS3_21rocsparse_index_base_b.kd
    .uniform_work_group_size: 1
    .uses_dynamic_stack: false
    .vgpr_count:     29
    .vgpr_spill_count: 0
    .wavefront_size: 64
  - .args:
      - .offset:         0
        .size:           4
        .value_kind:     by_value
      - .offset:         4
        .size:           4
        .value_kind:     by_value
      - .offset:         8
        .size:           8
        .value_kind:     by_value
      - .actual_access:  read_only
        .address_space:  global
        .offset:         16
        .size:           8
        .value_kind:     global_buffer
      - .actual_access:  read_only
        .address_space:  global
        .offset:         24
        .size:           8
        .value_kind:     global_buffer
      - .actual_access:  read_only
        .address_space:  global
        .offset:         32
        .size:           8
        .value_kind:     global_buffer
      - .actual_access:  read_only
        .address_space:  global
        .offset:         40
        .size:           8
        .value_kind:     global_buffer
      - .offset:         48
        .size:           8
        .value_kind:     by_value
      - .address_space:  global
        .offset:         56
        .size:           8
        .value_kind:     global_buffer
      - .offset:         64
        .size:           4
        .value_kind:     by_value
      - .offset:         68
        .size:           1
        .value_kind:     by_value
    .group_segment_fixed_size: 0
    .kernarg_segment_align: 8
    .kernarg_segment_size: 72
    .language:       OpenCL C
    .language_version:
      - 2
      - 0
    .max_flat_workgroup_size: 128
    .name:           _ZN9rocsparseL19gebsrmvn_4xn_kernelILj128ELj7ELj64EfEEvi20rocsparse_direction_NS_24const_host_device_scalarIT2_EEPKiS6_PKS3_S8_S4_PS3_21rocsparse_index_base_b
    .private_segment_fixed_size: 0
    .sgpr_count:     24
    .sgpr_spill_count: 0
    .symbol:         _ZN9rocsparseL19gebsrmvn_4xn_kernelILj128ELj7ELj64EfEEvi20rocsparse_direction_NS_24const_host_device_scalarIT2_EEPKiS6_PKS3_S8_S4_PS3_21rocsparse_index_base_b.kd
    .uniform_work_group_size: 1
    .uses_dynamic_stack: false
    .vgpr_count:     29
    .vgpr_spill_count: 0
    .wavefront_size: 64
  - .args:
      - .offset:         0
        .size:           4
        .value_kind:     by_value
      - .offset:         4
        .size:           4
        .value_kind:     by_value
      - .offset:         8
        .size:           8
        .value_kind:     by_value
      - .actual_access:  read_only
        .address_space:  global
        .offset:         16
        .size:           8
        .value_kind:     global_buffer
      - .actual_access:  read_only
        .address_space:  global
        .offset:         24
        .size:           8
        .value_kind:     global_buffer
      - .actual_access:  read_only
        .address_space:  global
        .offset:         32
        .size:           8
        .value_kind:     global_buffer
      - .actual_access:  read_only
        .address_space:  global
        .offset:         40
        .size:           8
        .value_kind:     global_buffer
      - .offset:         48
        .size:           8
        .value_kind:     by_value
      - .address_space:  global
        .offset:         56
        .size:           8
        .value_kind:     global_buffer
      - .offset:         64
        .size:           4
        .value_kind:     by_value
      - .offset:         68
        .size:           1
        .value_kind:     by_value
    .group_segment_fixed_size: 0
    .kernarg_segment_align: 8
    .kernarg_segment_size: 72
    .language:       OpenCL C
    .language_version:
      - 2
      - 0
    .max_flat_workgroup_size: 128
    .name:           _ZN9rocsparseL19gebsrmvn_4xn_kernelILj128ELj8ELj4EfEEvi20rocsparse_direction_NS_24const_host_device_scalarIT2_EEPKiS6_PKS3_S8_S4_PS3_21rocsparse_index_base_b
    .private_segment_fixed_size: 0
    .sgpr_count:     24
    .sgpr_spill_count: 0
    .symbol:         _ZN9rocsparseL19gebsrmvn_4xn_kernelILj128ELj8ELj4EfEEvi20rocsparse_direction_NS_24const_host_device_scalarIT2_EEPKiS6_PKS3_S8_S4_PS3_21rocsparse_index_base_b.kd
    .uniform_work_group_size: 1
    .uses_dynamic_stack: false
    .vgpr_count:     49
    .vgpr_spill_count: 0
    .wavefront_size: 64
  - .args:
      - .offset:         0
        .size:           4
        .value_kind:     by_value
      - .offset:         4
        .size:           4
        .value_kind:     by_value
      - .offset:         8
        .size:           8
        .value_kind:     by_value
      - .actual_access:  read_only
        .address_space:  global
        .offset:         16
        .size:           8
        .value_kind:     global_buffer
      - .actual_access:  read_only
        .address_space:  global
        .offset:         24
        .size:           8
        .value_kind:     global_buffer
      - .actual_access:  read_only
        .address_space:  global
        .offset:         32
        .size:           8
        .value_kind:     global_buffer
      - .actual_access:  read_only
        .address_space:  global
        .offset:         40
        .size:           8
        .value_kind:     global_buffer
      - .offset:         48
        .size:           8
        .value_kind:     by_value
      - .address_space:  global
        .offset:         56
        .size:           8
        .value_kind:     global_buffer
      - .offset:         64
        .size:           4
        .value_kind:     by_value
      - .offset:         68
        .size:           1
        .value_kind:     by_value
    .group_segment_fixed_size: 0
    .kernarg_segment_align: 8
    .kernarg_segment_size: 72
    .language:       OpenCL C
    .language_version:
      - 2
      - 0
    .max_flat_workgroup_size: 128
    .name:           _ZN9rocsparseL19gebsrmvn_4xn_kernelILj128ELj8ELj8EfEEvi20rocsparse_direction_NS_24const_host_device_scalarIT2_EEPKiS6_PKS3_S8_S4_PS3_21rocsparse_index_base_b
    .private_segment_fixed_size: 0
    .sgpr_count:     24
    .sgpr_spill_count: 0
    .symbol:         _ZN9rocsparseL19gebsrmvn_4xn_kernelILj128ELj8ELj8EfEEvi20rocsparse_direction_NS_24const_host_device_scalarIT2_EEPKiS6_PKS3_S8_S4_PS3_21rocsparse_index_base_b.kd
    .uniform_work_group_size: 1
    .uses_dynamic_stack: false
    .vgpr_count:     49
    .vgpr_spill_count: 0
    .wavefront_size: 64
  - .args:
      - .offset:         0
        .size:           4
        .value_kind:     by_value
      - .offset:         4
        .size:           4
        .value_kind:     by_value
      - .offset:         8
        .size:           8
        .value_kind:     by_value
      - .actual_access:  read_only
        .address_space:  global
        .offset:         16
        .size:           8
        .value_kind:     global_buffer
      - .actual_access:  read_only
        .address_space:  global
        .offset:         24
        .size:           8
        .value_kind:     global_buffer
      - .actual_access:  read_only
        .address_space:  global
        .offset:         32
        .size:           8
        .value_kind:     global_buffer
      - .actual_access:  read_only
        .address_space:  global
        .offset:         40
        .size:           8
        .value_kind:     global_buffer
      - .offset:         48
        .size:           8
        .value_kind:     by_value
      - .address_space:  global
        .offset:         56
        .size:           8
        .value_kind:     global_buffer
      - .offset:         64
        .size:           4
        .value_kind:     by_value
      - .offset:         68
        .size:           1
        .value_kind:     by_value
    .group_segment_fixed_size: 0
    .kernarg_segment_align: 8
    .kernarg_segment_size: 72
    .language:       OpenCL C
    .language_version:
      - 2
      - 0
    .max_flat_workgroup_size: 128
    .name:           _ZN9rocsparseL19gebsrmvn_4xn_kernelILj128ELj8ELj16EfEEvi20rocsparse_direction_NS_24const_host_device_scalarIT2_EEPKiS6_PKS3_S8_S4_PS3_21rocsparse_index_base_b
    .private_segment_fixed_size: 0
    .sgpr_count:     24
    .sgpr_spill_count: 0
    .symbol:         _ZN9rocsparseL19gebsrmvn_4xn_kernelILj128ELj8ELj16EfEEvi20rocsparse_direction_NS_24const_host_device_scalarIT2_EEPKiS6_PKS3_S8_S4_PS3_21rocsparse_index_base_b.kd
    .uniform_work_group_size: 1
    .uses_dynamic_stack: false
    .vgpr_count:     49
    .vgpr_spill_count: 0
    .wavefront_size: 64
  - .args:
      - .offset:         0
        .size:           4
        .value_kind:     by_value
      - .offset:         4
        .size:           4
        .value_kind:     by_value
      - .offset:         8
        .size:           8
        .value_kind:     by_value
      - .actual_access:  read_only
        .address_space:  global
        .offset:         16
        .size:           8
        .value_kind:     global_buffer
      - .actual_access:  read_only
        .address_space:  global
        .offset:         24
        .size:           8
        .value_kind:     global_buffer
      - .actual_access:  read_only
        .address_space:  global
        .offset:         32
        .size:           8
        .value_kind:     global_buffer
      - .actual_access:  read_only
        .address_space:  global
        .offset:         40
        .size:           8
        .value_kind:     global_buffer
      - .offset:         48
        .size:           8
        .value_kind:     by_value
      - .address_space:  global
        .offset:         56
        .size:           8
        .value_kind:     global_buffer
      - .offset:         64
        .size:           4
        .value_kind:     by_value
      - .offset:         68
        .size:           1
        .value_kind:     by_value
    .group_segment_fixed_size: 0
    .kernarg_segment_align: 8
    .kernarg_segment_size: 72
    .language:       OpenCL C
    .language_version:
      - 2
      - 0
    .max_flat_workgroup_size: 128
    .name:           _ZN9rocsparseL19gebsrmvn_4xn_kernelILj128ELj8ELj32EfEEvi20rocsparse_direction_NS_24const_host_device_scalarIT2_EEPKiS6_PKS3_S8_S4_PS3_21rocsparse_index_base_b
    .private_segment_fixed_size: 0
    .sgpr_count:     24
    .sgpr_spill_count: 0
    .symbol:         _ZN9rocsparseL19gebsrmvn_4xn_kernelILj128ELj8ELj32EfEEvi20rocsparse_direction_NS_24const_host_device_scalarIT2_EEPKiS6_PKS3_S8_S4_PS3_21rocsparse_index_base_b.kd
    .uniform_work_group_size: 1
    .uses_dynamic_stack: false
    .vgpr_count:     49
    .vgpr_spill_count: 0
    .wavefront_size: 64
  - .args:
      - .offset:         0
        .size:           4
        .value_kind:     by_value
      - .offset:         4
        .size:           4
        .value_kind:     by_value
      - .offset:         8
        .size:           8
        .value_kind:     by_value
      - .actual_access:  read_only
        .address_space:  global
        .offset:         16
        .size:           8
        .value_kind:     global_buffer
      - .actual_access:  read_only
        .address_space:  global
        .offset:         24
        .size:           8
        .value_kind:     global_buffer
      - .actual_access:  read_only
        .address_space:  global
        .offset:         32
        .size:           8
        .value_kind:     global_buffer
      - .actual_access:  read_only
        .address_space:  global
        .offset:         40
        .size:           8
        .value_kind:     global_buffer
      - .offset:         48
        .size:           8
        .value_kind:     by_value
      - .address_space:  global
        .offset:         56
        .size:           8
        .value_kind:     global_buffer
      - .offset:         64
        .size:           4
        .value_kind:     by_value
      - .offset:         68
        .size:           1
        .value_kind:     by_value
    .group_segment_fixed_size: 0
    .kernarg_segment_align: 8
    .kernarg_segment_size: 72
    .language:       OpenCL C
    .language_version:
      - 2
      - 0
    .max_flat_workgroup_size: 128
    .name:           _ZN9rocsparseL19gebsrmvn_4xn_kernelILj128ELj8ELj64EfEEvi20rocsparse_direction_NS_24const_host_device_scalarIT2_EEPKiS6_PKS3_S8_S4_PS3_21rocsparse_index_base_b
    .private_segment_fixed_size: 0
    .sgpr_count:     24
    .sgpr_spill_count: 0
    .symbol:         _ZN9rocsparseL19gebsrmvn_4xn_kernelILj128ELj8ELj64EfEEvi20rocsparse_direction_NS_24const_host_device_scalarIT2_EEPKiS6_PKS3_S8_S4_PS3_21rocsparse_index_base_b.kd
    .uniform_work_group_size: 1
    .uses_dynamic_stack: false
    .vgpr_count:     49
    .vgpr_spill_count: 0
    .wavefront_size: 64
  - .args:
      - .offset:         0
        .size:           4
        .value_kind:     by_value
      - .offset:         4
        .size:           4
        .value_kind:     by_value
      - .offset:         8
        .size:           8
        .value_kind:     by_value
      - .actual_access:  read_only
        .address_space:  global
        .offset:         16
        .size:           8
        .value_kind:     global_buffer
      - .actual_access:  read_only
        .address_space:  global
        .offset:         24
        .size:           8
        .value_kind:     global_buffer
      - .actual_access:  read_only
        .address_space:  global
        .offset:         32
        .size:           8
        .value_kind:     global_buffer
      - .offset:         40
        .size:           4
        .value_kind:     by_value
      - .offset:         44
        .size:           4
        .value_kind:     by_value
      - .actual_access:  read_only
        .address_space:  global
        .offset:         48
        .size:           8
        .value_kind:     global_buffer
      - .offset:         56
        .size:           8
        .value_kind:     by_value
      - .address_space:  global
        .offset:         64
        .size:           8
        .value_kind:     global_buffer
      - .offset:         72
        .size:           4
        .value_kind:     by_value
      - .offset:         76
        .size:           1
        .value_kind:     by_value
    .group_segment_fixed_size: 0
    .kernarg_segment_align: 8
    .kernarg_segment_size: 80
    .language:       OpenCL C
    .language_version:
      - 2
      - 0
    .max_flat_workgroup_size: 64
    .name:           _ZN9rocsparseL23gebsrmvn_general_kernelILj64ELj16EfEEvi20rocsparse_direction_NS_24const_host_device_scalarIT1_EEPKiS6_PKS3_iiS8_S4_PS3_21rocsparse_index_base_b
    .private_segment_fixed_size: 0
    .sgpr_count:     44
    .sgpr_spill_count: 0
    .symbol:         _ZN9rocsparseL23gebsrmvn_general_kernelILj64ELj16EfEEvi20rocsparse_direction_NS_24const_host_device_scalarIT1_EEPKiS6_PKS3_iiS8_S4_PS3_21rocsparse_index_base_b.kd
    .uniform_work_group_size: 1
    .uses_dynamic_stack: false
    .vgpr_count:     10
    .vgpr_spill_count: 0
    .wavefront_size: 64
  - .args:
      - .offset:         0
        .size:           4
        .value_kind:     by_value
      - .offset:         4
        .size:           4
        .value_kind:     by_value
      - .offset:         8
        .size:           8
        .value_kind:     by_value
      - .actual_access:  read_only
        .address_space:  global
        .offset:         16
        .size:           8
        .value_kind:     global_buffer
      - .actual_access:  read_only
        .address_space:  global
        .offset:         24
        .size:           8
        .value_kind:     global_buffer
      - .actual_access:  read_only
        .address_space:  global
        .offset:         32
        .size:           8
        .value_kind:     global_buffer
      - .offset:         40
        .size:           4
        .value_kind:     by_value
      - .offset:         44
        .size:           4
        .value_kind:     by_value
      - .actual_access:  read_only
        .address_space:  global
        .offset:         48
        .size:           8
        .value_kind:     global_buffer
      - .offset:         56
        .size:           8
        .value_kind:     by_value
      - .address_space:  global
        .offset:         64
        .size:           8
        .value_kind:     global_buffer
      - .offset:         72
        .size:           4
        .value_kind:     by_value
      - .offset:         76
        .size:           1
        .value_kind:     by_value
    .group_segment_fixed_size: 0
    .kernarg_segment_align: 8
    .kernarg_segment_size: 80
    .language:       OpenCL C
    .language_version:
      - 2
      - 0
    .max_flat_workgroup_size: 128
    .name:           _ZN9rocsparseL23gebsrmvn_general_kernelILj128ELj32EfEEvi20rocsparse_direction_NS_24const_host_device_scalarIT1_EEPKiS6_PKS3_iiS8_S4_PS3_21rocsparse_index_base_b
    .private_segment_fixed_size: 0
    .sgpr_count:     44
    .sgpr_spill_count: 0
    .symbol:         _ZN9rocsparseL23gebsrmvn_general_kernelILj128ELj32EfEEvi20rocsparse_direction_NS_24const_host_device_scalarIT1_EEPKiS6_PKS3_iiS8_S4_PS3_21rocsparse_index_base_b.kd
    .uniform_work_group_size: 1
    .uses_dynamic_stack: false
    .vgpr_count:     10
    .vgpr_spill_count: 0
    .wavefront_size: 64
  - .args:
      - .offset:         0
        .size:           4
        .value_kind:     by_value
      - .offset:         4
        .size:           4
        .value_kind:     by_value
      - .offset:         8
        .size:           8
        .value_kind:     by_value
      - .actual_access:  read_only
        .address_space:  global
        .offset:         16
        .size:           8
        .value_kind:     global_buffer
      - .actual_access:  read_only
        .address_space:  global
        .offset:         24
        .size:           8
        .value_kind:     global_buffer
      - .actual_access:  read_only
        .address_space:  global
        .offset:         32
        .size:           8
        .value_kind:     global_buffer
      - .actual_access:  read_only
        .address_space:  global
        .offset:         40
        .size:           8
        .value_kind:     global_buffer
      - .offset:         48
        .size:           8
        .value_kind:     by_value
      - .address_space:  global
        .offset:         56
        .size:           8
        .value_kind:     global_buffer
      - .offset:         64
        .size:           4
        .value_kind:     by_value
      - .offset:         68
        .size:           1
        .value_kind:     by_value
    .group_segment_fixed_size: 0
    .kernarg_segment_align: 8
    .kernarg_segment_size: 72
    .language:       OpenCL C
    .language_version:
      - 2
      - 0
    .max_flat_workgroup_size: 128
    .name:           _ZN9rocsparseL19gebsrmvn_4xn_kernelILj128ELj1ELj4EdEEvi20rocsparse_direction_NS_24const_host_device_scalarIT2_EEPKiS6_PKS3_S8_S4_PS3_21rocsparse_index_base_b
    .private_segment_fixed_size: 0
    .sgpr_count:     20
    .sgpr_spill_count: 0
    .symbol:         _ZN9rocsparseL19gebsrmvn_4xn_kernelILj128ELj1ELj4EdEEvi20rocsparse_direction_NS_24const_host_device_scalarIT2_EEPKiS6_PKS3_S8_S4_PS3_21rocsparse_index_base_b.kd
    .uniform_work_group_size: 1
    .uses_dynamic_stack: false
    .vgpr_count:     35
    .vgpr_spill_count: 0
    .wavefront_size: 64
  - .args:
      - .offset:         0
        .size:           4
        .value_kind:     by_value
      - .offset:         4
        .size:           4
        .value_kind:     by_value
      - .offset:         8
        .size:           8
        .value_kind:     by_value
      - .actual_access:  read_only
        .address_space:  global
        .offset:         16
        .size:           8
        .value_kind:     global_buffer
      - .actual_access:  read_only
        .address_space:  global
        .offset:         24
        .size:           8
        .value_kind:     global_buffer
      - .actual_access:  read_only
        .address_space:  global
        .offset:         32
        .size:           8
        .value_kind:     global_buffer
      - .actual_access:  read_only
        .address_space:  global
        .offset:         40
        .size:           8
        .value_kind:     global_buffer
      - .offset:         48
        .size:           8
        .value_kind:     by_value
      - .address_space:  global
        .offset:         56
        .size:           8
        .value_kind:     global_buffer
      - .offset:         64
        .size:           4
        .value_kind:     by_value
      - .offset:         68
        .size:           1
        .value_kind:     by_value
    .group_segment_fixed_size: 0
    .kernarg_segment_align: 8
    .kernarg_segment_size: 72
    .language:       OpenCL C
    .language_version:
      - 2
      - 0
    .max_flat_workgroup_size: 128
    .name:           _ZN9rocsparseL19gebsrmvn_4xn_kernelILj128ELj1ELj8EdEEvi20rocsparse_direction_NS_24const_host_device_scalarIT2_EEPKiS6_PKS3_S8_S4_PS3_21rocsparse_index_base_b
    .private_segment_fixed_size: 0
    .sgpr_count:     20
    .sgpr_spill_count: 0
    .symbol:         _ZN9rocsparseL19gebsrmvn_4xn_kernelILj128ELj1ELj8EdEEvi20rocsparse_direction_NS_24const_host_device_scalarIT2_EEPKiS6_PKS3_S8_S4_PS3_21rocsparse_index_base_b.kd
    .uniform_work_group_size: 1
    .uses_dynamic_stack: false
    .vgpr_count:     35
    .vgpr_spill_count: 0
    .wavefront_size: 64
  - .args:
      - .offset:         0
        .size:           4
        .value_kind:     by_value
      - .offset:         4
        .size:           4
        .value_kind:     by_value
      - .offset:         8
        .size:           8
        .value_kind:     by_value
      - .actual_access:  read_only
        .address_space:  global
        .offset:         16
        .size:           8
        .value_kind:     global_buffer
      - .actual_access:  read_only
        .address_space:  global
        .offset:         24
        .size:           8
        .value_kind:     global_buffer
      - .actual_access:  read_only
        .address_space:  global
        .offset:         32
        .size:           8
        .value_kind:     global_buffer
      - .actual_access:  read_only
        .address_space:  global
        .offset:         40
        .size:           8
        .value_kind:     global_buffer
      - .offset:         48
        .size:           8
        .value_kind:     by_value
      - .address_space:  global
        .offset:         56
        .size:           8
        .value_kind:     global_buffer
      - .offset:         64
        .size:           4
        .value_kind:     by_value
      - .offset:         68
        .size:           1
        .value_kind:     by_value
    .group_segment_fixed_size: 0
    .kernarg_segment_align: 8
    .kernarg_segment_size: 72
    .language:       OpenCL C
    .language_version:
      - 2
      - 0
    .max_flat_workgroup_size: 128
    .name:           _ZN9rocsparseL19gebsrmvn_4xn_kernelILj128ELj1ELj16EdEEvi20rocsparse_direction_NS_24const_host_device_scalarIT2_EEPKiS6_PKS3_S8_S4_PS3_21rocsparse_index_base_b
    .private_segment_fixed_size: 0
    .sgpr_count:     20
    .sgpr_spill_count: 0
    .symbol:         _ZN9rocsparseL19gebsrmvn_4xn_kernelILj128ELj1ELj16EdEEvi20rocsparse_direction_NS_24const_host_device_scalarIT2_EEPKiS6_PKS3_S8_S4_PS3_21rocsparse_index_base_b.kd
    .uniform_work_group_size: 1
    .uses_dynamic_stack: false
    .vgpr_count:     35
    .vgpr_spill_count: 0
    .wavefront_size: 64
  - .args:
      - .offset:         0
        .size:           4
        .value_kind:     by_value
      - .offset:         4
        .size:           4
        .value_kind:     by_value
      - .offset:         8
        .size:           8
        .value_kind:     by_value
      - .actual_access:  read_only
        .address_space:  global
        .offset:         16
        .size:           8
        .value_kind:     global_buffer
      - .actual_access:  read_only
        .address_space:  global
        .offset:         24
        .size:           8
        .value_kind:     global_buffer
      - .actual_access:  read_only
        .address_space:  global
        .offset:         32
        .size:           8
        .value_kind:     global_buffer
      - .actual_access:  read_only
        .address_space:  global
        .offset:         40
        .size:           8
        .value_kind:     global_buffer
      - .offset:         48
        .size:           8
        .value_kind:     by_value
      - .address_space:  global
        .offset:         56
        .size:           8
        .value_kind:     global_buffer
      - .offset:         64
        .size:           4
        .value_kind:     by_value
      - .offset:         68
        .size:           1
        .value_kind:     by_value
    .group_segment_fixed_size: 0
    .kernarg_segment_align: 8
    .kernarg_segment_size: 72
    .language:       OpenCL C
    .language_version:
      - 2
      - 0
    .max_flat_workgroup_size: 128
    .name:           _ZN9rocsparseL19gebsrmvn_4xn_kernelILj128ELj1ELj32EdEEvi20rocsparse_direction_NS_24const_host_device_scalarIT2_EEPKiS6_PKS3_S8_S4_PS3_21rocsparse_index_base_b
    .private_segment_fixed_size: 0
    .sgpr_count:     20
    .sgpr_spill_count: 0
    .symbol:         _ZN9rocsparseL19gebsrmvn_4xn_kernelILj128ELj1ELj32EdEEvi20rocsparse_direction_NS_24const_host_device_scalarIT2_EEPKiS6_PKS3_S8_S4_PS3_21rocsparse_index_base_b.kd
    .uniform_work_group_size: 1
    .uses_dynamic_stack: false
    .vgpr_count:     35
    .vgpr_spill_count: 0
    .wavefront_size: 64
  - .args:
      - .offset:         0
        .size:           4
        .value_kind:     by_value
      - .offset:         4
        .size:           4
        .value_kind:     by_value
      - .offset:         8
        .size:           8
        .value_kind:     by_value
      - .actual_access:  read_only
        .address_space:  global
        .offset:         16
        .size:           8
        .value_kind:     global_buffer
      - .actual_access:  read_only
        .address_space:  global
        .offset:         24
        .size:           8
        .value_kind:     global_buffer
      - .actual_access:  read_only
        .address_space:  global
        .offset:         32
        .size:           8
        .value_kind:     global_buffer
      - .actual_access:  read_only
        .address_space:  global
        .offset:         40
        .size:           8
        .value_kind:     global_buffer
      - .offset:         48
        .size:           8
        .value_kind:     by_value
      - .address_space:  global
        .offset:         56
        .size:           8
        .value_kind:     global_buffer
      - .offset:         64
        .size:           4
        .value_kind:     by_value
      - .offset:         68
        .size:           1
        .value_kind:     by_value
    .group_segment_fixed_size: 0
    .kernarg_segment_align: 8
    .kernarg_segment_size: 72
    .language:       OpenCL C
    .language_version:
      - 2
      - 0
    .max_flat_workgroup_size: 128
    .name:           _ZN9rocsparseL19gebsrmvn_4xn_kernelILj128ELj1ELj64EdEEvi20rocsparse_direction_NS_24const_host_device_scalarIT2_EEPKiS6_PKS3_S8_S4_PS3_21rocsparse_index_base_b
    .private_segment_fixed_size: 0
    .sgpr_count:     20
    .sgpr_spill_count: 0
    .symbol:         _ZN9rocsparseL19gebsrmvn_4xn_kernelILj128ELj1ELj64EdEEvi20rocsparse_direction_NS_24const_host_device_scalarIT2_EEPKiS6_PKS3_S8_S4_PS3_21rocsparse_index_base_b.kd
    .uniform_work_group_size: 1
    .uses_dynamic_stack: false
    .vgpr_count:     35
    .vgpr_spill_count: 0
    .wavefront_size: 64
  - .args:
      - .offset:         0
        .size:           4
        .value_kind:     by_value
      - .offset:         4
        .size:           4
        .value_kind:     by_value
      - .offset:         8
        .size:           8
        .value_kind:     by_value
      - .actual_access:  read_only
        .address_space:  global
        .offset:         16
        .size:           8
        .value_kind:     global_buffer
      - .actual_access:  read_only
        .address_space:  global
        .offset:         24
        .size:           8
        .value_kind:     global_buffer
      - .actual_access:  read_only
        .address_space:  global
        .offset:         32
        .size:           8
        .value_kind:     global_buffer
      - .actual_access:  read_only
        .address_space:  global
        .offset:         40
        .size:           8
        .value_kind:     global_buffer
      - .offset:         48
        .size:           8
        .value_kind:     by_value
      - .address_space:  global
        .offset:         56
        .size:           8
        .value_kind:     global_buffer
      - .offset:         64
        .size:           4
        .value_kind:     by_value
      - .offset:         68
        .size:           1
        .value_kind:     by_value
    .group_segment_fixed_size: 0
    .kernarg_segment_align: 8
    .kernarg_segment_size: 72
    .language:       OpenCL C
    .language_version:
      - 2
      - 0
    .max_flat_workgroup_size: 128
    .name:           _ZN9rocsparseL19gebsrmvn_4xn_kernelILj128ELj2ELj4EdEEvi20rocsparse_direction_NS_24const_host_device_scalarIT2_EEPKiS6_PKS3_S8_S4_PS3_21rocsparse_index_base_b
    .private_segment_fixed_size: 0
    .sgpr_count:     20
    .sgpr_spill_count: 0
    .symbol:         _ZN9rocsparseL19gebsrmvn_4xn_kernelILj128ELj2ELj4EdEEvi20rocsparse_direction_NS_24const_host_device_scalarIT2_EEPKiS6_PKS3_S8_S4_PS3_21rocsparse_index_base_b.kd
    .uniform_work_group_size: 1
    .uses_dynamic_stack: false
    .vgpr_count:     47
    .vgpr_spill_count: 0
    .wavefront_size: 64
  - .args:
      - .offset:         0
        .size:           4
        .value_kind:     by_value
      - .offset:         4
        .size:           4
        .value_kind:     by_value
      - .offset:         8
        .size:           8
        .value_kind:     by_value
      - .actual_access:  read_only
        .address_space:  global
        .offset:         16
        .size:           8
        .value_kind:     global_buffer
      - .actual_access:  read_only
        .address_space:  global
        .offset:         24
        .size:           8
        .value_kind:     global_buffer
      - .actual_access:  read_only
        .address_space:  global
        .offset:         32
        .size:           8
        .value_kind:     global_buffer
      - .actual_access:  read_only
        .address_space:  global
        .offset:         40
        .size:           8
        .value_kind:     global_buffer
      - .offset:         48
        .size:           8
        .value_kind:     by_value
      - .address_space:  global
        .offset:         56
        .size:           8
        .value_kind:     global_buffer
      - .offset:         64
        .size:           4
        .value_kind:     by_value
      - .offset:         68
        .size:           1
        .value_kind:     by_value
    .group_segment_fixed_size: 0
    .kernarg_segment_align: 8
    .kernarg_segment_size: 72
    .language:       OpenCL C
    .language_version:
      - 2
      - 0
    .max_flat_workgroup_size: 128
    .name:           _ZN9rocsparseL19gebsrmvn_4xn_kernelILj128ELj2ELj8EdEEvi20rocsparse_direction_NS_24const_host_device_scalarIT2_EEPKiS6_PKS3_S8_S4_PS3_21rocsparse_index_base_b
    .private_segment_fixed_size: 0
    .sgpr_count:     20
    .sgpr_spill_count: 0
    .symbol:         _ZN9rocsparseL19gebsrmvn_4xn_kernelILj128ELj2ELj8EdEEvi20rocsparse_direction_NS_24const_host_device_scalarIT2_EEPKiS6_PKS3_S8_S4_PS3_21rocsparse_index_base_b.kd
    .uniform_work_group_size: 1
    .uses_dynamic_stack: false
    .vgpr_count:     47
    .vgpr_spill_count: 0
    .wavefront_size: 64
  - .args:
      - .offset:         0
        .size:           4
        .value_kind:     by_value
      - .offset:         4
        .size:           4
        .value_kind:     by_value
      - .offset:         8
        .size:           8
        .value_kind:     by_value
      - .actual_access:  read_only
        .address_space:  global
        .offset:         16
        .size:           8
        .value_kind:     global_buffer
      - .actual_access:  read_only
        .address_space:  global
        .offset:         24
        .size:           8
        .value_kind:     global_buffer
      - .actual_access:  read_only
        .address_space:  global
        .offset:         32
        .size:           8
        .value_kind:     global_buffer
      - .actual_access:  read_only
        .address_space:  global
        .offset:         40
        .size:           8
        .value_kind:     global_buffer
      - .offset:         48
        .size:           8
        .value_kind:     by_value
      - .address_space:  global
        .offset:         56
        .size:           8
        .value_kind:     global_buffer
      - .offset:         64
        .size:           4
        .value_kind:     by_value
      - .offset:         68
        .size:           1
        .value_kind:     by_value
    .group_segment_fixed_size: 0
    .kernarg_segment_align: 8
    .kernarg_segment_size: 72
    .language:       OpenCL C
    .language_version:
      - 2
      - 0
    .max_flat_workgroup_size: 128
    .name:           _ZN9rocsparseL19gebsrmvn_4xn_kernelILj128ELj2ELj16EdEEvi20rocsparse_direction_NS_24const_host_device_scalarIT2_EEPKiS6_PKS3_S8_S4_PS3_21rocsparse_index_base_b
    .private_segment_fixed_size: 0
    .sgpr_count:     20
    .sgpr_spill_count: 0
    .symbol:         _ZN9rocsparseL19gebsrmvn_4xn_kernelILj128ELj2ELj16EdEEvi20rocsparse_direction_NS_24const_host_device_scalarIT2_EEPKiS6_PKS3_S8_S4_PS3_21rocsparse_index_base_b.kd
    .uniform_work_group_size: 1
    .uses_dynamic_stack: false
    .vgpr_count:     47
    .vgpr_spill_count: 0
    .wavefront_size: 64
  - .args:
      - .offset:         0
        .size:           4
        .value_kind:     by_value
      - .offset:         4
        .size:           4
        .value_kind:     by_value
      - .offset:         8
        .size:           8
        .value_kind:     by_value
      - .actual_access:  read_only
        .address_space:  global
        .offset:         16
        .size:           8
        .value_kind:     global_buffer
      - .actual_access:  read_only
        .address_space:  global
        .offset:         24
        .size:           8
        .value_kind:     global_buffer
      - .actual_access:  read_only
        .address_space:  global
        .offset:         32
        .size:           8
        .value_kind:     global_buffer
      - .actual_access:  read_only
        .address_space:  global
        .offset:         40
        .size:           8
        .value_kind:     global_buffer
      - .offset:         48
        .size:           8
        .value_kind:     by_value
      - .address_space:  global
        .offset:         56
        .size:           8
        .value_kind:     global_buffer
      - .offset:         64
        .size:           4
        .value_kind:     by_value
      - .offset:         68
        .size:           1
        .value_kind:     by_value
    .group_segment_fixed_size: 0
    .kernarg_segment_align: 8
    .kernarg_segment_size: 72
    .language:       OpenCL C
    .language_version:
      - 2
      - 0
    .max_flat_workgroup_size: 128
    .name:           _ZN9rocsparseL19gebsrmvn_4xn_kernelILj128ELj2ELj32EdEEvi20rocsparse_direction_NS_24const_host_device_scalarIT2_EEPKiS6_PKS3_S8_S4_PS3_21rocsparse_index_base_b
    .private_segment_fixed_size: 0
    .sgpr_count:     20
    .sgpr_spill_count: 0
    .symbol:         _ZN9rocsparseL19gebsrmvn_4xn_kernelILj128ELj2ELj32EdEEvi20rocsparse_direction_NS_24const_host_device_scalarIT2_EEPKiS6_PKS3_S8_S4_PS3_21rocsparse_index_base_b.kd
    .uniform_work_group_size: 1
    .uses_dynamic_stack: false
    .vgpr_count:     47
    .vgpr_spill_count: 0
    .wavefront_size: 64
  - .args:
      - .offset:         0
        .size:           4
        .value_kind:     by_value
      - .offset:         4
        .size:           4
        .value_kind:     by_value
      - .offset:         8
        .size:           8
        .value_kind:     by_value
      - .actual_access:  read_only
        .address_space:  global
        .offset:         16
        .size:           8
        .value_kind:     global_buffer
      - .actual_access:  read_only
        .address_space:  global
        .offset:         24
        .size:           8
        .value_kind:     global_buffer
      - .actual_access:  read_only
        .address_space:  global
        .offset:         32
        .size:           8
        .value_kind:     global_buffer
      - .actual_access:  read_only
        .address_space:  global
        .offset:         40
        .size:           8
        .value_kind:     global_buffer
      - .offset:         48
        .size:           8
        .value_kind:     by_value
      - .address_space:  global
        .offset:         56
        .size:           8
        .value_kind:     global_buffer
      - .offset:         64
        .size:           4
        .value_kind:     by_value
      - .offset:         68
        .size:           1
        .value_kind:     by_value
    .group_segment_fixed_size: 0
    .kernarg_segment_align: 8
    .kernarg_segment_size: 72
    .language:       OpenCL C
    .language_version:
      - 2
      - 0
    .max_flat_workgroup_size: 128
    .name:           _ZN9rocsparseL19gebsrmvn_4xn_kernelILj128ELj2ELj64EdEEvi20rocsparse_direction_NS_24const_host_device_scalarIT2_EEPKiS6_PKS3_S8_S4_PS3_21rocsparse_index_base_b
    .private_segment_fixed_size: 0
    .sgpr_count:     20
    .sgpr_spill_count: 0
    .symbol:         _ZN9rocsparseL19gebsrmvn_4xn_kernelILj128ELj2ELj64EdEEvi20rocsparse_direction_NS_24const_host_device_scalarIT2_EEPKiS6_PKS3_S8_S4_PS3_21rocsparse_index_base_b.kd
    .uniform_work_group_size: 1
    .uses_dynamic_stack: false
    .vgpr_count:     47
    .vgpr_spill_count: 0
    .wavefront_size: 64
  - .args:
      - .offset:         0
        .size:           4
        .value_kind:     by_value
      - .offset:         4
        .size:           4
        .value_kind:     by_value
      - .offset:         8
        .size:           8
        .value_kind:     by_value
      - .actual_access:  read_only
        .address_space:  global
        .offset:         16
        .size:           8
        .value_kind:     global_buffer
      - .actual_access:  read_only
        .address_space:  global
        .offset:         24
        .size:           8
        .value_kind:     global_buffer
      - .actual_access:  read_only
        .address_space:  global
        .offset:         32
        .size:           8
        .value_kind:     global_buffer
      - .actual_access:  read_only
        .address_space:  global
        .offset:         40
        .size:           8
        .value_kind:     global_buffer
      - .offset:         48
        .size:           8
        .value_kind:     by_value
      - .address_space:  global
        .offset:         56
        .size:           8
        .value_kind:     global_buffer
      - .offset:         64
        .size:           4
        .value_kind:     by_value
      - .offset:         68
        .size:           1
        .value_kind:     by_value
    .group_segment_fixed_size: 0
    .kernarg_segment_align: 8
    .kernarg_segment_size: 72
    .language:       OpenCL C
    .language_version:
      - 2
      - 0
    .max_flat_workgroup_size: 128
    .name:           _ZN9rocsparseL19gebsrmvn_4xn_kernelILj128ELj3ELj4EdEEvi20rocsparse_direction_NS_24const_host_device_scalarIT2_EEPKiS6_PKS3_S8_S4_PS3_21rocsparse_index_base_b
    .private_segment_fixed_size: 0
    .sgpr_count:     20
    .sgpr_spill_count: 0
    .symbol:         _ZN9rocsparseL19gebsrmvn_4xn_kernelILj128ELj3ELj4EdEEvi20rocsparse_direction_NS_24const_host_device_scalarIT2_EEPKiS6_PKS3_S8_S4_PS3_21rocsparse_index_base_b.kd
    .uniform_work_group_size: 1
    .uses_dynamic_stack: false
    .vgpr_count:     56
    .vgpr_spill_count: 0
    .wavefront_size: 64
  - .args:
      - .offset:         0
        .size:           4
        .value_kind:     by_value
      - .offset:         4
        .size:           4
        .value_kind:     by_value
      - .offset:         8
        .size:           8
        .value_kind:     by_value
      - .actual_access:  read_only
        .address_space:  global
        .offset:         16
        .size:           8
        .value_kind:     global_buffer
      - .actual_access:  read_only
        .address_space:  global
        .offset:         24
        .size:           8
        .value_kind:     global_buffer
      - .actual_access:  read_only
        .address_space:  global
        .offset:         32
        .size:           8
        .value_kind:     global_buffer
      - .actual_access:  read_only
        .address_space:  global
        .offset:         40
        .size:           8
        .value_kind:     global_buffer
      - .offset:         48
        .size:           8
        .value_kind:     by_value
      - .address_space:  global
        .offset:         56
        .size:           8
        .value_kind:     global_buffer
      - .offset:         64
        .size:           4
        .value_kind:     by_value
      - .offset:         68
        .size:           1
        .value_kind:     by_value
    .group_segment_fixed_size: 0
    .kernarg_segment_align: 8
    .kernarg_segment_size: 72
    .language:       OpenCL C
    .language_version:
      - 2
      - 0
    .max_flat_workgroup_size: 128
    .name:           _ZN9rocsparseL19gebsrmvn_4xn_kernelILj128ELj3ELj8EdEEvi20rocsparse_direction_NS_24const_host_device_scalarIT2_EEPKiS6_PKS3_S8_S4_PS3_21rocsparse_index_base_b
    .private_segment_fixed_size: 0
    .sgpr_count:     20
    .sgpr_spill_count: 0
    .symbol:         _ZN9rocsparseL19gebsrmvn_4xn_kernelILj128ELj3ELj8EdEEvi20rocsparse_direction_NS_24const_host_device_scalarIT2_EEPKiS6_PKS3_S8_S4_PS3_21rocsparse_index_base_b.kd
    .uniform_work_group_size: 1
    .uses_dynamic_stack: false
    .vgpr_count:     56
    .vgpr_spill_count: 0
    .wavefront_size: 64
  - .args:
      - .offset:         0
        .size:           4
        .value_kind:     by_value
      - .offset:         4
        .size:           4
        .value_kind:     by_value
      - .offset:         8
        .size:           8
        .value_kind:     by_value
      - .actual_access:  read_only
        .address_space:  global
        .offset:         16
        .size:           8
        .value_kind:     global_buffer
      - .actual_access:  read_only
        .address_space:  global
        .offset:         24
        .size:           8
        .value_kind:     global_buffer
      - .actual_access:  read_only
        .address_space:  global
        .offset:         32
        .size:           8
        .value_kind:     global_buffer
      - .actual_access:  read_only
        .address_space:  global
        .offset:         40
        .size:           8
        .value_kind:     global_buffer
      - .offset:         48
        .size:           8
        .value_kind:     by_value
      - .address_space:  global
        .offset:         56
        .size:           8
        .value_kind:     global_buffer
      - .offset:         64
        .size:           4
        .value_kind:     by_value
      - .offset:         68
        .size:           1
        .value_kind:     by_value
    .group_segment_fixed_size: 0
    .kernarg_segment_align: 8
    .kernarg_segment_size: 72
    .language:       OpenCL C
    .language_version:
      - 2
      - 0
    .max_flat_workgroup_size: 128
    .name:           _ZN9rocsparseL19gebsrmvn_4xn_kernelILj128ELj3ELj16EdEEvi20rocsparse_direction_NS_24const_host_device_scalarIT2_EEPKiS6_PKS3_S8_S4_PS3_21rocsparse_index_base_b
    .private_segment_fixed_size: 0
    .sgpr_count:     20
    .sgpr_spill_count: 0
    .symbol:         _ZN9rocsparseL19gebsrmvn_4xn_kernelILj128ELj3ELj16EdEEvi20rocsparse_direction_NS_24const_host_device_scalarIT2_EEPKiS6_PKS3_S8_S4_PS3_21rocsparse_index_base_b.kd
    .uniform_work_group_size: 1
    .uses_dynamic_stack: false
    .vgpr_count:     56
    .vgpr_spill_count: 0
    .wavefront_size: 64
  - .args:
      - .offset:         0
        .size:           4
        .value_kind:     by_value
      - .offset:         4
        .size:           4
        .value_kind:     by_value
      - .offset:         8
        .size:           8
        .value_kind:     by_value
      - .actual_access:  read_only
        .address_space:  global
        .offset:         16
        .size:           8
        .value_kind:     global_buffer
      - .actual_access:  read_only
        .address_space:  global
        .offset:         24
        .size:           8
        .value_kind:     global_buffer
      - .actual_access:  read_only
        .address_space:  global
        .offset:         32
        .size:           8
        .value_kind:     global_buffer
      - .actual_access:  read_only
        .address_space:  global
        .offset:         40
        .size:           8
        .value_kind:     global_buffer
      - .offset:         48
        .size:           8
        .value_kind:     by_value
      - .address_space:  global
        .offset:         56
        .size:           8
        .value_kind:     global_buffer
      - .offset:         64
        .size:           4
        .value_kind:     by_value
      - .offset:         68
        .size:           1
        .value_kind:     by_value
    .group_segment_fixed_size: 0
    .kernarg_segment_align: 8
    .kernarg_segment_size: 72
    .language:       OpenCL C
    .language_version:
      - 2
      - 0
    .max_flat_workgroup_size: 128
    .name:           _ZN9rocsparseL19gebsrmvn_4xn_kernelILj128ELj3ELj32EdEEvi20rocsparse_direction_NS_24const_host_device_scalarIT2_EEPKiS6_PKS3_S8_S4_PS3_21rocsparse_index_base_b
    .private_segment_fixed_size: 0
    .sgpr_count:     20
    .sgpr_spill_count: 0
    .symbol:         _ZN9rocsparseL19gebsrmvn_4xn_kernelILj128ELj3ELj32EdEEvi20rocsparse_direction_NS_24const_host_device_scalarIT2_EEPKiS6_PKS3_S8_S4_PS3_21rocsparse_index_base_b.kd
    .uniform_work_group_size: 1
    .uses_dynamic_stack: false
    .vgpr_count:     56
    .vgpr_spill_count: 0
    .wavefront_size: 64
  - .args:
      - .offset:         0
        .size:           4
        .value_kind:     by_value
      - .offset:         4
        .size:           4
        .value_kind:     by_value
      - .offset:         8
        .size:           8
        .value_kind:     by_value
      - .actual_access:  read_only
        .address_space:  global
        .offset:         16
        .size:           8
        .value_kind:     global_buffer
      - .actual_access:  read_only
        .address_space:  global
        .offset:         24
        .size:           8
        .value_kind:     global_buffer
      - .actual_access:  read_only
        .address_space:  global
        .offset:         32
        .size:           8
        .value_kind:     global_buffer
      - .actual_access:  read_only
        .address_space:  global
        .offset:         40
        .size:           8
        .value_kind:     global_buffer
      - .offset:         48
        .size:           8
        .value_kind:     by_value
      - .address_space:  global
        .offset:         56
        .size:           8
        .value_kind:     global_buffer
      - .offset:         64
        .size:           4
        .value_kind:     by_value
      - .offset:         68
        .size:           1
        .value_kind:     by_value
    .group_segment_fixed_size: 0
    .kernarg_segment_align: 8
    .kernarg_segment_size: 72
    .language:       OpenCL C
    .language_version:
      - 2
      - 0
    .max_flat_workgroup_size: 128
    .name:           _ZN9rocsparseL19gebsrmvn_4xn_kernelILj128ELj3ELj64EdEEvi20rocsparse_direction_NS_24const_host_device_scalarIT2_EEPKiS6_PKS3_S8_S4_PS3_21rocsparse_index_base_b
    .private_segment_fixed_size: 0
    .sgpr_count:     20
    .sgpr_spill_count: 0
    .symbol:         _ZN9rocsparseL19gebsrmvn_4xn_kernelILj128ELj3ELj64EdEEvi20rocsparse_direction_NS_24const_host_device_scalarIT2_EEPKiS6_PKS3_S8_S4_PS3_21rocsparse_index_base_b.kd
    .uniform_work_group_size: 1
    .uses_dynamic_stack: false
    .vgpr_count:     56
    .vgpr_spill_count: 0
    .wavefront_size: 64
  - .args:
      - .offset:         0
        .size:           4
        .value_kind:     by_value
      - .offset:         4
        .size:           4
        .value_kind:     by_value
      - .offset:         8
        .size:           8
        .value_kind:     by_value
      - .actual_access:  read_only
        .address_space:  global
        .offset:         16
        .size:           8
        .value_kind:     global_buffer
      - .actual_access:  read_only
        .address_space:  global
        .offset:         24
        .size:           8
        .value_kind:     global_buffer
      - .actual_access:  read_only
        .address_space:  global
        .offset:         32
        .size:           8
        .value_kind:     global_buffer
      - .actual_access:  read_only
        .address_space:  global
        .offset:         40
        .size:           8
        .value_kind:     global_buffer
      - .offset:         48
        .size:           8
        .value_kind:     by_value
      - .address_space:  global
        .offset:         56
        .size:           8
        .value_kind:     global_buffer
      - .offset:         64
        .size:           4
        .value_kind:     by_value
      - .offset:         68
        .size:           1
        .value_kind:     by_value
    .group_segment_fixed_size: 0
    .kernarg_segment_align: 8
    .kernarg_segment_size: 72
    .language:       OpenCL C
    .language_version:
      - 2
      - 0
    .max_flat_workgroup_size: 128
    .name:           _ZN9rocsparseL19gebsrmvn_4xn_kernelILj128ELj5ELj4EdEEvi20rocsparse_direction_NS_24const_host_device_scalarIT2_EEPKiS6_PKS3_S8_S4_PS3_21rocsparse_index_base_b
    .private_segment_fixed_size: 0
    .sgpr_count:     20
    .sgpr_spill_count: 0
    .symbol:         _ZN9rocsparseL19gebsrmvn_4xn_kernelILj128ELj5ELj4EdEEvi20rocsparse_direction_NS_24const_host_device_scalarIT2_EEPKiS6_PKS3_S8_S4_PS3_21rocsparse_index_base_b.kd
    .uniform_work_group_size: 1
    .uses_dynamic_stack: false
    .vgpr_count:     55
    .vgpr_spill_count: 0
    .wavefront_size: 64
  - .args:
      - .offset:         0
        .size:           4
        .value_kind:     by_value
      - .offset:         4
        .size:           4
        .value_kind:     by_value
      - .offset:         8
        .size:           8
        .value_kind:     by_value
      - .actual_access:  read_only
        .address_space:  global
        .offset:         16
        .size:           8
        .value_kind:     global_buffer
      - .actual_access:  read_only
        .address_space:  global
        .offset:         24
        .size:           8
        .value_kind:     global_buffer
      - .actual_access:  read_only
        .address_space:  global
        .offset:         32
        .size:           8
        .value_kind:     global_buffer
      - .actual_access:  read_only
        .address_space:  global
        .offset:         40
        .size:           8
        .value_kind:     global_buffer
      - .offset:         48
        .size:           8
        .value_kind:     by_value
      - .address_space:  global
        .offset:         56
        .size:           8
        .value_kind:     global_buffer
      - .offset:         64
        .size:           4
        .value_kind:     by_value
      - .offset:         68
        .size:           1
        .value_kind:     by_value
    .group_segment_fixed_size: 0
    .kernarg_segment_align: 8
    .kernarg_segment_size: 72
    .language:       OpenCL C
    .language_version:
      - 2
      - 0
    .max_flat_workgroup_size: 128
    .name:           _ZN9rocsparseL19gebsrmvn_4xn_kernelILj128ELj5ELj8EdEEvi20rocsparse_direction_NS_24const_host_device_scalarIT2_EEPKiS6_PKS3_S8_S4_PS3_21rocsparse_index_base_b
    .private_segment_fixed_size: 0
    .sgpr_count:     20
    .sgpr_spill_count: 0
    .symbol:         _ZN9rocsparseL19gebsrmvn_4xn_kernelILj128ELj5ELj8EdEEvi20rocsparse_direction_NS_24const_host_device_scalarIT2_EEPKiS6_PKS3_S8_S4_PS3_21rocsparse_index_base_b.kd
    .uniform_work_group_size: 1
    .uses_dynamic_stack: false
    .vgpr_count:     55
    .vgpr_spill_count: 0
    .wavefront_size: 64
  - .args:
      - .offset:         0
        .size:           4
        .value_kind:     by_value
      - .offset:         4
        .size:           4
        .value_kind:     by_value
      - .offset:         8
        .size:           8
        .value_kind:     by_value
      - .actual_access:  read_only
        .address_space:  global
        .offset:         16
        .size:           8
        .value_kind:     global_buffer
      - .actual_access:  read_only
        .address_space:  global
        .offset:         24
        .size:           8
        .value_kind:     global_buffer
      - .actual_access:  read_only
        .address_space:  global
        .offset:         32
        .size:           8
        .value_kind:     global_buffer
      - .actual_access:  read_only
        .address_space:  global
        .offset:         40
        .size:           8
        .value_kind:     global_buffer
      - .offset:         48
        .size:           8
        .value_kind:     by_value
      - .address_space:  global
        .offset:         56
        .size:           8
        .value_kind:     global_buffer
      - .offset:         64
        .size:           4
        .value_kind:     by_value
      - .offset:         68
        .size:           1
        .value_kind:     by_value
    .group_segment_fixed_size: 0
    .kernarg_segment_align: 8
    .kernarg_segment_size: 72
    .language:       OpenCL C
    .language_version:
      - 2
      - 0
    .max_flat_workgroup_size: 128
    .name:           _ZN9rocsparseL19gebsrmvn_4xn_kernelILj128ELj5ELj16EdEEvi20rocsparse_direction_NS_24const_host_device_scalarIT2_EEPKiS6_PKS3_S8_S4_PS3_21rocsparse_index_base_b
    .private_segment_fixed_size: 0
    .sgpr_count:     20
    .sgpr_spill_count: 0
    .symbol:         _ZN9rocsparseL19gebsrmvn_4xn_kernelILj128ELj5ELj16EdEEvi20rocsparse_direction_NS_24const_host_device_scalarIT2_EEPKiS6_PKS3_S8_S4_PS3_21rocsparse_index_base_b.kd
    .uniform_work_group_size: 1
    .uses_dynamic_stack: false
    .vgpr_count:     55
    .vgpr_spill_count: 0
    .wavefront_size: 64
  - .args:
      - .offset:         0
        .size:           4
        .value_kind:     by_value
      - .offset:         4
        .size:           4
        .value_kind:     by_value
      - .offset:         8
        .size:           8
        .value_kind:     by_value
      - .actual_access:  read_only
        .address_space:  global
        .offset:         16
        .size:           8
        .value_kind:     global_buffer
      - .actual_access:  read_only
        .address_space:  global
        .offset:         24
        .size:           8
        .value_kind:     global_buffer
      - .actual_access:  read_only
        .address_space:  global
        .offset:         32
        .size:           8
        .value_kind:     global_buffer
      - .actual_access:  read_only
        .address_space:  global
        .offset:         40
        .size:           8
        .value_kind:     global_buffer
      - .offset:         48
        .size:           8
        .value_kind:     by_value
      - .address_space:  global
        .offset:         56
        .size:           8
        .value_kind:     global_buffer
      - .offset:         64
        .size:           4
        .value_kind:     by_value
      - .offset:         68
        .size:           1
        .value_kind:     by_value
    .group_segment_fixed_size: 0
    .kernarg_segment_align: 8
    .kernarg_segment_size: 72
    .language:       OpenCL C
    .language_version:
      - 2
      - 0
    .max_flat_workgroup_size: 128
    .name:           _ZN9rocsparseL19gebsrmvn_4xn_kernelILj128ELj5ELj32EdEEvi20rocsparse_direction_NS_24const_host_device_scalarIT2_EEPKiS6_PKS3_S8_S4_PS3_21rocsparse_index_base_b
    .private_segment_fixed_size: 0
    .sgpr_count:     20
    .sgpr_spill_count: 0
    .symbol:         _ZN9rocsparseL19gebsrmvn_4xn_kernelILj128ELj5ELj32EdEEvi20rocsparse_direction_NS_24const_host_device_scalarIT2_EEPKiS6_PKS3_S8_S4_PS3_21rocsparse_index_base_b.kd
    .uniform_work_group_size: 1
    .uses_dynamic_stack: false
    .vgpr_count:     55
    .vgpr_spill_count: 0
    .wavefront_size: 64
  - .args:
      - .offset:         0
        .size:           4
        .value_kind:     by_value
      - .offset:         4
        .size:           4
        .value_kind:     by_value
      - .offset:         8
        .size:           8
        .value_kind:     by_value
      - .actual_access:  read_only
        .address_space:  global
        .offset:         16
        .size:           8
        .value_kind:     global_buffer
      - .actual_access:  read_only
        .address_space:  global
        .offset:         24
        .size:           8
        .value_kind:     global_buffer
      - .actual_access:  read_only
        .address_space:  global
        .offset:         32
        .size:           8
        .value_kind:     global_buffer
      - .actual_access:  read_only
        .address_space:  global
        .offset:         40
        .size:           8
        .value_kind:     global_buffer
      - .offset:         48
        .size:           8
        .value_kind:     by_value
      - .address_space:  global
        .offset:         56
        .size:           8
        .value_kind:     global_buffer
      - .offset:         64
        .size:           4
        .value_kind:     by_value
      - .offset:         68
        .size:           1
        .value_kind:     by_value
    .group_segment_fixed_size: 0
    .kernarg_segment_align: 8
    .kernarg_segment_size: 72
    .language:       OpenCL C
    .language_version:
      - 2
      - 0
    .max_flat_workgroup_size: 128
    .name:           _ZN9rocsparseL19gebsrmvn_4xn_kernelILj128ELj5ELj64EdEEvi20rocsparse_direction_NS_24const_host_device_scalarIT2_EEPKiS6_PKS3_S8_S4_PS3_21rocsparse_index_base_b
    .private_segment_fixed_size: 0
    .sgpr_count:     20
    .sgpr_spill_count: 0
    .symbol:         _ZN9rocsparseL19gebsrmvn_4xn_kernelILj128ELj5ELj64EdEEvi20rocsparse_direction_NS_24const_host_device_scalarIT2_EEPKiS6_PKS3_S8_S4_PS3_21rocsparse_index_base_b.kd
    .uniform_work_group_size: 1
    .uses_dynamic_stack: false
    .vgpr_count:     55
    .vgpr_spill_count: 0
    .wavefront_size: 64
  - .args:
      - .offset:         0
        .size:           4
        .value_kind:     by_value
      - .offset:         4
        .size:           4
        .value_kind:     by_value
      - .offset:         8
        .size:           8
        .value_kind:     by_value
      - .actual_access:  read_only
        .address_space:  global
        .offset:         16
        .size:           8
        .value_kind:     global_buffer
      - .actual_access:  read_only
        .address_space:  global
        .offset:         24
        .size:           8
        .value_kind:     global_buffer
      - .actual_access:  read_only
        .address_space:  global
        .offset:         32
        .size:           8
        .value_kind:     global_buffer
      - .actual_access:  read_only
        .address_space:  global
        .offset:         40
        .size:           8
        .value_kind:     global_buffer
      - .offset:         48
        .size:           8
        .value_kind:     by_value
      - .address_space:  global
        .offset:         56
        .size:           8
        .value_kind:     global_buffer
      - .offset:         64
        .size:           4
        .value_kind:     by_value
      - .offset:         68
        .size:           1
        .value_kind:     by_value
    .group_segment_fixed_size: 0
    .kernarg_segment_align: 8
    .kernarg_segment_size: 72
    .language:       OpenCL C
    .language_version:
      - 2
      - 0
    .max_flat_workgroup_size: 128
    .name:           _ZN9rocsparseL19gebsrmvn_4xn_kernelILj128ELj6ELj4EdEEvi20rocsparse_direction_NS_24const_host_device_scalarIT2_EEPKiS6_PKS3_S8_S4_PS3_21rocsparse_index_base_b
    .private_segment_fixed_size: 0
    .sgpr_count:     22
    .sgpr_spill_count: 0
    .symbol:         _ZN9rocsparseL19gebsrmvn_4xn_kernelILj128ELj6ELj4EdEEvi20rocsparse_direction_NS_24const_host_device_scalarIT2_EEPKiS6_PKS3_S8_S4_PS3_21rocsparse_index_base_b.kd
    .uniform_work_group_size: 1
    .uses_dynamic_stack: false
    .vgpr_count:     66
    .vgpr_spill_count: 0
    .wavefront_size: 64
  - .args:
      - .offset:         0
        .size:           4
        .value_kind:     by_value
      - .offset:         4
        .size:           4
        .value_kind:     by_value
      - .offset:         8
        .size:           8
        .value_kind:     by_value
      - .actual_access:  read_only
        .address_space:  global
        .offset:         16
        .size:           8
        .value_kind:     global_buffer
      - .actual_access:  read_only
        .address_space:  global
        .offset:         24
        .size:           8
        .value_kind:     global_buffer
      - .actual_access:  read_only
        .address_space:  global
        .offset:         32
        .size:           8
        .value_kind:     global_buffer
      - .actual_access:  read_only
        .address_space:  global
        .offset:         40
        .size:           8
        .value_kind:     global_buffer
      - .offset:         48
        .size:           8
        .value_kind:     by_value
      - .address_space:  global
        .offset:         56
        .size:           8
        .value_kind:     global_buffer
      - .offset:         64
        .size:           4
        .value_kind:     by_value
      - .offset:         68
        .size:           1
        .value_kind:     by_value
    .group_segment_fixed_size: 0
    .kernarg_segment_align: 8
    .kernarg_segment_size: 72
    .language:       OpenCL C
    .language_version:
      - 2
      - 0
    .max_flat_workgroup_size: 128
    .name:           _ZN9rocsparseL19gebsrmvn_4xn_kernelILj128ELj6ELj8EdEEvi20rocsparse_direction_NS_24const_host_device_scalarIT2_EEPKiS6_PKS3_S8_S4_PS3_21rocsparse_index_base_b
    .private_segment_fixed_size: 0
    .sgpr_count:     22
    .sgpr_spill_count: 0
    .symbol:         _ZN9rocsparseL19gebsrmvn_4xn_kernelILj128ELj6ELj8EdEEvi20rocsparse_direction_NS_24const_host_device_scalarIT2_EEPKiS6_PKS3_S8_S4_PS3_21rocsparse_index_base_b.kd
    .uniform_work_group_size: 1
    .uses_dynamic_stack: false
    .vgpr_count:     66
    .vgpr_spill_count: 0
    .wavefront_size: 64
  - .args:
      - .offset:         0
        .size:           4
        .value_kind:     by_value
      - .offset:         4
        .size:           4
        .value_kind:     by_value
      - .offset:         8
        .size:           8
        .value_kind:     by_value
      - .actual_access:  read_only
        .address_space:  global
        .offset:         16
        .size:           8
        .value_kind:     global_buffer
      - .actual_access:  read_only
        .address_space:  global
        .offset:         24
        .size:           8
        .value_kind:     global_buffer
      - .actual_access:  read_only
        .address_space:  global
        .offset:         32
        .size:           8
        .value_kind:     global_buffer
      - .actual_access:  read_only
        .address_space:  global
        .offset:         40
        .size:           8
        .value_kind:     global_buffer
      - .offset:         48
        .size:           8
        .value_kind:     by_value
      - .address_space:  global
        .offset:         56
        .size:           8
        .value_kind:     global_buffer
      - .offset:         64
        .size:           4
        .value_kind:     by_value
      - .offset:         68
        .size:           1
        .value_kind:     by_value
    .group_segment_fixed_size: 0
    .kernarg_segment_align: 8
    .kernarg_segment_size: 72
    .language:       OpenCL C
    .language_version:
      - 2
      - 0
    .max_flat_workgroup_size: 128
    .name:           _ZN9rocsparseL19gebsrmvn_4xn_kernelILj128ELj6ELj16EdEEvi20rocsparse_direction_NS_24const_host_device_scalarIT2_EEPKiS6_PKS3_S8_S4_PS3_21rocsparse_index_base_b
    .private_segment_fixed_size: 0
    .sgpr_count:     22
    .sgpr_spill_count: 0
    .symbol:         _ZN9rocsparseL19gebsrmvn_4xn_kernelILj128ELj6ELj16EdEEvi20rocsparse_direction_NS_24const_host_device_scalarIT2_EEPKiS6_PKS3_S8_S4_PS3_21rocsparse_index_base_b.kd
    .uniform_work_group_size: 1
    .uses_dynamic_stack: false
    .vgpr_count:     66
    .vgpr_spill_count: 0
    .wavefront_size: 64
  - .args:
      - .offset:         0
        .size:           4
        .value_kind:     by_value
      - .offset:         4
        .size:           4
        .value_kind:     by_value
      - .offset:         8
        .size:           8
        .value_kind:     by_value
      - .actual_access:  read_only
        .address_space:  global
        .offset:         16
        .size:           8
        .value_kind:     global_buffer
      - .actual_access:  read_only
        .address_space:  global
        .offset:         24
        .size:           8
        .value_kind:     global_buffer
      - .actual_access:  read_only
        .address_space:  global
        .offset:         32
        .size:           8
        .value_kind:     global_buffer
      - .actual_access:  read_only
        .address_space:  global
        .offset:         40
        .size:           8
        .value_kind:     global_buffer
      - .offset:         48
        .size:           8
        .value_kind:     by_value
      - .address_space:  global
        .offset:         56
        .size:           8
        .value_kind:     global_buffer
      - .offset:         64
        .size:           4
        .value_kind:     by_value
      - .offset:         68
        .size:           1
        .value_kind:     by_value
    .group_segment_fixed_size: 0
    .kernarg_segment_align: 8
    .kernarg_segment_size: 72
    .language:       OpenCL C
    .language_version:
      - 2
      - 0
    .max_flat_workgroup_size: 128
    .name:           _ZN9rocsparseL19gebsrmvn_4xn_kernelILj128ELj6ELj32EdEEvi20rocsparse_direction_NS_24const_host_device_scalarIT2_EEPKiS6_PKS3_S8_S4_PS3_21rocsparse_index_base_b
    .private_segment_fixed_size: 0
    .sgpr_count:     22
    .sgpr_spill_count: 0
    .symbol:         _ZN9rocsparseL19gebsrmvn_4xn_kernelILj128ELj6ELj32EdEEvi20rocsparse_direction_NS_24const_host_device_scalarIT2_EEPKiS6_PKS3_S8_S4_PS3_21rocsparse_index_base_b.kd
    .uniform_work_group_size: 1
    .uses_dynamic_stack: false
    .vgpr_count:     66
    .vgpr_spill_count: 0
    .wavefront_size: 64
  - .args:
      - .offset:         0
        .size:           4
        .value_kind:     by_value
      - .offset:         4
        .size:           4
        .value_kind:     by_value
      - .offset:         8
        .size:           8
        .value_kind:     by_value
      - .actual_access:  read_only
        .address_space:  global
        .offset:         16
        .size:           8
        .value_kind:     global_buffer
      - .actual_access:  read_only
        .address_space:  global
        .offset:         24
        .size:           8
        .value_kind:     global_buffer
      - .actual_access:  read_only
        .address_space:  global
        .offset:         32
        .size:           8
        .value_kind:     global_buffer
      - .actual_access:  read_only
        .address_space:  global
        .offset:         40
        .size:           8
        .value_kind:     global_buffer
      - .offset:         48
        .size:           8
        .value_kind:     by_value
      - .address_space:  global
        .offset:         56
        .size:           8
        .value_kind:     global_buffer
      - .offset:         64
        .size:           4
        .value_kind:     by_value
      - .offset:         68
        .size:           1
        .value_kind:     by_value
    .group_segment_fixed_size: 0
    .kernarg_segment_align: 8
    .kernarg_segment_size: 72
    .language:       OpenCL C
    .language_version:
      - 2
      - 0
    .max_flat_workgroup_size: 128
    .name:           _ZN9rocsparseL19gebsrmvn_4xn_kernelILj128ELj6ELj64EdEEvi20rocsparse_direction_NS_24const_host_device_scalarIT2_EEPKiS6_PKS3_S8_S4_PS3_21rocsparse_index_base_b
    .private_segment_fixed_size: 0
    .sgpr_count:     22
    .sgpr_spill_count: 0
    .symbol:         _ZN9rocsparseL19gebsrmvn_4xn_kernelILj128ELj6ELj64EdEEvi20rocsparse_direction_NS_24const_host_device_scalarIT2_EEPKiS6_PKS3_S8_S4_PS3_21rocsparse_index_base_b.kd
    .uniform_work_group_size: 1
    .uses_dynamic_stack: false
    .vgpr_count:     66
    .vgpr_spill_count: 0
    .wavefront_size: 64
  - .args:
      - .offset:         0
        .size:           4
        .value_kind:     by_value
      - .offset:         4
        .size:           4
        .value_kind:     by_value
      - .offset:         8
        .size:           8
        .value_kind:     by_value
      - .actual_access:  read_only
        .address_space:  global
        .offset:         16
        .size:           8
        .value_kind:     global_buffer
      - .actual_access:  read_only
        .address_space:  global
        .offset:         24
        .size:           8
        .value_kind:     global_buffer
      - .actual_access:  read_only
        .address_space:  global
        .offset:         32
        .size:           8
        .value_kind:     global_buffer
      - .actual_access:  read_only
        .address_space:  global
        .offset:         40
        .size:           8
        .value_kind:     global_buffer
      - .offset:         48
        .size:           8
        .value_kind:     by_value
      - .address_space:  global
        .offset:         56
        .size:           8
        .value_kind:     global_buffer
      - .offset:         64
        .size:           4
        .value_kind:     by_value
      - .offset:         68
        .size:           1
        .value_kind:     by_value
    .group_segment_fixed_size: 0
    .kernarg_segment_align: 8
    .kernarg_segment_size: 72
    .language:       OpenCL C
    .language_version:
      - 2
      - 0
    .max_flat_workgroup_size: 128
    .name:           _ZN9rocsparseL19gebsrmvn_4xn_kernelILj128ELj7ELj4EdEEvi20rocsparse_direction_NS_24const_host_device_scalarIT2_EEPKiS6_PKS3_S8_S4_PS3_21rocsparse_index_base_b
    .private_segment_fixed_size: 0
    .sgpr_count:     20
    .sgpr_spill_count: 0
    .symbol:         _ZN9rocsparseL19gebsrmvn_4xn_kernelILj128ELj7ELj4EdEEvi20rocsparse_direction_NS_24const_host_device_scalarIT2_EEPKiS6_PKS3_S8_S4_PS3_21rocsparse_index_base_b.kd
    .uniform_work_group_size: 1
    .uses_dynamic_stack: false
    .vgpr_count:     55
    .vgpr_spill_count: 0
    .wavefront_size: 64
  - .args:
      - .offset:         0
        .size:           4
        .value_kind:     by_value
      - .offset:         4
        .size:           4
        .value_kind:     by_value
      - .offset:         8
        .size:           8
        .value_kind:     by_value
      - .actual_access:  read_only
        .address_space:  global
        .offset:         16
        .size:           8
        .value_kind:     global_buffer
      - .actual_access:  read_only
        .address_space:  global
        .offset:         24
        .size:           8
        .value_kind:     global_buffer
      - .actual_access:  read_only
        .address_space:  global
        .offset:         32
        .size:           8
        .value_kind:     global_buffer
      - .actual_access:  read_only
        .address_space:  global
        .offset:         40
        .size:           8
        .value_kind:     global_buffer
      - .offset:         48
        .size:           8
        .value_kind:     by_value
      - .address_space:  global
        .offset:         56
        .size:           8
        .value_kind:     global_buffer
      - .offset:         64
        .size:           4
        .value_kind:     by_value
      - .offset:         68
        .size:           1
        .value_kind:     by_value
    .group_segment_fixed_size: 0
    .kernarg_segment_align: 8
    .kernarg_segment_size: 72
    .language:       OpenCL C
    .language_version:
      - 2
      - 0
    .max_flat_workgroup_size: 128
    .name:           _ZN9rocsparseL19gebsrmvn_4xn_kernelILj128ELj7ELj8EdEEvi20rocsparse_direction_NS_24const_host_device_scalarIT2_EEPKiS6_PKS3_S8_S4_PS3_21rocsparse_index_base_b
    .private_segment_fixed_size: 0
    .sgpr_count:     20
    .sgpr_spill_count: 0
    .symbol:         _ZN9rocsparseL19gebsrmvn_4xn_kernelILj128ELj7ELj8EdEEvi20rocsparse_direction_NS_24const_host_device_scalarIT2_EEPKiS6_PKS3_S8_S4_PS3_21rocsparse_index_base_b.kd
    .uniform_work_group_size: 1
    .uses_dynamic_stack: false
    .vgpr_count:     55
    .vgpr_spill_count: 0
    .wavefront_size: 64
  - .args:
      - .offset:         0
        .size:           4
        .value_kind:     by_value
      - .offset:         4
        .size:           4
        .value_kind:     by_value
      - .offset:         8
        .size:           8
        .value_kind:     by_value
      - .actual_access:  read_only
        .address_space:  global
        .offset:         16
        .size:           8
        .value_kind:     global_buffer
      - .actual_access:  read_only
        .address_space:  global
        .offset:         24
        .size:           8
        .value_kind:     global_buffer
      - .actual_access:  read_only
        .address_space:  global
        .offset:         32
        .size:           8
        .value_kind:     global_buffer
      - .actual_access:  read_only
        .address_space:  global
        .offset:         40
        .size:           8
        .value_kind:     global_buffer
      - .offset:         48
        .size:           8
        .value_kind:     by_value
      - .address_space:  global
        .offset:         56
        .size:           8
        .value_kind:     global_buffer
      - .offset:         64
        .size:           4
        .value_kind:     by_value
      - .offset:         68
        .size:           1
        .value_kind:     by_value
    .group_segment_fixed_size: 0
    .kernarg_segment_align: 8
    .kernarg_segment_size: 72
    .language:       OpenCL C
    .language_version:
      - 2
      - 0
    .max_flat_workgroup_size: 128
    .name:           _ZN9rocsparseL19gebsrmvn_4xn_kernelILj128ELj7ELj16EdEEvi20rocsparse_direction_NS_24const_host_device_scalarIT2_EEPKiS6_PKS3_S8_S4_PS3_21rocsparse_index_base_b
    .private_segment_fixed_size: 0
    .sgpr_count:     20
    .sgpr_spill_count: 0
    .symbol:         _ZN9rocsparseL19gebsrmvn_4xn_kernelILj128ELj7ELj16EdEEvi20rocsparse_direction_NS_24const_host_device_scalarIT2_EEPKiS6_PKS3_S8_S4_PS3_21rocsparse_index_base_b.kd
    .uniform_work_group_size: 1
    .uses_dynamic_stack: false
    .vgpr_count:     55
    .vgpr_spill_count: 0
    .wavefront_size: 64
  - .args:
      - .offset:         0
        .size:           4
        .value_kind:     by_value
      - .offset:         4
        .size:           4
        .value_kind:     by_value
      - .offset:         8
        .size:           8
        .value_kind:     by_value
      - .actual_access:  read_only
        .address_space:  global
        .offset:         16
        .size:           8
        .value_kind:     global_buffer
      - .actual_access:  read_only
        .address_space:  global
        .offset:         24
        .size:           8
        .value_kind:     global_buffer
      - .actual_access:  read_only
        .address_space:  global
        .offset:         32
        .size:           8
        .value_kind:     global_buffer
      - .actual_access:  read_only
        .address_space:  global
        .offset:         40
        .size:           8
        .value_kind:     global_buffer
      - .offset:         48
        .size:           8
        .value_kind:     by_value
      - .address_space:  global
        .offset:         56
        .size:           8
        .value_kind:     global_buffer
      - .offset:         64
        .size:           4
        .value_kind:     by_value
      - .offset:         68
        .size:           1
        .value_kind:     by_value
    .group_segment_fixed_size: 0
    .kernarg_segment_align: 8
    .kernarg_segment_size: 72
    .language:       OpenCL C
    .language_version:
      - 2
      - 0
    .max_flat_workgroup_size: 128
    .name:           _ZN9rocsparseL19gebsrmvn_4xn_kernelILj128ELj7ELj32EdEEvi20rocsparse_direction_NS_24const_host_device_scalarIT2_EEPKiS6_PKS3_S8_S4_PS3_21rocsparse_index_base_b
    .private_segment_fixed_size: 0
    .sgpr_count:     20
    .sgpr_spill_count: 0
    .symbol:         _ZN9rocsparseL19gebsrmvn_4xn_kernelILj128ELj7ELj32EdEEvi20rocsparse_direction_NS_24const_host_device_scalarIT2_EEPKiS6_PKS3_S8_S4_PS3_21rocsparse_index_base_b.kd
    .uniform_work_group_size: 1
    .uses_dynamic_stack: false
    .vgpr_count:     55
    .vgpr_spill_count: 0
    .wavefront_size: 64
  - .args:
      - .offset:         0
        .size:           4
        .value_kind:     by_value
      - .offset:         4
        .size:           4
        .value_kind:     by_value
      - .offset:         8
        .size:           8
        .value_kind:     by_value
      - .actual_access:  read_only
        .address_space:  global
        .offset:         16
        .size:           8
        .value_kind:     global_buffer
      - .actual_access:  read_only
        .address_space:  global
        .offset:         24
        .size:           8
        .value_kind:     global_buffer
      - .actual_access:  read_only
        .address_space:  global
        .offset:         32
        .size:           8
        .value_kind:     global_buffer
      - .actual_access:  read_only
        .address_space:  global
        .offset:         40
        .size:           8
        .value_kind:     global_buffer
      - .offset:         48
        .size:           8
        .value_kind:     by_value
      - .address_space:  global
        .offset:         56
        .size:           8
        .value_kind:     global_buffer
      - .offset:         64
        .size:           4
        .value_kind:     by_value
      - .offset:         68
        .size:           1
        .value_kind:     by_value
    .group_segment_fixed_size: 0
    .kernarg_segment_align: 8
    .kernarg_segment_size: 72
    .language:       OpenCL C
    .language_version:
      - 2
      - 0
    .max_flat_workgroup_size: 128
    .name:           _ZN9rocsparseL19gebsrmvn_4xn_kernelILj128ELj7ELj64EdEEvi20rocsparse_direction_NS_24const_host_device_scalarIT2_EEPKiS6_PKS3_S8_S4_PS3_21rocsparse_index_base_b
    .private_segment_fixed_size: 0
    .sgpr_count:     20
    .sgpr_spill_count: 0
    .symbol:         _ZN9rocsparseL19gebsrmvn_4xn_kernelILj128ELj7ELj64EdEEvi20rocsparse_direction_NS_24const_host_device_scalarIT2_EEPKiS6_PKS3_S8_S4_PS3_21rocsparse_index_base_b.kd
    .uniform_work_group_size: 1
    .uses_dynamic_stack: false
    .vgpr_count:     55
    .vgpr_spill_count: 0
    .wavefront_size: 64
  - .args:
      - .offset:         0
        .size:           4
        .value_kind:     by_value
      - .offset:         4
        .size:           4
        .value_kind:     by_value
      - .offset:         8
        .size:           8
        .value_kind:     by_value
      - .actual_access:  read_only
        .address_space:  global
        .offset:         16
        .size:           8
        .value_kind:     global_buffer
      - .actual_access:  read_only
        .address_space:  global
        .offset:         24
        .size:           8
        .value_kind:     global_buffer
      - .actual_access:  read_only
        .address_space:  global
        .offset:         32
        .size:           8
        .value_kind:     global_buffer
      - .actual_access:  read_only
        .address_space:  global
        .offset:         40
        .size:           8
        .value_kind:     global_buffer
      - .offset:         48
        .size:           8
        .value_kind:     by_value
      - .address_space:  global
        .offset:         56
        .size:           8
        .value_kind:     global_buffer
      - .offset:         64
        .size:           4
        .value_kind:     by_value
      - .offset:         68
        .size:           1
        .value_kind:     by_value
    .group_segment_fixed_size: 0
    .kernarg_segment_align: 8
    .kernarg_segment_size: 72
    .language:       OpenCL C
    .language_version:
      - 2
      - 0
    .max_flat_workgroup_size: 128
    .name:           _ZN9rocsparseL19gebsrmvn_4xn_kernelILj128ELj8ELj4EdEEvi20rocsparse_direction_NS_24const_host_device_scalarIT2_EEPKiS6_PKS3_S8_S4_PS3_21rocsparse_index_base_b
    .private_segment_fixed_size: 0
    .sgpr_count:     20
    .sgpr_spill_count: 0
    .symbol:         _ZN9rocsparseL19gebsrmvn_4xn_kernelILj128ELj8ELj4EdEEvi20rocsparse_direction_NS_24const_host_device_scalarIT2_EEPKiS6_PKS3_S8_S4_PS3_21rocsparse_index_base_b.kd
    .uniform_work_group_size: 1
    .uses_dynamic_stack: false
    .vgpr_count:     54
    .vgpr_spill_count: 0
    .wavefront_size: 64
  - .args:
      - .offset:         0
        .size:           4
        .value_kind:     by_value
      - .offset:         4
        .size:           4
        .value_kind:     by_value
      - .offset:         8
        .size:           8
        .value_kind:     by_value
      - .actual_access:  read_only
        .address_space:  global
        .offset:         16
        .size:           8
        .value_kind:     global_buffer
      - .actual_access:  read_only
        .address_space:  global
        .offset:         24
        .size:           8
        .value_kind:     global_buffer
      - .actual_access:  read_only
        .address_space:  global
        .offset:         32
        .size:           8
        .value_kind:     global_buffer
      - .actual_access:  read_only
        .address_space:  global
        .offset:         40
        .size:           8
        .value_kind:     global_buffer
      - .offset:         48
        .size:           8
        .value_kind:     by_value
      - .address_space:  global
        .offset:         56
        .size:           8
        .value_kind:     global_buffer
      - .offset:         64
        .size:           4
        .value_kind:     by_value
      - .offset:         68
        .size:           1
        .value_kind:     by_value
    .group_segment_fixed_size: 0
    .kernarg_segment_align: 8
    .kernarg_segment_size: 72
    .language:       OpenCL C
    .language_version:
      - 2
      - 0
    .max_flat_workgroup_size: 128
    .name:           _ZN9rocsparseL19gebsrmvn_4xn_kernelILj128ELj8ELj8EdEEvi20rocsparse_direction_NS_24const_host_device_scalarIT2_EEPKiS6_PKS3_S8_S4_PS3_21rocsparse_index_base_b
    .private_segment_fixed_size: 0
    .sgpr_count:     20
    .sgpr_spill_count: 0
    .symbol:         _ZN9rocsparseL19gebsrmvn_4xn_kernelILj128ELj8ELj8EdEEvi20rocsparse_direction_NS_24const_host_device_scalarIT2_EEPKiS6_PKS3_S8_S4_PS3_21rocsparse_index_base_b.kd
    .uniform_work_group_size: 1
    .uses_dynamic_stack: false
    .vgpr_count:     54
    .vgpr_spill_count: 0
    .wavefront_size: 64
  - .args:
      - .offset:         0
        .size:           4
        .value_kind:     by_value
      - .offset:         4
        .size:           4
        .value_kind:     by_value
      - .offset:         8
        .size:           8
        .value_kind:     by_value
      - .actual_access:  read_only
        .address_space:  global
        .offset:         16
        .size:           8
        .value_kind:     global_buffer
      - .actual_access:  read_only
        .address_space:  global
        .offset:         24
        .size:           8
        .value_kind:     global_buffer
      - .actual_access:  read_only
        .address_space:  global
        .offset:         32
        .size:           8
        .value_kind:     global_buffer
      - .actual_access:  read_only
        .address_space:  global
        .offset:         40
        .size:           8
        .value_kind:     global_buffer
      - .offset:         48
        .size:           8
        .value_kind:     by_value
      - .address_space:  global
        .offset:         56
        .size:           8
        .value_kind:     global_buffer
      - .offset:         64
        .size:           4
        .value_kind:     by_value
      - .offset:         68
        .size:           1
        .value_kind:     by_value
    .group_segment_fixed_size: 0
    .kernarg_segment_align: 8
    .kernarg_segment_size: 72
    .language:       OpenCL C
    .language_version:
      - 2
      - 0
    .max_flat_workgroup_size: 128
    .name:           _ZN9rocsparseL19gebsrmvn_4xn_kernelILj128ELj8ELj16EdEEvi20rocsparse_direction_NS_24const_host_device_scalarIT2_EEPKiS6_PKS3_S8_S4_PS3_21rocsparse_index_base_b
    .private_segment_fixed_size: 0
    .sgpr_count:     20
    .sgpr_spill_count: 0
    .symbol:         _ZN9rocsparseL19gebsrmvn_4xn_kernelILj128ELj8ELj16EdEEvi20rocsparse_direction_NS_24const_host_device_scalarIT2_EEPKiS6_PKS3_S8_S4_PS3_21rocsparse_index_base_b.kd
    .uniform_work_group_size: 1
    .uses_dynamic_stack: false
    .vgpr_count:     54
    .vgpr_spill_count: 0
    .wavefront_size: 64
  - .args:
      - .offset:         0
        .size:           4
        .value_kind:     by_value
      - .offset:         4
        .size:           4
        .value_kind:     by_value
      - .offset:         8
        .size:           8
        .value_kind:     by_value
      - .actual_access:  read_only
        .address_space:  global
        .offset:         16
        .size:           8
        .value_kind:     global_buffer
      - .actual_access:  read_only
        .address_space:  global
        .offset:         24
        .size:           8
        .value_kind:     global_buffer
      - .actual_access:  read_only
        .address_space:  global
        .offset:         32
        .size:           8
        .value_kind:     global_buffer
      - .actual_access:  read_only
        .address_space:  global
        .offset:         40
        .size:           8
        .value_kind:     global_buffer
      - .offset:         48
        .size:           8
        .value_kind:     by_value
      - .address_space:  global
        .offset:         56
        .size:           8
        .value_kind:     global_buffer
      - .offset:         64
        .size:           4
        .value_kind:     by_value
      - .offset:         68
        .size:           1
        .value_kind:     by_value
    .group_segment_fixed_size: 0
    .kernarg_segment_align: 8
    .kernarg_segment_size: 72
    .language:       OpenCL C
    .language_version:
      - 2
      - 0
    .max_flat_workgroup_size: 128
    .name:           _ZN9rocsparseL19gebsrmvn_4xn_kernelILj128ELj8ELj32EdEEvi20rocsparse_direction_NS_24const_host_device_scalarIT2_EEPKiS6_PKS3_S8_S4_PS3_21rocsparse_index_base_b
    .private_segment_fixed_size: 0
    .sgpr_count:     20
    .sgpr_spill_count: 0
    .symbol:         _ZN9rocsparseL19gebsrmvn_4xn_kernelILj128ELj8ELj32EdEEvi20rocsparse_direction_NS_24const_host_device_scalarIT2_EEPKiS6_PKS3_S8_S4_PS3_21rocsparse_index_base_b.kd
    .uniform_work_group_size: 1
    .uses_dynamic_stack: false
    .vgpr_count:     54
    .vgpr_spill_count: 0
    .wavefront_size: 64
  - .args:
      - .offset:         0
        .size:           4
        .value_kind:     by_value
      - .offset:         4
        .size:           4
        .value_kind:     by_value
      - .offset:         8
        .size:           8
        .value_kind:     by_value
      - .actual_access:  read_only
        .address_space:  global
        .offset:         16
        .size:           8
        .value_kind:     global_buffer
      - .actual_access:  read_only
        .address_space:  global
        .offset:         24
        .size:           8
        .value_kind:     global_buffer
      - .actual_access:  read_only
        .address_space:  global
        .offset:         32
        .size:           8
        .value_kind:     global_buffer
      - .actual_access:  read_only
        .address_space:  global
        .offset:         40
        .size:           8
        .value_kind:     global_buffer
      - .offset:         48
        .size:           8
        .value_kind:     by_value
      - .address_space:  global
        .offset:         56
        .size:           8
        .value_kind:     global_buffer
      - .offset:         64
        .size:           4
        .value_kind:     by_value
      - .offset:         68
        .size:           1
        .value_kind:     by_value
    .group_segment_fixed_size: 0
    .kernarg_segment_align: 8
    .kernarg_segment_size: 72
    .language:       OpenCL C
    .language_version:
      - 2
      - 0
    .max_flat_workgroup_size: 128
    .name:           _ZN9rocsparseL19gebsrmvn_4xn_kernelILj128ELj8ELj64EdEEvi20rocsparse_direction_NS_24const_host_device_scalarIT2_EEPKiS6_PKS3_S8_S4_PS3_21rocsparse_index_base_b
    .private_segment_fixed_size: 0
    .sgpr_count:     20
    .sgpr_spill_count: 0
    .symbol:         _ZN9rocsparseL19gebsrmvn_4xn_kernelILj128ELj8ELj64EdEEvi20rocsparse_direction_NS_24const_host_device_scalarIT2_EEPKiS6_PKS3_S8_S4_PS3_21rocsparse_index_base_b.kd
    .uniform_work_group_size: 1
    .uses_dynamic_stack: false
    .vgpr_count:     54
    .vgpr_spill_count: 0
    .wavefront_size: 64
  - .args:
      - .offset:         0
        .size:           4
        .value_kind:     by_value
      - .offset:         4
        .size:           4
        .value_kind:     by_value
      - .offset:         8
        .size:           8
        .value_kind:     by_value
      - .actual_access:  read_only
        .address_space:  global
        .offset:         16
        .size:           8
        .value_kind:     global_buffer
      - .actual_access:  read_only
        .address_space:  global
        .offset:         24
        .size:           8
        .value_kind:     global_buffer
      - .actual_access:  read_only
        .address_space:  global
        .offset:         32
        .size:           8
        .value_kind:     global_buffer
      - .offset:         40
        .size:           4
        .value_kind:     by_value
      - .offset:         44
        .size:           4
        .value_kind:     by_value
      - .actual_access:  read_only
        .address_space:  global
        .offset:         48
        .size:           8
        .value_kind:     global_buffer
      - .offset:         56
        .size:           8
        .value_kind:     by_value
      - .address_space:  global
        .offset:         64
        .size:           8
        .value_kind:     global_buffer
      - .offset:         72
        .size:           4
        .value_kind:     by_value
      - .offset:         76
        .size:           1
        .value_kind:     by_value
    .group_segment_fixed_size: 0
    .kernarg_segment_align: 8
    .kernarg_segment_size: 80
    .language:       OpenCL C
    .language_version:
      - 2
      - 0
    .max_flat_workgroup_size: 64
    .name:           _ZN9rocsparseL23gebsrmvn_general_kernelILj64ELj16EdEEvi20rocsparse_direction_NS_24const_host_device_scalarIT1_EEPKiS6_PKS3_iiS8_S4_PS3_21rocsparse_index_base_b
    .private_segment_fixed_size: 0
    .sgpr_count:     42
    .sgpr_spill_count: 0
    .symbol:         _ZN9rocsparseL23gebsrmvn_general_kernelILj64ELj16EdEEvi20rocsparse_direction_NS_24const_host_device_scalarIT1_EEPKiS6_PKS3_iiS8_S4_PS3_21rocsparse_index_base_b.kd
    .uniform_work_group_size: 1
    .uses_dynamic_stack: false
    .vgpr_count:     16
    .vgpr_spill_count: 0
    .wavefront_size: 64
  - .args:
      - .offset:         0
        .size:           4
        .value_kind:     by_value
      - .offset:         4
        .size:           4
        .value_kind:     by_value
      - .offset:         8
        .size:           8
        .value_kind:     by_value
      - .actual_access:  read_only
        .address_space:  global
        .offset:         16
        .size:           8
        .value_kind:     global_buffer
      - .actual_access:  read_only
        .address_space:  global
        .offset:         24
        .size:           8
        .value_kind:     global_buffer
      - .actual_access:  read_only
        .address_space:  global
        .offset:         32
        .size:           8
        .value_kind:     global_buffer
      - .offset:         40
        .size:           4
        .value_kind:     by_value
      - .offset:         44
        .size:           4
        .value_kind:     by_value
      - .actual_access:  read_only
        .address_space:  global
        .offset:         48
        .size:           8
        .value_kind:     global_buffer
      - .offset:         56
        .size:           8
        .value_kind:     by_value
      - .address_space:  global
        .offset:         64
        .size:           8
        .value_kind:     global_buffer
      - .offset:         72
        .size:           4
        .value_kind:     by_value
      - .offset:         76
        .size:           1
        .value_kind:     by_value
    .group_segment_fixed_size: 0
    .kernarg_segment_align: 8
    .kernarg_segment_size: 80
    .language:       OpenCL C
    .language_version:
      - 2
      - 0
    .max_flat_workgroup_size: 128
    .name:           _ZN9rocsparseL23gebsrmvn_general_kernelILj128ELj32EdEEvi20rocsparse_direction_NS_24const_host_device_scalarIT1_EEPKiS6_PKS3_iiS8_S4_PS3_21rocsparse_index_base_b
    .private_segment_fixed_size: 0
    .sgpr_count:     42
    .sgpr_spill_count: 0
    .symbol:         _ZN9rocsparseL23gebsrmvn_general_kernelILj128ELj32EdEEvi20rocsparse_direction_NS_24const_host_device_scalarIT1_EEPKiS6_PKS3_iiS8_S4_PS3_21rocsparse_index_base_b.kd
    .uniform_work_group_size: 1
    .uses_dynamic_stack: false
    .vgpr_count:     16
    .vgpr_spill_count: 0
    .wavefront_size: 64
  - .args:
      - .offset:         0
        .size:           4
        .value_kind:     by_value
      - .offset:         4
        .size:           4
        .value_kind:     by_value
      - .offset:         8
        .size:           8
        .value_kind:     by_value
      - .actual_access:  read_only
        .address_space:  global
        .offset:         16
        .size:           8
        .value_kind:     global_buffer
      - .actual_access:  read_only
        .address_space:  global
        .offset:         24
        .size:           8
        .value_kind:     global_buffer
      - .actual_access:  read_only
        .address_space:  global
        .offset:         32
        .size:           8
        .value_kind:     global_buffer
      - .actual_access:  read_only
        .address_space:  global
        .offset:         40
        .size:           8
        .value_kind:     global_buffer
      - .offset:         48
        .size:           8
        .value_kind:     by_value
      - .address_space:  global
        .offset:         56
        .size:           8
        .value_kind:     global_buffer
      - .offset:         64
        .size:           4
        .value_kind:     by_value
      - .offset:         68
        .size:           1
        .value_kind:     by_value
    .group_segment_fixed_size: 0
    .kernarg_segment_align: 8
    .kernarg_segment_size: 72
    .language:       OpenCL C
    .language_version:
      - 2
      - 0
    .max_flat_workgroup_size: 128
    .name:           _ZN9rocsparseL19gebsrmvn_4xn_kernelILj128ELj1ELj4E21rocsparse_complex_numIfEEEvi20rocsparse_direction_NS_24const_host_device_scalarIT2_EEPKiS8_PKS5_SA_S6_PS5_21rocsparse_index_base_b
    .private_segment_fixed_size: 0
    .sgpr_count:     20
    .sgpr_spill_count: 0
    .symbol:         _ZN9rocsparseL19gebsrmvn_4xn_kernelILj128ELj1ELj4E21rocsparse_complex_numIfEEEvi20rocsparse_direction_NS_24const_host_device_scalarIT2_EEPKiS8_PKS5_SA_S6_PS5_21rocsparse_index_base_b.kd
    .uniform_work_group_size: 1
    .uses_dynamic_stack: false
    .vgpr_count:     35
    .vgpr_spill_count: 0
    .wavefront_size: 64
  - .args:
      - .offset:         0
        .size:           4
        .value_kind:     by_value
      - .offset:         4
        .size:           4
        .value_kind:     by_value
      - .offset:         8
        .size:           8
        .value_kind:     by_value
      - .actual_access:  read_only
        .address_space:  global
        .offset:         16
        .size:           8
        .value_kind:     global_buffer
      - .actual_access:  read_only
        .address_space:  global
        .offset:         24
        .size:           8
        .value_kind:     global_buffer
      - .actual_access:  read_only
        .address_space:  global
        .offset:         32
        .size:           8
        .value_kind:     global_buffer
      - .actual_access:  read_only
        .address_space:  global
        .offset:         40
        .size:           8
        .value_kind:     global_buffer
      - .offset:         48
        .size:           8
        .value_kind:     by_value
      - .address_space:  global
        .offset:         56
        .size:           8
        .value_kind:     global_buffer
      - .offset:         64
        .size:           4
        .value_kind:     by_value
      - .offset:         68
        .size:           1
        .value_kind:     by_value
    .group_segment_fixed_size: 0
    .kernarg_segment_align: 8
    .kernarg_segment_size: 72
    .language:       OpenCL C
    .language_version:
      - 2
      - 0
    .max_flat_workgroup_size: 128
    .name:           _ZN9rocsparseL19gebsrmvn_4xn_kernelILj128ELj1ELj8E21rocsparse_complex_numIfEEEvi20rocsparse_direction_NS_24const_host_device_scalarIT2_EEPKiS8_PKS5_SA_S6_PS5_21rocsparse_index_base_b
    .private_segment_fixed_size: 0
    .sgpr_count:     20
    .sgpr_spill_count: 0
    .symbol:         _ZN9rocsparseL19gebsrmvn_4xn_kernelILj128ELj1ELj8E21rocsparse_complex_numIfEEEvi20rocsparse_direction_NS_24const_host_device_scalarIT2_EEPKiS8_PKS5_SA_S6_PS5_21rocsparse_index_base_b.kd
    .uniform_work_group_size: 1
    .uses_dynamic_stack: false
    .vgpr_count:     35
    .vgpr_spill_count: 0
    .wavefront_size: 64
  - .args:
      - .offset:         0
        .size:           4
        .value_kind:     by_value
      - .offset:         4
        .size:           4
        .value_kind:     by_value
      - .offset:         8
        .size:           8
        .value_kind:     by_value
      - .actual_access:  read_only
        .address_space:  global
        .offset:         16
        .size:           8
        .value_kind:     global_buffer
      - .actual_access:  read_only
        .address_space:  global
        .offset:         24
        .size:           8
        .value_kind:     global_buffer
      - .actual_access:  read_only
        .address_space:  global
        .offset:         32
        .size:           8
        .value_kind:     global_buffer
      - .actual_access:  read_only
        .address_space:  global
        .offset:         40
        .size:           8
        .value_kind:     global_buffer
      - .offset:         48
        .size:           8
        .value_kind:     by_value
      - .address_space:  global
        .offset:         56
        .size:           8
        .value_kind:     global_buffer
      - .offset:         64
        .size:           4
        .value_kind:     by_value
      - .offset:         68
        .size:           1
        .value_kind:     by_value
    .group_segment_fixed_size: 0
    .kernarg_segment_align: 8
    .kernarg_segment_size: 72
    .language:       OpenCL C
    .language_version:
      - 2
      - 0
    .max_flat_workgroup_size: 128
    .name:           _ZN9rocsparseL19gebsrmvn_4xn_kernelILj128ELj1ELj16E21rocsparse_complex_numIfEEEvi20rocsparse_direction_NS_24const_host_device_scalarIT2_EEPKiS8_PKS5_SA_S6_PS5_21rocsparse_index_base_b
    .private_segment_fixed_size: 0
    .sgpr_count:     20
    .sgpr_spill_count: 0
    .symbol:         _ZN9rocsparseL19gebsrmvn_4xn_kernelILj128ELj1ELj16E21rocsparse_complex_numIfEEEvi20rocsparse_direction_NS_24const_host_device_scalarIT2_EEPKiS8_PKS5_SA_S6_PS5_21rocsparse_index_base_b.kd
    .uniform_work_group_size: 1
    .uses_dynamic_stack: false
    .vgpr_count:     35
    .vgpr_spill_count: 0
    .wavefront_size: 64
  - .args:
      - .offset:         0
        .size:           4
        .value_kind:     by_value
      - .offset:         4
        .size:           4
        .value_kind:     by_value
      - .offset:         8
        .size:           8
        .value_kind:     by_value
      - .actual_access:  read_only
        .address_space:  global
        .offset:         16
        .size:           8
        .value_kind:     global_buffer
      - .actual_access:  read_only
        .address_space:  global
        .offset:         24
        .size:           8
        .value_kind:     global_buffer
      - .actual_access:  read_only
        .address_space:  global
        .offset:         32
        .size:           8
        .value_kind:     global_buffer
      - .actual_access:  read_only
        .address_space:  global
        .offset:         40
        .size:           8
        .value_kind:     global_buffer
      - .offset:         48
        .size:           8
        .value_kind:     by_value
      - .address_space:  global
        .offset:         56
        .size:           8
        .value_kind:     global_buffer
      - .offset:         64
        .size:           4
        .value_kind:     by_value
      - .offset:         68
        .size:           1
        .value_kind:     by_value
    .group_segment_fixed_size: 0
    .kernarg_segment_align: 8
    .kernarg_segment_size: 72
    .language:       OpenCL C
    .language_version:
      - 2
      - 0
    .max_flat_workgroup_size: 128
    .name:           _ZN9rocsparseL19gebsrmvn_4xn_kernelILj128ELj1ELj32E21rocsparse_complex_numIfEEEvi20rocsparse_direction_NS_24const_host_device_scalarIT2_EEPKiS8_PKS5_SA_S6_PS5_21rocsparse_index_base_b
    .private_segment_fixed_size: 0
    .sgpr_count:     20
    .sgpr_spill_count: 0
    .symbol:         _ZN9rocsparseL19gebsrmvn_4xn_kernelILj128ELj1ELj32E21rocsparse_complex_numIfEEEvi20rocsparse_direction_NS_24const_host_device_scalarIT2_EEPKiS8_PKS5_SA_S6_PS5_21rocsparse_index_base_b.kd
    .uniform_work_group_size: 1
    .uses_dynamic_stack: false
    .vgpr_count:     35
    .vgpr_spill_count: 0
    .wavefront_size: 64
  - .args:
      - .offset:         0
        .size:           4
        .value_kind:     by_value
      - .offset:         4
        .size:           4
        .value_kind:     by_value
      - .offset:         8
        .size:           8
        .value_kind:     by_value
      - .actual_access:  read_only
        .address_space:  global
        .offset:         16
        .size:           8
        .value_kind:     global_buffer
      - .actual_access:  read_only
        .address_space:  global
        .offset:         24
        .size:           8
        .value_kind:     global_buffer
      - .actual_access:  read_only
        .address_space:  global
        .offset:         32
        .size:           8
        .value_kind:     global_buffer
      - .actual_access:  read_only
        .address_space:  global
        .offset:         40
        .size:           8
        .value_kind:     global_buffer
      - .offset:         48
        .size:           8
        .value_kind:     by_value
      - .address_space:  global
        .offset:         56
        .size:           8
        .value_kind:     global_buffer
      - .offset:         64
        .size:           4
        .value_kind:     by_value
      - .offset:         68
        .size:           1
        .value_kind:     by_value
    .group_segment_fixed_size: 0
    .kernarg_segment_align: 8
    .kernarg_segment_size: 72
    .language:       OpenCL C
    .language_version:
      - 2
      - 0
    .max_flat_workgroup_size: 128
    .name:           _ZN9rocsparseL19gebsrmvn_4xn_kernelILj128ELj1ELj64E21rocsparse_complex_numIfEEEvi20rocsparse_direction_NS_24const_host_device_scalarIT2_EEPKiS8_PKS5_SA_S6_PS5_21rocsparse_index_base_b
    .private_segment_fixed_size: 0
    .sgpr_count:     20
    .sgpr_spill_count: 0
    .symbol:         _ZN9rocsparseL19gebsrmvn_4xn_kernelILj128ELj1ELj64E21rocsparse_complex_numIfEEEvi20rocsparse_direction_NS_24const_host_device_scalarIT2_EEPKiS8_PKS5_SA_S6_PS5_21rocsparse_index_base_b.kd
    .uniform_work_group_size: 1
    .uses_dynamic_stack: false
    .vgpr_count:     35
    .vgpr_spill_count: 0
    .wavefront_size: 64
  - .args:
      - .offset:         0
        .size:           4
        .value_kind:     by_value
      - .offset:         4
        .size:           4
        .value_kind:     by_value
      - .offset:         8
        .size:           8
        .value_kind:     by_value
      - .actual_access:  read_only
        .address_space:  global
        .offset:         16
        .size:           8
        .value_kind:     global_buffer
      - .actual_access:  read_only
        .address_space:  global
        .offset:         24
        .size:           8
        .value_kind:     global_buffer
      - .actual_access:  read_only
        .address_space:  global
        .offset:         32
        .size:           8
        .value_kind:     global_buffer
      - .actual_access:  read_only
        .address_space:  global
        .offset:         40
        .size:           8
        .value_kind:     global_buffer
      - .offset:         48
        .size:           8
        .value_kind:     by_value
      - .address_space:  global
        .offset:         56
        .size:           8
        .value_kind:     global_buffer
      - .offset:         64
        .size:           4
        .value_kind:     by_value
      - .offset:         68
        .size:           1
        .value_kind:     by_value
    .group_segment_fixed_size: 0
    .kernarg_segment_align: 8
    .kernarg_segment_size: 72
    .language:       OpenCL C
    .language_version:
      - 2
      - 0
    .max_flat_workgroup_size: 128
    .name:           _ZN9rocsparseL19gebsrmvn_4xn_kernelILj128ELj2ELj4E21rocsparse_complex_numIfEEEvi20rocsparse_direction_NS_24const_host_device_scalarIT2_EEPKiS8_PKS5_SA_S6_PS5_21rocsparse_index_base_b
    .private_segment_fixed_size: 0
    .sgpr_count:     20
    .sgpr_spill_count: 0
    .symbol:         _ZN9rocsparseL19gebsrmvn_4xn_kernelILj128ELj2ELj4E21rocsparse_complex_numIfEEEvi20rocsparse_direction_NS_24const_host_device_scalarIT2_EEPKiS8_PKS5_SA_S6_PS5_21rocsparse_index_base_b.kd
    .uniform_work_group_size: 1
    .uses_dynamic_stack: false
    .vgpr_count:     47
    .vgpr_spill_count: 0
    .wavefront_size: 64
  - .args:
      - .offset:         0
        .size:           4
        .value_kind:     by_value
      - .offset:         4
        .size:           4
        .value_kind:     by_value
      - .offset:         8
        .size:           8
        .value_kind:     by_value
      - .actual_access:  read_only
        .address_space:  global
        .offset:         16
        .size:           8
        .value_kind:     global_buffer
      - .actual_access:  read_only
        .address_space:  global
        .offset:         24
        .size:           8
        .value_kind:     global_buffer
      - .actual_access:  read_only
        .address_space:  global
        .offset:         32
        .size:           8
        .value_kind:     global_buffer
      - .actual_access:  read_only
        .address_space:  global
        .offset:         40
        .size:           8
        .value_kind:     global_buffer
      - .offset:         48
        .size:           8
        .value_kind:     by_value
      - .address_space:  global
        .offset:         56
        .size:           8
        .value_kind:     global_buffer
      - .offset:         64
        .size:           4
        .value_kind:     by_value
      - .offset:         68
        .size:           1
        .value_kind:     by_value
    .group_segment_fixed_size: 0
    .kernarg_segment_align: 8
    .kernarg_segment_size: 72
    .language:       OpenCL C
    .language_version:
      - 2
      - 0
    .max_flat_workgroup_size: 128
    .name:           _ZN9rocsparseL19gebsrmvn_4xn_kernelILj128ELj2ELj8E21rocsparse_complex_numIfEEEvi20rocsparse_direction_NS_24const_host_device_scalarIT2_EEPKiS8_PKS5_SA_S6_PS5_21rocsparse_index_base_b
    .private_segment_fixed_size: 0
    .sgpr_count:     20
    .sgpr_spill_count: 0
    .symbol:         _ZN9rocsparseL19gebsrmvn_4xn_kernelILj128ELj2ELj8E21rocsparse_complex_numIfEEEvi20rocsparse_direction_NS_24const_host_device_scalarIT2_EEPKiS8_PKS5_SA_S6_PS5_21rocsparse_index_base_b.kd
    .uniform_work_group_size: 1
    .uses_dynamic_stack: false
    .vgpr_count:     47
    .vgpr_spill_count: 0
    .wavefront_size: 64
  - .args:
      - .offset:         0
        .size:           4
        .value_kind:     by_value
      - .offset:         4
        .size:           4
        .value_kind:     by_value
      - .offset:         8
        .size:           8
        .value_kind:     by_value
      - .actual_access:  read_only
        .address_space:  global
        .offset:         16
        .size:           8
        .value_kind:     global_buffer
      - .actual_access:  read_only
        .address_space:  global
        .offset:         24
        .size:           8
        .value_kind:     global_buffer
      - .actual_access:  read_only
        .address_space:  global
        .offset:         32
        .size:           8
        .value_kind:     global_buffer
      - .actual_access:  read_only
        .address_space:  global
        .offset:         40
        .size:           8
        .value_kind:     global_buffer
      - .offset:         48
        .size:           8
        .value_kind:     by_value
      - .address_space:  global
        .offset:         56
        .size:           8
        .value_kind:     global_buffer
      - .offset:         64
        .size:           4
        .value_kind:     by_value
      - .offset:         68
        .size:           1
        .value_kind:     by_value
    .group_segment_fixed_size: 0
    .kernarg_segment_align: 8
    .kernarg_segment_size: 72
    .language:       OpenCL C
    .language_version:
      - 2
      - 0
    .max_flat_workgroup_size: 128
    .name:           _ZN9rocsparseL19gebsrmvn_4xn_kernelILj128ELj2ELj16E21rocsparse_complex_numIfEEEvi20rocsparse_direction_NS_24const_host_device_scalarIT2_EEPKiS8_PKS5_SA_S6_PS5_21rocsparse_index_base_b
    .private_segment_fixed_size: 0
    .sgpr_count:     20
    .sgpr_spill_count: 0
    .symbol:         _ZN9rocsparseL19gebsrmvn_4xn_kernelILj128ELj2ELj16E21rocsparse_complex_numIfEEEvi20rocsparse_direction_NS_24const_host_device_scalarIT2_EEPKiS8_PKS5_SA_S6_PS5_21rocsparse_index_base_b.kd
    .uniform_work_group_size: 1
    .uses_dynamic_stack: false
    .vgpr_count:     47
    .vgpr_spill_count: 0
    .wavefront_size: 64
  - .args:
      - .offset:         0
        .size:           4
        .value_kind:     by_value
      - .offset:         4
        .size:           4
        .value_kind:     by_value
      - .offset:         8
        .size:           8
        .value_kind:     by_value
      - .actual_access:  read_only
        .address_space:  global
        .offset:         16
        .size:           8
        .value_kind:     global_buffer
      - .actual_access:  read_only
        .address_space:  global
        .offset:         24
        .size:           8
        .value_kind:     global_buffer
      - .actual_access:  read_only
        .address_space:  global
        .offset:         32
        .size:           8
        .value_kind:     global_buffer
      - .actual_access:  read_only
        .address_space:  global
        .offset:         40
        .size:           8
        .value_kind:     global_buffer
      - .offset:         48
        .size:           8
        .value_kind:     by_value
      - .address_space:  global
        .offset:         56
        .size:           8
        .value_kind:     global_buffer
      - .offset:         64
        .size:           4
        .value_kind:     by_value
      - .offset:         68
        .size:           1
        .value_kind:     by_value
    .group_segment_fixed_size: 0
    .kernarg_segment_align: 8
    .kernarg_segment_size: 72
    .language:       OpenCL C
    .language_version:
      - 2
      - 0
    .max_flat_workgroup_size: 128
    .name:           _ZN9rocsparseL19gebsrmvn_4xn_kernelILj128ELj2ELj32E21rocsparse_complex_numIfEEEvi20rocsparse_direction_NS_24const_host_device_scalarIT2_EEPKiS8_PKS5_SA_S6_PS5_21rocsparse_index_base_b
    .private_segment_fixed_size: 0
    .sgpr_count:     20
    .sgpr_spill_count: 0
    .symbol:         _ZN9rocsparseL19gebsrmvn_4xn_kernelILj128ELj2ELj32E21rocsparse_complex_numIfEEEvi20rocsparse_direction_NS_24const_host_device_scalarIT2_EEPKiS8_PKS5_SA_S6_PS5_21rocsparse_index_base_b.kd
    .uniform_work_group_size: 1
    .uses_dynamic_stack: false
    .vgpr_count:     47
    .vgpr_spill_count: 0
    .wavefront_size: 64
  - .args:
      - .offset:         0
        .size:           4
        .value_kind:     by_value
      - .offset:         4
        .size:           4
        .value_kind:     by_value
      - .offset:         8
        .size:           8
        .value_kind:     by_value
      - .actual_access:  read_only
        .address_space:  global
        .offset:         16
        .size:           8
        .value_kind:     global_buffer
      - .actual_access:  read_only
        .address_space:  global
        .offset:         24
        .size:           8
        .value_kind:     global_buffer
      - .actual_access:  read_only
        .address_space:  global
        .offset:         32
        .size:           8
        .value_kind:     global_buffer
      - .actual_access:  read_only
        .address_space:  global
        .offset:         40
        .size:           8
        .value_kind:     global_buffer
      - .offset:         48
        .size:           8
        .value_kind:     by_value
      - .address_space:  global
        .offset:         56
        .size:           8
        .value_kind:     global_buffer
      - .offset:         64
        .size:           4
        .value_kind:     by_value
      - .offset:         68
        .size:           1
        .value_kind:     by_value
    .group_segment_fixed_size: 0
    .kernarg_segment_align: 8
    .kernarg_segment_size: 72
    .language:       OpenCL C
    .language_version:
      - 2
      - 0
    .max_flat_workgroup_size: 128
    .name:           _ZN9rocsparseL19gebsrmvn_4xn_kernelILj128ELj2ELj64E21rocsparse_complex_numIfEEEvi20rocsparse_direction_NS_24const_host_device_scalarIT2_EEPKiS8_PKS5_SA_S6_PS5_21rocsparse_index_base_b
    .private_segment_fixed_size: 0
    .sgpr_count:     20
    .sgpr_spill_count: 0
    .symbol:         _ZN9rocsparseL19gebsrmvn_4xn_kernelILj128ELj2ELj64E21rocsparse_complex_numIfEEEvi20rocsparse_direction_NS_24const_host_device_scalarIT2_EEPKiS8_PKS5_SA_S6_PS5_21rocsparse_index_base_b.kd
    .uniform_work_group_size: 1
    .uses_dynamic_stack: false
    .vgpr_count:     47
    .vgpr_spill_count: 0
    .wavefront_size: 64
  - .args:
      - .offset:         0
        .size:           4
        .value_kind:     by_value
      - .offset:         4
        .size:           4
        .value_kind:     by_value
      - .offset:         8
        .size:           8
        .value_kind:     by_value
      - .actual_access:  read_only
        .address_space:  global
        .offset:         16
        .size:           8
        .value_kind:     global_buffer
      - .actual_access:  read_only
        .address_space:  global
        .offset:         24
        .size:           8
        .value_kind:     global_buffer
      - .actual_access:  read_only
        .address_space:  global
        .offset:         32
        .size:           8
        .value_kind:     global_buffer
      - .actual_access:  read_only
        .address_space:  global
        .offset:         40
        .size:           8
        .value_kind:     global_buffer
      - .offset:         48
        .size:           8
        .value_kind:     by_value
      - .address_space:  global
        .offset:         56
        .size:           8
        .value_kind:     global_buffer
      - .offset:         64
        .size:           4
        .value_kind:     by_value
      - .offset:         68
        .size:           1
        .value_kind:     by_value
    .group_segment_fixed_size: 0
    .kernarg_segment_align: 8
    .kernarg_segment_size: 72
    .language:       OpenCL C
    .language_version:
      - 2
      - 0
    .max_flat_workgroup_size: 128
    .name:           _ZN9rocsparseL19gebsrmvn_4xn_kernelILj128ELj3ELj4E21rocsparse_complex_numIfEEEvi20rocsparse_direction_NS_24const_host_device_scalarIT2_EEPKiS8_PKS5_SA_S6_PS5_21rocsparse_index_base_b
    .private_segment_fixed_size: 0
    .sgpr_count:     20
    .sgpr_spill_count: 0
    .symbol:         _ZN9rocsparseL19gebsrmvn_4xn_kernelILj128ELj3ELj4E21rocsparse_complex_numIfEEEvi20rocsparse_direction_NS_24const_host_device_scalarIT2_EEPKiS8_PKS5_SA_S6_PS5_21rocsparse_index_base_b.kd
    .uniform_work_group_size: 1
    .uses_dynamic_stack: false
    .vgpr_count:     57
    .vgpr_spill_count: 0
    .wavefront_size: 64
  - .args:
      - .offset:         0
        .size:           4
        .value_kind:     by_value
      - .offset:         4
        .size:           4
        .value_kind:     by_value
      - .offset:         8
        .size:           8
        .value_kind:     by_value
      - .actual_access:  read_only
        .address_space:  global
        .offset:         16
        .size:           8
        .value_kind:     global_buffer
      - .actual_access:  read_only
        .address_space:  global
        .offset:         24
        .size:           8
        .value_kind:     global_buffer
      - .actual_access:  read_only
        .address_space:  global
        .offset:         32
        .size:           8
        .value_kind:     global_buffer
      - .actual_access:  read_only
        .address_space:  global
        .offset:         40
        .size:           8
        .value_kind:     global_buffer
      - .offset:         48
        .size:           8
        .value_kind:     by_value
      - .address_space:  global
        .offset:         56
        .size:           8
        .value_kind:     global_buffer
      - .offset:         64
        .size:           4
        .value_kind:     by_value
      - .offset:         68
        .size:           1
        .value_kind:     by_value
    .group_segment_fixed_size: 0
    .kernarg_segment_align: 8
    .kernarg_segment_size: 72
    .language:       OpenCL C
    .language_version:
      - 2
      - 0
    .max_flat_workgroup_size: 128
    .name:           _ZN9rocsparseL19gebsrmvn_4xn_kernelILj128ELj3ELj8E21rocsparse_complex_numIfEEEvi20rocsparse_direction_NS_24const_host_device_scalarIT2_EEPKiS8_PKS5_SA_S6_PS5_21rocsparse_index_base_b
    .private_segment_fixed_size: 0
    .sgpr_count:     20
    .sgpr_spill_count: 0
    .symbol:         _ZN9rocsparseL19gebsrmvn_4xn_kernelILj128ELj3ELj8E21rocsparse_complex_numIfEEEvi20rocsparse_direction_NS_24const_host_device_scalarIT2_EEPKiS8_PKS5_SA_S6_PS5_21rocsparse_index_base_b.kd
    .uniform_work_group_size: 1
    .uses_dynamic_stack: false
    .vgpr_count:     57
    .vgpr_spill_count: 0
    .wavefront_size: 64
  - .args:
      - .offset:         0
        .size:           4
        .value_kind:     by_value
      - .offset:         4
        .size:           4
        .value_kind:     by_value
      - .offset:         8
        .size:           8
        .value_kind:     by_value
      - .actual_access:  read_only
        .address_space:  global
        .offset:         16
        .size:           8
        .value_kind:     global_buffer
      - .actual_access:  read_only
        .address_space:  global
        .offset:         24
        .size:           8
        .value_kind:     global_buffer
      - .actual_access:  read_only
        .address_space:  global
        .offset:         32
        .size:           8
        .value_kind:     global_buffer
      - .actual_access:  read_only
        .address_space:  global
        .offset:         40
        .size:           8
        .value_kind:     global_buffer
      - .offset:         48
        .size:           8
        .value_kind:     by_value
      - .address_space:  global
        .offset:         56
        .size:           8
        .value_kind:     global_buffer
      - .offset:         64
        .size:           4
        .value_kind:     by_value
      - .offset:         68
        .size:           1
        .value_kind:     by_value
    .group_segment_fixed_size: 0
    .kernarg_segment_align: 8
    .kernarg_segment_size: 72
    .language:       OpenCL C
    .language_version:
      - 2
      - 0
    .max_flat_workgroup_size: 128
    .name:           _ZN9rocsparseL19gebsrmvn_4xn_kernelILj128ELj3ELj16E21rocsparse_complex_numIfEEEvi20rocsparse_direction_NS_24const_host_device_scalarIT2_EEPKiS8_PKS5_SA_S6_PS5_21rocsparse_index_base_b
    .private_segment_fixed_size: 0
    .sgpr_count:     20
    .sgpr_spill_count: 0
    .symbol:         _ZN9rocsparseL19gebsrmvn_4xn_kernelILj128ELj3ELj16E21rocsparse_complex_numIfEEEvi20rocsparse_direction_NS_24const_host_device_scalarIT2_EEPKiS8_PKS5_SA_S6_PS5_21rocsparse_index_base_b.kd
    .uniform_work_group_size: 1
    .uses_dynamic_stack: false
    .vgpr_count:     57
    .vgpr_spill_count: 0
    .wavefront_size: 64
  - .args:
      - .offset:         0
        .size:           4
        .value_kind:     by_value
      - .offset:         4
        .size:           4
        .value_kind:     by_value
      - .offset:         8
        .size:           8
        .value_kind:     by_value
      - .actual_access:  read_only
        .address_space:  global
        .offset:         16
        .size:           8
        .value_kind:     global_buffer
      - .actual_access:  read_only
        .address_space:  global
        .offset:         24
        .size:           8
        .value_kind:     global_buffer
      - .actual_access:  read_only
        .address_space:  global
        .offset:         32
        .size:           8
        .value_kind:     global_buffer
      - .actual_access:  read_only
        .address_space:  global
        .offset:         40
        .size:           8
        .value_kind:     global_buffer
      - .offset:         48
        .size:           8
        .value_kind:     by_value
      - .address_space:  global
        .offset:         56
        .size:           8
        .value_kind:     global_buffer
      - .offset:         64
        .size:           4
        .value_kind:     by_value
      - .offset:         68
        .size:           1
        .value_kind:     by_value
    .group_segment_fixed_size: 0
    .kernarg_segment_align: 8
    .kernarg_segment_size: 72
    .language:       OpenCL C
    .language_version:
      - 2
      - 0
    .max_flat_workgroup_size: 128
    .name:           _ZN9rocsparseL19gebsrmvn_4xn_kernelILj128ELj3ELj32E21rocsparse_complex_numIfEEEvi20rocsparse_direction_NS_24const_host_device_scalarIT2_EEPKiS8_PKS5_SA_S6_PS5_21rocsparse_index_base_b
    .private_segment_fixed_size: 0
    .sgpr_count:     20
    .sgpr_spill_count: 0
    .symbol:         _ZN9rocsparseL19gebsrmvn_4xn_kernelILj128ELj3ELj32E21rocsparse_complex_numIfEEEvi20rocsparse_direction_NS_24const_host_device_scalarIT2_EEPKiS8_PKS5_SA_S6_PS5_21rocsparse_index_base_b.kd
    .uniform_work_group_size: 1
    .uses_dynamic_stack: false
    .vgpr_count:     57
    .vgpr_spill_count: 0
    .wavefront_size: 64
  - .args:
      - .offset:         0
        .size:           4
        .value_kind:     by_value
      - .offset:         4
        .size:           4
        .value_kind:     by_value
      - .offset:         8
        .size:           8
        .value_kind:     by_value
      - .actual_access:  read_only
        .address_space:  global
        .offset:         16
        .size:           8
        .value_kind:     global_buffer
      - .actual_access:  read_only
        .address_space:  global
        .offset:         24
        .size:           8
        .value_kind:     global_buffer
      - .actual_access:  read_only
        .address_space:  global
        .offset:         32
        .size:           8
        .value_kind:     global_buffer
      - .actual_access:  read_only
        .address_space:  global
        .offset:         40
        .size:           8
        .value_kind:     global_buffer
      - .offset:         48
        .size:           8
        .value_kind:     by_value
      - .address_space:  global
        .offset:         56
        .size:           8
        .value_kind:     global_buffer
      - .offset:         64
        .size:           4
        .value_kind:     by_value
      - .offset:         68
        .size:           1
        .value_kind:     by_value
    .group_segment_fixed_size: 0
    .kernarg_segment_align: 8
    .kernarg_segment_size: 72
    .language:       OpenCL C
    .language_version:
      - 2
      - 0
    .max_flat_workgroup_size: 128
    .name:           _ZN9rocsparseL19gebsrmvn_4xn_kernelILj128ELj3ELj64E21rocsparse_complex_numIfEEEvi20rocsparse_direction_NS_24const_host_device_scalarIT2_EEPKiS8_PKS5_SA_S6_PS5_21rocsparse_index_base_b
    .private_segment_fixed_size: 0
    .sgpr_count:     20
    .sgpr_spill_count: 0
    .symbol:         _ZN9rocsparseL19gebsrmvn_4xn_kernelILj128ELj3ELj64E21rocsparse_complex_numIfEEEvi20rocsparse_direction_NS_24const_host_device_scalarIT2_EEPKiS8_PKS5_SA_S6_PS5_21rocsparse_index_base_b.kd
    .uniform_work_group_size: 1
    .uses_dynamic_stack: false
    .vgpr_count:     57
    .vgpr_spill_count: 0
    .wavefront_size: 64
  - .args:
      - .offset:         0
        .size:           4
        .value_kind:     by_value
      - .offset:         4
        .size:           4
        .value_kind:     by_value
      - .offset:         8
        .size:           8
        .value_kind:     by_value
      - .actual_access:  read_only
        .address_space:  global
        .offset:         16
        .size:           8
        .value_kind:     global_buffer
      - .actual_access:  read_only
        .address_space:  global
        .offset:         24
        .size:           8
        .value_kind:     global_buffer
      - .actual_access:  read_only
        .address_space:  global
        .offset:         32
        .size:           8
        .value_kind:     global_buffer
      - .actual_access:  read_only
        .address_space:  global
        .offset:         40
        .size:           8
        .value_kind:     global_buffer
      - .offset:         48
        .size:           8
        .value_kind:     by_value
      - .address_space:  global
        .offset:         56
        .size:           8
        .value_kind:     global_buffer
      - .offset:         64
        .size:           4
        .value_kind:     by_value
      - .offset:         68
        .size:           1
        .value_kind:     by_value
    .group_segment_fixed_size: 0
    .kernarg_segment_align: 8
    .kernarg_segment_size: 72
    .language:       OpenCL C
    .language_version:
      - 2
      - 0
    .max_flat_workgroup_size: 128
    .name:           _ZN9rocsparseL19gebsrmvn_4xn_kernelILj128ELj5ELj4E21rocsparse_complex_numIfEEEvi20rocsparse_direction_NS_24const_host_device_scalarIT2_EEPKiS8_PKS5_SA_S6_PS5_21rocsparse_index_base_b
    .private_segment_fixed_size: 0
    .sgpr_count:     20
    .sgpr_spill_count: 0
    .symbol:         _ZN9rocsparseL19gebsrmvn_4xn_kernelILj128ELj5ELj4E21rocsparse_complex_numIfEEEvi20rocsparse_direction_NS_24const_host_device_scalarIT2_EEPKiS8_PKS5_SA_S6_PS5_21rocsparse_index_base_b.kd
    .uniform_work_group_size: 1
    .uses_dynamic_stack: false
    .vgpr_count:     54
    .vgpr_spill_count: 0
    .wavefront_size: 64
  - .args:
      - .offset:         0
        .size:           4
        .value_kind:     by_value
      - .offset:         4
        .size:           4
        .value_kind:     by_value
      - .offset:         8
        .size:           8
        .value_kind:     by_value
      - .actual_access:  read_only
        .address_space:  global
        .offset:         16
        .size:           8
        .value_kind:     global_buffer
      - .actual_access:  read_only
        .address_space:  global
        .offset:         24
        .size:           8
        .value_kind:     global_buffer
      - .actual_access:  read_only
        .address_space:  global
        .offset:         32
        .size:           8
        .value_kind:     global_buffer
      - .actual_access:  read_only
        .address_space:  global
        .offset:         40
        .size:           8
        .value_kind:     global_buffer
      - .offset:         48
        .size:           8
        .value_kind:     by_value
      - .address_space:  global
        .offset:         56
        .size:           8
        .value_kind:     global_buffer
      - .offset:         64
        .size:           4
        .value_kind:     by_value
      - .offset:         68
        .size:           1
        .value_kind:     by_value
    .group_segment_fixed_size: 0
    .kernarg_segment_align: 8
    .kernarg_segment_size: 72
    .language:       OpenCL C
    .language_version:
      - 2
      - 0
    .max_flat_workgroup_size: 128
    .name:           _ZN9rocsparseL19gebsrmvn_4xn_kernelILj128ELj5ELj8E21rocsparse_complex_numIfEEEvi20rocsparse_direction_NS_24const_host_device_scalarIT2_EEPKiS8_PKS5_SA_S6_PS5_21rocsparse_index_base_b
    .private_segment_fixed_size: 0
    .sgpr_count:     20
    .sgpr_spill_count: 0
    .symbol:         _ZN9rocsparseL19gebsrmvn_4xn_kernelILj128ELj5ELj8E21rocsparse_complex_numIfEEEvi20rocsparse_direction_NS_24const_host_device_scalarIT2_EEPKiS8_PKS5_SA_S6_PS5_21rocsparse_index_base_b.kd
    .uniform_work_group_size: 1
    .uses_dynamic_stack: false
    .vgpr_count:     54
    .vgpr_spill_count: 0
    .wavefront_size: 64
  - .args:
      - .offset:         0
        .size:           4
        .value_kind:     by_value
      - .offset:         4
        .size:           4
        .value_kind:     by_value
      - .offset:         8
        .size:           8
        .value_kind:     by_value
      - .actual_access:  read_only
        .address_space:  global
        .offset:         16
        .size:           8
        .value_kind:     global_buffer
      - .actual_access:  read_only
        .address_space:  global
        .offset:         24
        .size:           8
        .value_kind:     global_buffer
      - .actual_access:  read_only
        .address_space:  global
        .offset:         32
        .size:           8
        .value_kind:     global_buffer
      - .actual_access:  read_only
        .address_space:  global
        .offset:         40
        .size:           8
        .value_kind:     global_buffer
      - .offset:         48
        .size:           8
        .value_kind:     by_value
      - .address_space:  global
        .offset:         56
        .size:           8
        .value_kind:     global_buffer
      - .offset:         64
        .size:           4
        .value_kind:     by_value
      - .offset:         68
        .size:           1
        .value_kind:     by_value
    .group_segment_fixed_size: 0
    .kernarg_segment_align: 8
    .kernarg_segment_size: 72
    .language:       OpenCL C
    .language_version:
      - 2
      - 0
    .max_flat_workgroup_size: 128
    .name:           _ZN9rocsparseL19gebsrmvn_4xn_kernelILj128ELj5ELj16E21rocsparse_complex_numIfEEEvi20rocsparse_direction_NS_24const_host_device_scalarIT2_EEPKiS8_PKS5_SA_S6_PS5_21rocsparse_index_base_b
    .private_segment_fixed_size: 0
    .sgpr_count:     20
    .sgpr_spill_count: 0
    .symbol:         _ZN9rocsparseL19gebsrmvn_4xn_kernelILj128ELj5ELj16E21rocsparse_complex_numIfEEEvi20rocsparse_direction_NS_24const_host_device_scalarIT2_EEPKiS8_PKS5_SA_S6_PS5_21rocsparse_index_base_b.kd
    .uniform_work_group_size: 1
    .uses_dynamic_stack: false
    .vgpr_count:     54
    .vgpr_spill_count: 0
    .wavefront_size: 64
  - .args:
      - .offset:         0
        .size:           4
        .value_kind:     by_value
      - .offset:         4
        .size:           4
        .value_kind:     by_value
      - .offset:         8
        .size:           8
        .value_kind:     by_value
      - .actual_access:  read_only
        .address_space:  global
        .offset:         16
        .size:           8
        .value_kind:     global_buffer
      - .actual_access:  read_only
        .address_space:  global
        .offset:         24
        .size:           8
        .value_kind:     global_buffer
      - .actual_access:  read_only
        .address_space:  global
        .offset:         32
        .size:           8
        .value_kind:     global_buffer
      - .actual_access:  read_only
        .address_space:  global
        .offset:         40
        .size:           8
        .value_kind:     global_buffer
      - .offset:         48
        .size:           8
        .value_kind:     by_value
      - .address_space:  global
        .offset:         56
        .size:           8
        .value_kind:     global_buffer
      - .offset:         64
        .size:           4
        .value_kind:     by_value
      - .offset:         68
        .size:           1
        .value_kind:     by_value
    .group_segment_fixed_size: 0
    .kernarg_segment_align: 8
    .kernarg_segment_size: 72
    .language:       OpenCL C
    .language_version:
      - 2
      - 0
    .max_flat_workgroup_size: 128
    .name:           _ZN9rocsparseL19gebsrmvn_4xn_kernelILj128ELj5ELj32E21rocsparse_complex_numIfEEEvi20rocsparse_direction_NS_24const_host_device_scalarIT2_EEPKiS8_PKS5_SA_S6_PS5_21rocsparse_index_base_b
    .private_segment_fixed_size: 0
    .sgpr_count:     20
    .sgpr_spill_count: 0
    .symbol:         _ZN9rocsparseL19gebsrmvn_4xn_kernelILj128ELj5ELj32E21rocsparse_complex_numIfEEEvi20rocsparse_direction_NS_24const_host_device_scalarIT2_EEPKiS8_PKS5_SA_S6_PS5_21rocsparse_index_base_b.kd
    .uniform_work_group_size: 1
    .uses_dynamic_stack: false
    .vgpr_count:     54
    .vgpr_spill_count: 0
    .wavefront_size: 64
  - .args:
      - .offset:         0
        .size:           4
        .value_kind:     by_value
      - .offset:         4
        .size:           4
        .value_kind:     by_value
      - .offset:         8
        .size:           8
        .value_kind:     by_value
      - .actual_access:  read_only
        .address_space:  global
        .offset:         16
        .size:           8
        .value_kind:     global_buffer
      - .actual_access:  read_only
        .address_space:  global
        .offset:         24
        .size:           8
        .value_kind:     global_buffer
      - .actual_access:  read_only
        .address_space:  global
        .offset:         32
        .size:           8
        .value_kind:     global_buffer
      - .actual_access:  read_only
        .address_space:  global
        .offset:         40
        .size:           8
        .value_kind:     global_buffer
      - .offset:         48
        .size:           8
        .value_kind:     by_value
      - .address_space:  global
        .offset:         56
        .size:           8
        .value_kind:     global_buffer
      - .offset:         64
        .size:           4
        .value_kind:     by_value
      - .offset:         68
        .size:           1
        .value_kind:     by_value
    .group_segment_fixed_size: 0
    .kernarg_segment_align: 8
    .kernarg_segment_size: 72
    .language:       OpenCL C
    .language_version:
      - 2
      - 0
    .max_flat_workgroup_size: 128
    .name:           _ZN9rocsparseL19gebsrmvn_4xn_kernelILj128ELj5ELj64E21rocsparse_complex_numIfEEEvi20rocsparse_direction_NS_24const_host_device_scalarIT2_EEPKiS8_PKS5_SA_S6_PS5_21rocsparse_index_base_b
    .private_segment_fixed_size: 0
    .sgpr_count:     20
    .sgpr_spill_count: 0
    .symbol:         _ZN9rocsparseL19gebsrmvn_4xn_kernelILj128ELj5ELj64E21rocsparse_complex_numIfEEEvi20rocsparse_direction_NS_24const_host_device_scalarIT2_EEPKiS8_PKS5_SA_S6_PS5_21rocsparse_index_base_b.kd
    .uniform_work_group_size: 1
    .uses_dynamic_stack: false
    .vgpr_count:     54
    .vgpr_spill_count: 0
    .wavefront_size: 64
  - .args:
      - .offset:         0
        .size:           4
        .value_kind:     by_value
      - .offset:         4
        .size:           4
        .value_kind:     by_value
      - .offset:         8
        .size:           8
        .value_kind:     by_value
      - .actual_access:  read_only
        .address_space:  global
        .offset:         16
        .size:           8
        .value_kind:     global_buffer
      - .actual_access:  read_only
        .address_space:  global
        .offset:         24
        .size:           8
        .value_kind:     global_buffer
      - .actual_access:  read_only
        .address_space:  global
        .offset:         32
        .size:           8
        .value_kind:     global_buffer
      - .actual_access:  read_only
        .address_space:  global
        .offset:         40
        .size:           8
        .value_kind:     global_buffer
      - .offset:         48
        .size:           8
        .value_kind:     by_value
      - .address_space:  global
        .offset:         56
        .size:           8
        .value_kind:     global_buffer
      - .offset:         64
        .size:           4
        .value_kind:     by_value
      - .offset:         68
        .size:           1
        .value_kind:     by_value
    .group_segment_fixed_size: 0
    .kernarg_segment_align: 8
    .kernarg_segment_size: 72
    .language:       OpenCL C
    .language_version:
      - 2
      - 0
    .max_flat_workgroup_size: 128
    .name:           _ZN9rocsparseL19gebsrmvn_4xn_kernelILj128ELj6ELj4E21rocsparse_complex_numIfEEEvi20rocsparse_direction_NS_24const_host_device_scalarIT2_EEPKiS8_PKS5_SA_S6_PS5_21rocsparse_index_base_b
    .private_segment_fixed_size: 0
    .sgpr_count:     24
    .sgpr_spill_count: 0
    .symbol:         _ZN9rocsparseL19gebsrmvn_4xn_kernelILj128ELj6ELj4E21rocsparse_complex_numIfEEEvi20rocsparse_direction_NS_24const_host_device_scalarIT2_EEPKiS8_PKS5_SA_S6_PS5_21rocsparse_index_base_b.kd
    .uniform_work_group_size: 1
    .uses_dynamic_stack: false
    .vgpr_count:     64
    .vgpr_spill_count: 0
    .wavefront_size: 64
  - .args:
      - .offset:         0
        .size:           4
        .value_kind:     by_value
      - .offset:         4
        .size:           4
        .value_kind:     by_value
      - .offset:         8
        .size:           8
        .value_kind:     by_value
      - .actual_access:  read_only
        .address_space:  global
        .offset:         16
        .size:           8
        .value_kind:     global_buffer
      - .actual_access:  read_only
        .address_space:  global
        .offset:         24
        .size:           8
        .value_kind:     global_buffer
      - .actual_access:  read_only
        .address_space:  global
        .offset:         32
        .size:           8
        .value_kind:     global_buffer
      - .actual_access:  read_only
        .address_space:  global
        .offset:         40
        .size:           8
        .value_kind:     global_buffer
      - .offset:         48
        .size:           8
        .value_kind:     by_value
      - .address_space:  global
        .offset:         56
        .size:           8
        .value_kind:     global_buffer
      - .offset:         64
        .size:           4
        .value_kind:     by_value
      - .offset:         68
        .size:           1
        .value_kind:     by_value
    .group_segment_fixed_size: 0
    .kernarg_segment_align: 8
    .kernarg_segment_size: 72
    .language:       OpenCL C
    .language_version:
      - 2
      - 0
    .max_flat_workgroup_size: 128
    .name:           _ZN9rocsparseL19gebsrmvn_4xn_kernelILj128ELj6ELj8E21rocsparse_complex_numIfEEEvi20rocsparse_direction_NS_24const_host_device_scalarIT2_EEPKiS8_PKS5_SA_S6_PS5_21rocsparse_index_base_b
    .private_segment_fixed_size: 0
    .sgpr_count:     24
    .sgpr_spill_count: 0
    .symbol:         _ZN9rocsparseL19gebsrmvn_4xn_kernelILj128ELj6ELj8E21rocsparse_complex_numIfEEEvi20rocsparse_direction_NS_24const_host_device_scalarIT2_EEPKiS8_PKS5_SA_S6_PS5_21rocsparse_index_base_b.kd
    .uniform_work_group_size: 1
    .uses_dynamic_stack: false
    .vgpr_count:     64
    .vgpr_spill_count: 0
    .wavefront_size: 64
  - .args:
      - .offset:         0
        .size:           4
        .value_kind:     by_value
      - .offset:         4
        .size:           4
        .value_kind:     by_value
      - .offset:         8
        .size:           8
        .value_kind:     by_value
      - .actual_access:  read_only
        .address_space:  global
        .offset:         16
        .size:           8
        .value_kind:     global_buffer
      - .actual_access:  read_only
        .address_space:  global
        .offset:         24
        .size:           8
        .value_kind:     global_buffer
      - .actual_access:  read_only
        .address_space:  global
        .offset:         32
        .size:           8
        .value_kind:     global_buffer
      - .actual_access:  read_only
        .address_space:  global
        .offset:         40
        .size:           8
        .value_kind:     global_buffer
      - .offset:         48
        .size:           8
        .value_kind:     by_value
      - .address_space:  global
        .offset:         56
        .size:           8
        .value_kind:     global_buffer
      - .offset:         64
        .size:           4
        .value_kind:     by_value
      - .offset:         68
        .size:           1
        .value_kind:     by_value
    .group_segment_fixed_size: 0
    .kernarg_segment_align: 8
    .kernarg_segment_size: 72
    .language:       OpenCL C
    .language_version:
      - 2
      - 0
    .max_flat_workgroup_size: 128
    .name:           _ZN9rocsparseL19gebsrmvn_4xn_kernelILj128ELj6ELj16E21rocsparse_complex_numIfEEEvi20rocsparse_direction_NS_24const_host_device_scalarIT2_EEPKiS8_PKS5_SA_S6_PS5_21rocsparse_index_base_b
    .private_segment_fixed_size: 0
    .sgpr_count:     24
    .sgpr_spill_count: 0
    .symbol:         _ZN9rocsparseL19gebsrmvn_4xn_kernelILj128ELj6ELj16E21rocsparse_complex_numIfEEEvi20rocsparse_direction_NS_24const_host_device_scalarIT2_EEPKiS8_PKS5_SA_S6_PS5_21rocsparse_index_base_b.kd
    .uniform_work_group_size: 1
    .uses_dynamic_stack: false
    .vgpr_count:     64
    .vgpr_spill_count: 0
    .wavefront_size: 64
  - .args:
      - .offset:         0
        .size:           4
        .value_kind:     by_value
      - .offset:         4
        .size:           4
        .value_kind:     by_value
      - .offset:         8
        .size:           8
        .value_kind:     by_value
      - .actual_access:  read_only
        .address_space:  global
        .offset:         16
        .size:           8
        .value_kind:     global_buffer
      - .actual_access:  read_only
        .address_space:  global
        .offset:         24
        .size:           8
        .value_kind:     global_buffer
      - .actual_access:  read_only
        .address_space:  global
        .offset:         32
        .size:           8
        .value_kind:     global_buffer
      - .actual_access:  read_only
        .address_space:  global
        .offset:         40
        .size:           8
        .value_kind:     global_buffer
      - .offset:         48
        .size:           8
        .value_kind:     by_value
      - .address_space:  global
        .offset:         56
        .size:           8
        .value_kind:     global_buffer
      - .offset:         64
        .size:           4
        .value_kind:     by_value
      - .offset:         68
        .size:           1
        .value_kind:     by_value
    .group_segment_fixed_size: 0
    .kernarg_segment_align: 8
    .kernarg_segment_size: 72
    .language:       OpenCL C
    .language_version:
      - 2
      - 0
    .max_flat_workgroup_size: 128
    .name:           _ZN9rocsparseL19gebsrmvn_4xn_kernelILj128ELj6ELj32E21rocsparse_complex_numIfEEEvi20rocsparse_direction_NS_24const_host_device_scalarIT2_EEPKiS8_PKS5_SA_S6_PS5_21rocsparse_index_base_b
    .private_segment_fixed_size: 0
    .sgpr_count:     24
    .sgpr_spill_count: 0
    .symbol:         _ZN9rocsparseL19gebsrmvn_4xn_kernelILj128ELj6ELj32E21rocsparse_complex_numIfEEEvi20rocsparse_direction_NS_24const_host_device_scalarIT2_EEPKiS8_PKS5_SA_S6_PS5_21rocsparse_index_base_b.kd
    .uniform_work_group_size: 1
    .uses_dynamic_stack: false
    .vgpr_count:     64
    .vgpr_spill_count: 0
    .wavefront_size: 64
  - .args:
      - .offset:         0
        .size:           4
        .value_kind:     by_value
      - .offset:         4
        .size:           4
        .value_kind:     by_value
      - .offset:         8
        .size:           8
        .value_kind:     by_value
      - .actual_access:  read_only
        .address_space:  global
        .offset:         16
        .size:           8
        .value_kind:     global_buffer
      - .actual_access:  read_only
        .address_space:  global
        .offset:         24
        .size:           8
        .value_kind:     global_buffer
      - .actual_access:  read_only
        .address_space:  global
        .offset:         32
        .size:           8
        .value_kind:     global_buffer
      - .actual_access:  read_only
        .address_space:  global
        .offset:         40
        .size:           8
        .value_kind:     global_buffer
      - .offset:         48
        .size:           8
        .value_kind:     by_value
      - .address_space:  global
        .offset:         56
        .size:           8
        .value_kind:     global_buffer
      - .offset:         64
        .size:           4
        .value_kind:     by_value
      - .offset:         68
        .size:           1
        .value_kind:     by_value
    .group_segment_fixed_size: 0
    .kernarg_segment_align: 8
    .kernarg_segment_size: 72
    .language:       OpenCL C
    .language_version:
      - 2
      - 0
    .max_flat_workgroup_size: 128
    .name:           _ZN9rocsparseL19gebsrmvn_4xn_kernelILj128ELj6ELj64E21rocsparse_complex_numIfEEEvi20rocsparse_direction_NS_24const_host_device_scalarIT2_EEPKiS8_PKS5_SA_S6_PS5_21rocsparse_index_base_b
    .private_segment_fixed_size: 0
    .sgpr_count:     24
    .sgpr_spill_count: 0
    .symbol:         _ZN9rocsparseL19gebsrmvn_4xn_kernelILj128ELj6ELj64E21rocsparse_complex_numIfEEEvi20rocsparse_direction_NS_24const_host_device_scalarIT2_EEPKiS8_PKS5_SA_S6_PS5_21rocsparse_index_base_b.kd
    .uniform_work_group_size: 1
    .uses_dynamic_stack: false
    .vgpr_count:     64
    .vgpr_spill_count: 0
    .wavefront_size: 64
  - .args:
      - .offset:         0
        .size:           4
        .value_kind:     by_value
      - .offset:         4
        .size:           4
        .value_kind:     by_value
      - .offset:         8
        .size:           8
        .value_kind:     by_value
      - .actual_access:  read_only
        .address_space:  global
        .offset:         16
        .size:           8
        .value_kind:     global_buffer
      - .actual_access:  read_only
        .address_space:  global
        .offset:         24
        .size:           8
        .value_kind:     global_buffer
      - .actual_access:  read_only
        .address_space:  global
        .offset:         32
        .size:           8
        .value_kind:     global_buffer
      - .actual_access:  read_only
        .address_space:  global
        .offset:         40
        .size:           8
        .value_kind:     global_buffer
      - .offset:         48
        .size:           8
        .value_kind:     by_value
      - .address_space:  global
        .offset:         56
        .size:           8
        .value_kind:     global_buffer
      - .offset:         64
        .size:           4
        .value_kind:     by_value
      - .offset:         68
        .size:           1
        .value_kind:     by_value
    .group_segment_fixed_size: 0
    .kernarg_segment_align: 8
    .kernarg_segment_size: 72
    .language:       OpenCL C
    .language_version:
      - 2
      - 0
    .max_flat_workgroup_size: 128
    .name:           _ZN9rocsparseL19gebsrmvn_4xn_kernelILj128ELj7ELj4E21rocsparse_complex_numIfEEEvi20rocsparse_direction_NS_24const_host_device_scalarIT2_EEPKiS8_PKS5_SA_S6_PS5_21rocsparse_index_base_b
    .private_segment_fixed_size: 0
    .sgpr_count:     20
    .sgpr_spill_count: 0
    .symbol:         _ZN9rocsparseL19gebsrmvn_4xn_kernelILj128ELj7ELj4E21rocsparse_complex_numIfEEEvi20rocsparse_direction_NS_24const_host_device_scalarIT2_EEPKiS8_PKS5_SA_S6_PS5_21rocsparse_index_base_b.kd
    .uniform_work_group_size: 1
    .uses_dynamic_stack: false
    .vgpr_count:     54
    .vgpr_spill_count: 0
    .wavefront_size: 64
  - .args:
      - .offset:         0
        .size:           4
        .value_kind:     by_value
      - .offset:         4
        .size:           4
        .value_kind:     by_value
      - .offset:         8
        .size:           8
        .value_kind:     by_value
      - .actual_access:  read_only
        .address_space:  global
        .offset:         16
        .size:           8
        .value_kind:     global_buffer
      - .actual_access:  read_only
        .address_space:  global
        .offset:         24
        .size:           8
        .value_kind:     global_buffer
      - .actual_access:  read_only
        .address_space:  global
        .offset:         32
        .size:           8
        .value_kind:     global_buffer
      - .actual_access:  read_only
        .address_space:  global
        .offset:         40
        .size:           8
        .value_kind:     global_buffer
      - .offset:         48
        .size:           8
        .value_kind:     by_value
      - .address_space:  global
        .offset:         56
        .size:           8
        .value_kind:     global_buffer
      - .offset:         64
        .size:           4
        .value_kind:     by_value
      - .offset:         68
        .size:           1
        .value_kind:     by_value
    .group_segment_fixed_size: 0
    .kernarg_segment_align: 8
    .kernarg_segment_size: 72
    .language:       OpenCL C
    .language_version:
      - 2
      - 0
    .max_flat_workgroup_size: 128
    .name:           _ZN9rocsparseL19gebsrmvn_4xn_kernelILj128ELj7ELj8E21rocsparse_complex_numIfEEEvi20rocsparse_direction_NS_24const_host_device_scalarIT2_EEPKiS8_PKS5_SA_S6_PS5_21rocsparse_index_base_b
    .private_segment_fixed_size: 0
    .sgpr_count:     20
    .sgpr_spill_count: 0
    .symbol:         _ZN9rocsparseL19gebsrmvn_4xn_kernelILj128ELj7ELj8E21rocsparse_complex_numIfEEEvi20rocsparse_direction_NS_24const_host_device_scalarIT2_EEPKiS8_PKS5_SA_S6_PS5_21rocsparse_index_base_b.kd
    .uniform_work_group_size: 1
    .uses_dynamic_stack: false
    .vgpr_count:     54
    .vgpr_spill_count: 0
    .wavefront_size: 64
  - .args:
      - .offset:         0
        .size:           4
        .value_kind:     by_value
      - .offset:         4
        .size:           4
        .value_kind:     by_value
      - .offset:         8
        .size:           8
        .value_kind:     by_value
      - .actual_access:  read_only
        .address_space:  global
        .offset:         16
        .size:           8
        .value_kind:     global_buffer
      - .actual_access:  read_only
        .address_space:  global
        .offset:         24
        .size:           8
        .value_kind:     global_buffer
      - .actual_access:  read_only
        .address_space:  global
        .offset:         32
        .size:           8
        .value_kind:     global_buffer
      - .actual_access:  read_only
        .address_space:  global
        .offset:         40
        .size:           8
        .value_kind:     global_buffer
      - .offset:         48
        .size:           8
        .value_kind:     by_value
      - .address_space:  global
        .offset:         56
        .size:           8
        .value_kind:     global_buffer
      - .offset:         64
        .size:           4
        .value_kind:     by_value
      - .offset:         68
        .size:           1
        .value_kind:     by_value
    .group_segment_fixed_size: 0
    .kernarg_segment_align: 8
    .kernarg_segment_size: 72
    .language:       OpenCL C
    .language_version:
      - 2
      - 0
    .max_flat_workgroup_size: 128
    .name:           _ZN9rocsparseL19gebsrmvn_4xn_kernelILj128ELj7ELj16E21rocsparse_complex_numIfEEEvi20rocsparse_direction_NS_24const_host_device_scalarIT2_EEPKiS8_PKS5_SA_S6_PS5_21rocsparse_index_base_b
    .private_segment_fixed_size: 0
    .sgpr_count:     20
    .sgpr_spill_count: 0
    .symbol:         _ZN9rocsparseL19gebsrmvn_4xn_kernelILj128ELj7ELj16E21rocsparse_complex_numIfEEEvi20rocsparse_direction_NS_24const_host_device_scalarIT2_EEPKiS8_PKS5_SA_S6_PS5_21rocsparse_index_base_b.kd
    .uniform_work_group_size: 1
    .uses_dynamic_stack: false
    .vgpr_count:     54
    .vgpr_spill_count: 0
    .wavefront_size: 64
  - .args:
      - .offset:         0
        .size:           4
        .value_kind:     by_value
      - .offset:         4
        .size:           4
        .value_kind:     by_value
      - .offset:         8
        .size:           8
        .value_kind:     by_value
      - .actual_access:  read_only
        .address_space:  global
        .offset:         16
        .size:           8
        .value_kind:     global_buffer
      - .actual_access:  read_only
        .address_space:  global
        .offset:         24
        .size:           8
        .value_kind:     global_buffer
      - .actual_access:  read_only
        .address_space:  global
        .offset:         32
        .size:           8
        .value_kind:     global_buffer
      - .actual_access:  read_only
        .address_space:  global
        .offset:         40
        .size:           8
        .value_kind:     global_buffer
      - .offset:         48
        .size:           8
        .value_kind:     by_value
      - .address_space:  global
        .offset:         56
        .size:           8
        .value_kind:     global_buffer
      - .offset:         64
        .size:           4
        .value_kind:     by_value
      - .offset:         68
        .size:           1
        .value_kind:     by_value
    .group_segment_fixed_size: 0
    .kernarg_segment_align: 8
    .kernarg_segment_size: 72
    .language:       OpenCL C
    .language_version:
      - 2
      - 0
    .max_flat_workgroup_size: 128
    .name:           _ZN9rocsparseL19gebsrmvn_4xn_kernelILj128ELj7ELj32E21rocsparse_complex_numIfEEEvi20rocsparse_direction_NS_24const_host_device_scalarIT2_EEPKiS8_PKS5_SA_S6_PS5_21rocsparse_index_base_b
    .private_segment_fixed_size: 0
    .sgpr_count:     20
    .sgpr_spill_count: 0
    .symbol:         _ZN9rocsparseL19gebsrmvn_4xn_kernelILj128ELj7ELj32E21rocsparse_complex_numIfEEEvi20rocsparse_direction_NS_24const_host_device_scalarIT2_EEPKiS8_PKS5_SA_S6_PS5_21rocsparse_index_base_b.kd
    .uniform_work_group_size: 1
    .uses_dynamic_stack: false
    .vgpr_count:     54
    .vgpr_spill_count: 0
    .wavefront_size: 64
  - .args:
      - .offset:         0
        .size:           4
        .value_kind:     by_value
      - .offset:         4
        .size:           4
        .value_kind:     by_value
      - .offset:         8
        .size:           8
        .value_kind:     by_value
      - .actual_access:  read_only
        .address_space:  global
        .offset:         16
        .size:           8
        .value_kind:     global_buffer
      - .actual_access:  read_only
        .address_space:  global
        .offset:         24
        .size:           8
        .value_kind:     global_buffer
      - .actual_access:  read_only
        .address_space:  global
        .offset:         32
        .size:           8
        .value_kind:     global_buffer
      - .actual_access:  read_only
        .address_space:  global
        .offset:         40
        .size:           8
        .value_kind:     global_buffer
      - .offset:         48
        .size:           8
        .value_kind:     by_value
      - .address_space:  global
        .offset:         56
        .size:           8
        .value_kind:     global_buffer
      - .offset:         64
        .size:           4
        .value_kind:     by_value
      - .offset:         68
        .size:           1
        .value_kind:     by_value
    .group_segment_fixed_size: 0
    .kernarg_segment_align: 8
    .kernarg_segment_size: 72
    .language:       OpenCL C
    .language_version:
      - 2
      - 0
    .max_flat_workgroup_size: 128
    .name:           _ZN9rocsparseL19gebsrmvn_4xn_kernelILj128ELj7ELj64E21rocsparse_complex_numIfEEEvi20rocsparse_direction_NS_24const_host_device_scalarIT2_EEPKiS8_PKS5_SA_S6_PS5_21rocsparse_index_base_b
    .private_segment_fixed_size: 0
    .sgpr_count:     20
    .sgpr_spill_count: 0
    .symbol:         _ZN9rocsparseL19gebsrmvn_4xn_kernelILj128ELj7ELj64E21rocsparse_complex_numIfEEEvi20rocsparse_direction_NS_24const_host_device_scalarIT2_EEPKiS8_PKS5_SA_S6_PS5_21rocsparse_index_base_b.kd
    .uniform_work_group_size: 1
    .uses_dynamic_stack: false
    .vgpr_count:     54
    .vgpr_spill_count: 0
    .wavefront_size: 64
  - .args:
      - .offset:         0
        .size:           4
        .value_kind:     by_value
      - .offset:         4
        .size:           4
        .value_kind:     by_value
      - .offset:         8
        .size:           8
        .value_kind:     by_value
      - .actual_access:  read_only
        .address_space:  global
        .offset:         16
        .size:           8
        .value_kind:     global_buffer
      - .actual_access:  read_only
        .address_space:  global
        .offset:         24
        .size:           8
        .value_kind:     global_buffer
      - .actual_access:  read_only
        .address_space:  global
        .offset:         32
        .size:           8
        .value_kind:     global_buffer
      - .actual_access:  read_only
        .address_space:  global
        .offset:         40
        .size:           8
        .value_kind:     global_buffer
      - .offset:         48
        .size:           8
        .value_kind:     by_value
      - .address_space:  global
        .offset:         56
        .size:           8
        .value_kind:     global_buffer
      - .offset:         64
        .size:           4
        .value_kind:     by_value
      - .offset:         68
        .size:           1
        .value_kind:     by_value
    .group_segment_fixed_size: 0
    .kernarg_segment_align: 8
    .kernarg_segment_size: 72
    .language:       OpenCL C
    .language_version:
      - 2
      - 0
    .max_flat_workgroup_size: 128
    .name:           _ZN9rocsparseL19gebsrmvn_4xn_kernelILj128ELj8ELj4E21rocsparse_complex_numIfEEEvi20rocsparse_direction_NS_24const_host_device_scalarIT2_EEPKiS8_PKS5_SA_S6_PS5_21rocsparse_index_base_b
    .private_segment_fixed_size: 0
    .sgpr_count:     20
    .sgpr_spill_count: 0
    .symbol:         _ZN9rocsparseL19gebsrmvn_4xn_kernelILj128ELj8ELj4E21rocsparse_complex_numIfEEEvi20rocsparse_direction_NS_24const_host_device_scalarIT2_EEPKiS8_PKS5_SA_S6_PS5_21rocsparse_index_base_b.kd
    .uniform_work_group_size: 1
    .uses_dynamic_stack: false
    .vgpr_count:     56
    .vgpr_spill_count: 0
    .wavefront_size: 64
  - .args:
      - .offset:         0
        .size:           4
        .value_kind:     by_value
      - .offset:         4
        .size:           4
        .value_kind:     by_value
      - .offset:         8
        .size:           8
        .value_kind:     by_value
      - .actual_access:  read_only
        .address_space:  global
        .offset:         16
        .size:           8
        .value_kind:     global_buffer
      - .actual_access:  read_only
        .address_space:  global
        .offset:         24
        .size:           8
        .value_kind:     global_buffer
      - .actual_access:  read_only
        .address_space:  global
        .offset:         32
        .size:           8
        .value_kind:     global_buffer
      - .actual_access:  read_only
        .address_space:  global
        .offset:         40
        .size:           8
        .value_kind:     global_buffer
      - .offset:         48
        .size:           8
        .value_kind:     by_value
      - .address_space:  global
        .offset:         56
        .size:           8
        .value_kind:     global_buffer
      - .offset:         64
        .size:           4
        .value_kind:     by_value
      - .offset:         68
        .size:           1
        .value_kind:     by_value
    .group_segment_fixed_size: 0
    .kernarg_segment_align: 8
    .kernarg_segment_size: 72
    .language:       OpenCL C
    .language_version:
      - 2
      - 0
    .max_flat_workgroup_size: 128
    .name:           _ZN9rocsparseL19gebsrmvn_4xn_kernelILj128ELj8ELj8E21rocsparse_complex_numIfEEEvi20rocsparse_direction_NS_24const_host_device_scalarIT2_EEPKiS8_PKS5_SA_S6_PS5_21rocsparse_index_base_b
    .private_segment_fixed_size: 0
    .sgpr_count:     20
    .sgpr_spill_count: 0
    .symbol:         _ZN9rocsparseL19gebsrmvn_4xn_kernelILj128ELj8ELj8E21rocsparse_complex_numIfEEEvi20rocsparse_direction_NS_24const_host_device_scalarIT2_EEPKiS8_PKS5_SA_S6_PS5_21rocsparse_index_base_b.kd
    .uniform_work_group_size: 1
    .uses_dynamic_stack: false
    .vgpr_count:     56
    .vgpr_spill_count: 0
    .wavefront_size: 64
  - .args:
      - .offset:         0
        .size:           4
        .value_kind:     by_value
      - .offset:         4
        .size:           4
        .value_kind:     by_value
      - .offset:         8
        .size:           8
        .value_kind:     by_value
      - .actual_access:  read_only
        .address_space:  global
        .offset:         16
        .size:           8
        .value_kind:     global_buffer
      - .actual_access:  read_only
        .address_space:  global
        .offset:         24
        .size:           8
        .value_kind:     global_buffer
      - .actual_access:  read_only
        .address_space:  global
        .offset:         32
        .size:           8
        .value_kind:     global_buffer
      - .actual_access:  read_only
        .address_space:  global
        .offset:         40
        .size:           8
        .value_kind:     global_buffer
      - .offset:         48
        .size:           8
        .value_kind:     by_value
      - .address_space:  global
        .offset:         56
        .size:           8
        .value_kind:     global_buffer
      - .offset:         64
        .size:           4
        .value_kind:     by_value
      - .offset:         68
        .size:           1
        .value_kind:     by_value
    .group_segment_fixed_size: 0
    .kernarg_segment_align: 8
    .kernarg_segment_size: 72
    .language:       OpenCL C
    .language_version:
      - 2
      - 0
    .max_flat_workgroup_size: 128
    .name:           _ZN9rocsparseL19gebsrmvn_4xn_kernelILj128ELj8ELj16E21rocsparse_complex_numIfEEEvi20rocsparse_direction_NS_24const_host_device_scalarIT2_EEPKiS8_PKS5_SA_S6_PS5_21rocsparse_index_base_b
    .private_segment_fixed_size: 0
    .sgpr_count:     20
    .sgpr_spill_count: 0
    .symbol:         _ZN9rocsparseL19gebsrmvn_4xn_kernelILj128ELj8ELj16E21rocsparse_complex_numIfEEEvi20rocsparse_direction_NS_24const_host_device_scalarIT2_EEPKiS8_PKS5_SA_S6_PS5_21rocsparse_index_base_b.kd
    .uniform_work_group_size: 1
    .uses_dynamic_stack: false
    .vgpr_count:     56
    .vgpr_spill_count: 0
    .wavefront_size: 64
  - .args:
      - .offset:         0
        .size:           4
        .value_kind:     by_value
      - .offset:         4
        .size:           4
        .value_kind:     by_value
      - .offset:         8
        .size:           8
        .value_kind:     by_value
      - .actual_access:  read_only
        .address_space:  global
        .offset:         16
        .size:           8
        .value_kind:     global_buffer
      - .actual_access:  read_only
        .address_space:  global
        .offset:         24
        .size:           8
        .value_kind:     global_buffer
      - .actual_access:  read_only
        .address_space:  global
        .offset:         32
        .size:           8
        .value_kind:     global_buffer
      - .actual_access:  read_only
        .address_space:  global
        .offset:         40
        .size:           8
        .value_kind:     global_buffer
      - .offset:         48
        .size:           8
        .value_kind:     by_value
      - .address_space:  global
        .offset:         56
        .size:           8
        .value_kind:     global_buffer
      - .offset:         64
        .size:           4
        .value_kind:     by_value
      - .offset:         68
        .size:           1
        .value_kind:     by_value
    .group_segment_fixed_size: 0
    .kernarg_segment_align: 8
    .kernarg_segment_size: 72
    .language:       OpenCL C
    .language_version:
      - 2
      - 0
    .max_flat_workgroup_size: 128
    .name:           _ZN9rocsparseL19gebsrmvn_4xn_kernelILj128ELj8ELj32E21rocsparse_complex_numIfEEEvi20rocsparse_direction_NS_24const_host_device_scalarIT2_EEPKiS8_PKS5_SA_S6_PS5_21rocsparse_index_base_b
    .private_segment_fixed_size: 0
    .sgpr_count:     20
    .sgpr_spill_count: 0
    .symbol:         _ZN9rocsparseL19gebsrmvn_4xn_kernelILj128ELj8ELj32E21rocsparse_complex_numIfEEEvi20rocsparse_direction_NS_24const_host_device_scalarIT2_EEPKiS8_PKS5_SA_S6_PS5_21rocsparse_index_base_b.kd
    .uniform_work_group_size: 1
    .uses_dynamic_stack: false
    .vgpr_count:     56
    .vgpr_spill_count: 0
    .wavefront_size: 64
  - .args:
      - .offset:         0
        .size:           4
        .value_kind:     by_value
      - .offset:         4
        .size:           4
        .value_kind:     by_value
      - .offset:         8
        .size:           8
        .value_kind:     by_value
      - .actual_access:  read_only
        .address_space:  global
        .offset:         16
        .size:           8
        .value_kind:     global_buffer
      - .actual_access:  read_only
        .address_space:  global
        .offset:         24
        .size:           8
        .value_kind:     global_buffer
      - .actual_access:  read_only
        .address_space:  global
        .offset:         32
        .size:           8
        .value_kind:     global_buffer
      - .actual_access:  read_only
        .address_space:  global
        .offset:         40
        .size:           8
        .value_kind:     global_buffer
      - .offset:         48
        .size:           8
        .value_kind:     by_value
      - .address_space:  global
        .offset:         56
        .size:           8
        .value_kind:     global_buffer
      - .offset:         64
        .size:           4
        .value_kind:     by_value
      - .offset:         68
        .size:           1
        .value_kind:     by_value
    .group_segment_fixed_size: 0
    .kernarg_segment_align: 8
    .kernarg_segment_size: 72
    .language:       OpenCL C
    .language_version:
      - 2
      - 0
    .max_flat_workgroup_size: 128
    .name:           _ZN9rocsparseL19gebsrmvn_4xn_kernelILj128ELj8ELj64E21rocsparse_complex_numIfEEEvi20rocsparse_direction_NS_24const_host_device_scalarIT2_EEPKiS8_PKS5_SA_S6_PS5_21rocsparse_index_base_b
    .private_segment_fixed_size: 0
    .sgpr_count:     20
    .sgpr_spill_count: 0
    .symbol:         _ZN9rocsparseL19gebsrmvn_4xn_kernelILj128ELj8ELj64E21rocsparse_complex_numIfEEEvi20rocsparse_direction_NS_24const_host_device_scalarIT2_EEPKiS8_PKS5_SA_S6_PS5_21rocsparse_index_base_b.kd
    .uniform_work_group_size: 1
    .uses_dynamic_stack: false
    .vgpr_count:     56
    .vgpr_spill_count: 0
    .wavefront_size: 64
  - .args:
      - .offset:         0
        .size:           4
        .value_kind:     by_value
      - .offset:         4
        .size:           4
        .value_kind:     by_value
      - .offset:         8
        .size:           8
        .value_kind:     by_value
      - .actual_access:  read_only
        .address_space:  global
        .offset:         16
        .size:           8
        .value_kind:     global_buffer
      - .actual_access:  read_only
        .address_space:  global
        .offset:         24
        .size:           8
        .value_kind:     global_buffer
      - .actual_access:  read_only
        .address_space:  global
        .offset:         32
        .size:           8
        .value_kind:     global_buffer
      - .offset:         40
        .size:           4
        .value_kind:     by_value
      - .offset:         44
        .size:           4
        .value_kind:     by_value
      - .actual_access:  read_only
        .address_space:  global
        .offset:         48
        .size:           8
        .value_kind:     global_buffer
      - .offset:         56
        .size:           8
        .value_kind:     by_value
      - .address_space:  global
        .offset:         64
        .size:           8
        .value_kind:     global_buffer
      - .offset:         72
        .size:           4
        .value_kind:     by_value
      - .offset:         76
        .size:           1
        .value_kind:     by_value
    .group_segment_fixed_size: 0
    .kernarg_segment_align: 8
    .kernarg_segment_size: 80
    .language:       OpenCL C
    .language_version:
      - 2
      - 0
    .max_flat_workgroup_size: 64
    .name:           _ZN9rocsparseL23gebsrmvn_general_kernelILj64ELj16E21rocsparse_complex_numIfEEEvi20rocsparse_direction_NS_24const_host_device_scalarIT1_EEPKiS8_PKS5_iiSA_S6_PS5_21rocsparse_index_base_b
    .private_segment_fixed_size: 0
    .sgpr_count:     42
    .sgpr_spill_count: 0
    .symbol:         _ZN9rocsparseL23gebsrmvn_general_kernelILj64ELj16E21rocsparse_complex_numIfEEEvi20rocsparse_direction_NS_24const_host_device_scalarIT1_EEPKiS8_PKS5_iiSA_S6_PS5_21rocsparse_index_base_b.kd
    .uniform_work_group_size: 1
    .uses_dynamic_stack: false
    .vgpr_count:     16
    .vgpr_spill_count: 0
    .wavefront_size: 64
  - .args:
      - .offset:         0
        .size:           4
        .value_kind:     by_value
      - .offset:         4
        .size:           4
        .value_kind:     by_value
      - .offset:         8
        .size:           8
        .value_kind:     by_value
      - .actual_access:  read_only
        .address_space:  global
        .offset:         16
        .size:           8
        .value_kind:     global_buffer
      - .actual_access:  read_only
        .address_space:  global
        .offset:         24
        .size:           8
        .value_kind:     global_buffer
      - .actual_access:  read_only
        .address_space:  global
        .offset:         32
        .size:           8
        .value_kind:     global_buffer
      - .offset:         40
        .size:           4
        .value_kind:     by_value
      - .offset:         44
        .size:           4
        .value_kind:     by_value
      - .actual_access:  read_only
        .address_space:  global
        .offset:         48
        .size:           8
        .value_kind:     global_buffer
      - .offset:         56
        .size:           8
        .value_kind:     by_value
      - .address_space:  global
        .offset:         64
        .size:           8
        .value_kind:     global_buffer
      - .offset:         72
        .size:           4
        .value_kind:     by_value
      - .offset:         76
        .size:           1
        .value_kind:     by_value
    .group_segment_fixed_size: 0
    .kernarg_segment_align: 8
    .kernarg_segment_size: 80
    .language:       OpenCL C
    .language_version:
      - 2
      - 0
    .max_flat_workgroup_size: 128
    .name:           _ZN9rocsparseL23gebsrmvn_general_kernelILj128ELj32E21rocsparse_complex_numIfEEEvi20rocsparse_direction_NS_24const_host_device_scalarIT1_EEPKiS8_PKS5_iiSA_S6_PS5_21rocsparse_index_base_b
    .private_segment_fixed_size: 0
    .sgpr_count:     42
    .sgpr_spill_count: 0
    .symbol:         _ZN9rocsparseL23gebsrmvn_general_kernelILj128ELj32E21rocsparse_complex_numIfEEEvi20rocsparse_direction_NS_24const_host_device_scalarIT1_EEPKiS8_PKS5_iiSA_S6_PS5_21rocsparse_index_base_b.kd
    .uniform_work_group_size: 1
    .uses_dynamic_stack: false
    .vgpr_count:     16
    .vgpr_spill_count: 0
    .wavefront_size: 64
  - .args:
      - .offset:         0
        .size:           4
        .value_kind:     by_value
      - .offset:         4
        .size:           4
        .value_kind:     by_value
      - .offset:         8
        .size:           16
        .value_kind:     by_value
      - .actual_access:  read_only
        .address_space:  global
        .offset:         24
        .size:           8
        .value_kind:     global_buffer
      - .actual_access:  read_only
        .address_space:  global
        .offset:         32
        .size:           8
        .value_kind:     global_buffer
      - .actual_access:  read_only
        .address_space:  global
        .offset:         40
        .size:           8
        .value_kind:     global_buffer
      - .actual_access:  read_only
        .address_space:  global
        .offset:         48
        .size:           8
        .value_kind:     global_buffer
      - .offset:         56
        .size:           16
        .value_kind:     by_value
      - .address_space:  global
        .offset:         72
        .size:           8
        .value_kind:     global_buffer
      - .offset:         80
        .size:           4
        .value_kind:     by_value
      - .offset:         84
        .size:           1
        .value_kind:     by_value
    .group_segment_fixed_size: 0
    .kernarg_segment_align: 8
    .kernarg_segment_size: 88
    .language:       OpenCL C
    .language_version:
      - 2
      - 0
    .max_flat_workgroup_size: 128
    .name:           _ZN9rocsparseL19gebsrmvn_4xn_kernelILj128ELj1ELj4E21rocsparse_complex_numIdEEEvi20rocsparse_direction_NS_24const_host_device_scalarIT2_EEPKiS8_PKS5_SA_S6_PS5_21rocsparse_index_base_b
    .private_segment_fixed_size: 0
    .sgpr_count:     20
    .sgpr_spill_count: 0
    .symbol:         _ZN9rocsparseL19gebsrmvn_4xn_kernelILj128ELj1ELj4E21rocsparse_complex_numIdEEEvi20rocsparse_direction_NS_24const_host_device_scalarIT2_EEPKiS8_PKS5_SA_S6_PS5_21rocsparse_index_base_b.kd
    .uniform_work_group_size: 1
    .uses_dynamic_stack: false
    .vgpr_count:     55
    .vgpr_spill_count: 0
    .wavefront_size: 64
  - .args:
      - .offset:         0
        .size:           4
        .value_kind:     by_value
      - .offset:         4
        .size:           4
        .value_kind:     by_value
      - .offset:         8
        .size:           16
        .value_kind:     by_value
      - .actual_access:  read_only
        .address_space:  global
        .offset:         24
        .size:           8
        .value_kind:     global_buffer
      - .actual_access:  read_only
        .address_space:  global
        .offset:         32
        .size:           8
        .value_kind:     global_buffer
      - .actual_access:  read_only
        .address_space:  global
        .offset:         40
        .size:           8
        .value_kind:     global_buffer
      - .actual_access:  read_only
        .address_space:  global
        .offset:         48
        .size:           8
        .value_kind:     global_buffer
      - .offset:         56
        .size:           16
        .value_kind:     by_value
      - .address_space:  global
        .offset:         72
        .size:           8
        .value_kind:     global_buffer
      - .offset:         80
        .size:           4
        .value_kind:     by_value
      - .offset:         84
        .size:           1
        .value_kind:     by_value
    .group_segment_fixed_size: 0
    .kernarg_segment_align: 8
    .kernarg_segment_size: 88
    .language:       OpenCL C
    .language_version:
      - 2
      - 0
    .max_flat_workgroup_size: 128
    .name:           _ZN9rocsparseL19gebsrmvn_4xn_kernelILj128ELj1ELj8E21rocsparse_complex_numIdEEEvi20rocsparse_direction_NS_24const_host_device_scalarIT2_EEPKiS8_PKS5_SA_S6_PS5_21rocsparse_index_base_b
    .private_segment_fixed_size: 0
    .sgpr_count:     20
    .sgpr_spill_count: 0
    .symbol:         _ZN9rocsparseL19gebsrmvn_4xn_kernelILj128ELj1ELj8E21rocsparse_complex_numIdEEEvi20rocsparse_direction_NS_24const_host_device_scalarIT2_EEPKiS8_PKS5_SA_S6_PS5_21rocsparse_index_base_b.kd
    .uniform_work_group_size: 1
    .uses_dynamic_stack: false
    .vgpr_count:     55
    .vgpr_spill_count: 0
    .wavefront_size: 64
  - .args:
      - .offset:         0
        .size:           4
        .value_kind:     by_value
      - .offset:         4
        .size:           4
        .value_kind:     by_value
      - .offset:         8
        .size:           16
        .value_kind:     by_value
      - .actual_access:  read_only
        .address_space:  global
        .offset:         24
        .size:           8
        .value_kind:     global_buffer
      - .actual_access:  read_only
        .address_space:  global
        .offset:         32
        .size:           8
        .value_kind:     global_buffer
      - .actual_access:  read_only
        .address_space:  global
        .offset:         40
        .size:           8
        .value_kind:     global_buffer
      - .actual_access:  read_only
        .address_space:  global
        .offset:         48
        .size:           8
        .value_kind:     global_buffer
      - .offset:         56
        .size:           16
        .value_kind:     by_value
      - .address_space:  global
        .offset:         72
        .size:           8
        .value_kind:     global_buffer
      - .offset:         80
        .size:           4
        .value_kind:     by_value
      - .offset:         84
        .size:           1
        .value_kind:     by_value
    .group_segment_fixed_size: 0
    .kernarg_segment_align: 8
    .kernarg_segment_size: 88
    .language:       OpenCL C
    .language_version:
      - 2
      - 0
    .max_flat_workgroup_size: 128
    .name:           _ZN9rocsparseL19gebsrmvn_4xn_kernelILj128ELj1ELj16E21rocsparse_complex_numIdEEEvi20rocsparse_direction_NS_24const_host_device_scalarIT2_EEPKiS8_PKS5_SA_S6_PS5_21rocsparse_index_base_b
    .private_segment_fixed_size: 0
    .sgpr_count:     20
    .sgpr_spill_count: 0
    .symbol:         _ZN9rocsparseL19gebsrmvn_4xn_kernelILj128ELj1ELj16E21rocsparse_complex_numIdEEEvi20rocsparse_direction_NS_24const_host_device_scalarIT2_EEPKiS8_PKS5_SA_S6_PS5_21rocsparse_index_base_b.kd
    .uniform_work_group_size: 1
    .uses_dynamic_stack: false
    .vgpr_count:     55
    .vgpr_spill_count: 0
    .wavefront_size: 64
  - .args:
      - .offset:         0
        .size:           4
        .value_kind:     by_value
      - .offset:         4
        .size:           4
        .value_kind:     by_value
      - .offset:         8
        .size:           16
        .value_kind:     by_value
      - .actual_access:  read_only
        .address_space:  global
        .offset:         24
        .size:           8
        .value_kind:     global_buffer
      - .actual_access:  read_only
        .address_space:  global
        .offset:         32
        .size:           8
        .value_kind:     global_buffer
      - .actual_access:  read_only
        .address_space:  global
        .offset:         40
        .size:           8
        .value_kind:     global_buffer
      - .actual_access:  read_only
        .address_space:  global
        .offset:         48
        .size:           8
        .value_kind:     global_buffer
      - .offset:         56
        .size:           16
        .value_kind:     by_value
      - .address_space:  global
        .offset:         72
        .size:           8
        .value_kind:     global_buffer
      - .offset:         80
        .size:           4
        .value_kind:     by_value
      - .offset:         84
        .size:           1
        .value_kind:     by_value
    .group_segment_fixed_size: 0
    .kernarg_segment_align: 8
    .kernarg_segment_size: 88
    .language:       OpenCL C
    .language_version:
      - 2
      - 0
    .max_flat_workgroup_size: 128
    .name:           _ZN9rocsparseL19gebsrmvn_4xn_kernelILj128ELj1ELj32E21rocsparse_complex_numIdEEEvi20rocsparse_direction_NS_24const_host_device_scalarIT2_EEPKiS8_PKS5_SA_S6_PS5_21rocsparse_index_base_b
    .private_segment_fixed_size: 0
    .sgpr_count:     20
    .sgpr_spill_count: 0
    .symbol:         _ZN9rocsparseL19gebsrmvn_4xn_kernelILj128ELj1ELj32E21rocsparse_complex_numIdEEEvi20rocsparse_direction_NS_24const_host_device_scalarIT2_EEPKiS8_PKS5_SA_S6_PS5_21rocsparse_index_base_b.kd
    .uniform_work_group_size: 1
    .uses_dynamic_stack: false
    .vgpr_count:     55
    .vgpr_spill_count: 0
    .wavefront_size: 64
  - .args:
      - .offset:         0
        .size:           4
        .value_kind:     by_value
      - .offset:         4
        .size:           4
        .value_kind:     by_value
      - .offset:         8
        .size:           16
        .value_kind:     by_value
      - .actual_access:  read_only
        .address_space:  global
        .offset:         24
        .size:           8
        .value_kind:     global_buffer
      - .actual_access:  read_only
        .address_space:  global
        .offset:         32
        .size:           8
        .value_kind:     global_buffer
      - .actual_access:  read_only
        .address_space:  global
        .offset:         40
        .size:           8
        .value_kind:     global_buffer
      - .actual_access:  read_only
        .address_space:  global
        .offset:         48
        .size:           8
        .value_kind:     global_buffer
      - .offset:         56
        .size:           16
        .value_kind:     by_value
      - .address_space:  global
        .offset:         72
        .size:           8
        .value_kind:     global_buffer
      - .offset:         80
        .size:           4
        .value_kind:     by_value
      - .offset:         84
        .size:           1
        .value_kind:     by_value
    .group_segment_fixed_size: 0
    .kernarg_segment_align: 8
    .kernarg_segment_size: 88
    .language:       OpenCL C
    .language_version:
      - 2
      - 0
    .max_flat_workgroup_size: 128
    .name:           _ZN9rocsparseL19gebsrmvn_4xn_kernelILj128ELj1ELj64E21rocsparse_complex_numIdEEEvi20rocsparse_direction_NS_24const_host_device_scalarIT2_EEPKiS8_PKS5_SA_S6_PS5_21rocsparse_index_base_b
    .private_segment_fixed_size: 0
    .sgpr_count:     20
    .sgpr_spill_count: 0
    .symbol:         _ZN9rocsparseL19gebsrmvn_4xn_kernelILj128ELj1ELj64E21rocsparse_complex_numIdEEEvi20rocsparse_direction_NS_24const_host_device_scalarIT2_EEPKiS8_PKS5_SA_S6_PS5_21rocsparse_index_base_b.kd
    .uniform_work_group_size: 1
    .uses_dynamic_stack: false
    .vgpr_count:     55
    .vgpr_spill_count: 0
    .wavefront_size: 64
  - .args:
      - .offset:         0
        .size:           4
        .value_kind:     by_value
      - .offset:         4
        .size:           4
        .value_kind:     by_value
      - .offset:         8
        .size:           16
        .value_kind:     by_value
      - .actual_access:  read_only
        .address_space:  global
        .offset:         24
        .size:           8
        .value_kind:     global_buffer
      - .actual_access:  read_only
        .address_space:  global
        .offset:         32
        .size:           8
        .value_kind:     global_buffer
      - .actual_access:  read_only
        .address_space:  global
        .offset:         40
        .size:           8
        .value_kind:     global_buffer
      - .actual_access:  read_only
        .address_space:  global
        .offset:         48
        .size:           8
        .value_kind:     global_buffer
      - .offset:         56
        .size:           16
        .value_kind:     by_value
      - .address_space:  global
        .offset:         72
        .size:           8
        .value_kind:     global_buffer
      - .offset:         80
        .size:           4
        .value_kind:     by_value
      - .offset:         84
        .size:           1
        .value_kind:     by_value
    .group_segment_fixed_size: 0
    .kernarg_segment_align: 8
    .kernarg_segment_size: 88
    .language:       OpenCL C
    .language_version:
      - 2
      - 0
    .max_flat_workgroup_size: 128
    .name:           _ZN9rocsparseL19gebsrmvn_4xn_kernelILj128ELj2ELj4E21rocsparse_complex_numIdEEEvi20rocsparse_direction_NS_24const_host_device_scalarIT2_EEPKiS8_PKS5_SA_S6_PS5_21rocsparse_index_base_b
    .private_segment_fixed_size: 0
    .sgpr_count:     20
    .sgpr_spill_count: 0
    .symbol:         _ZN9rocsparseL19gebsrmvn_4xn_kernelILj128ELj2ELj4E21rocsparse_complex_numIdEEEvi20rocsparse_direction_NS_24const_host_device_scalarIT2_EEPKiS8_PKS5_SA_S6_PS5_21rocsparse_index_base_b.kd
    .uniform_work_group_size: 1
    .uses_dynamic_stack: false
    .vgpr_count:     64
    .vgpr_spill_count: 0
    .wavefront_size: 64
  - .args:
      - .offset:         0
        .size:           4
        .value_kind:     by_value
      - .offset:         4
        .size:           4
        .value_kind:     by_value
      - .offset:         8
        .size:           16
        .value_kind:     by_value
      - .actual_access:  read_only
        .address_space:  global
        .offset:         24
        .size:           8
        .value_kind:     global_buffer
      - .actual_access:  read_only
        .address_space:  global
        .offset:         32
        .size:           8
        .value_kind:     global_buffer
      - .actual_access:  read_only
        .address_space:  global
        .offset:         40
        .size:           8
        .value_kind:     global_buffer
      - .actual_access:  read_only
        .address_space:  global
        .offset:         48
        .size:           8
        .value_kind:     global_buffer
      - .offset:         56
        .size:           16
        .value_kind:     by_value
      - .address_space:  global
        .offset:         72
        .size:           8
        .value_kind:     global_buffer
      - .offset:         80
        .size:           4
        .value_kind:     by_value
      - .offset:         84
        .size:           1
        .value_kind:     by_value
    .group_segment_fixed_size: 0
    .kernarg_segment_align: 8
    .kernarg_segment_size: 88
    .language:       OpenCL C
    .language_version:
      - 2
      - 0
    .max_flat_workgroup_size: 128
    .name:           _ZN9rocsparseL19gebsrmvn_4xn_kernelILj128ELj2ELj8E21rocsparse_complex_numIdEEEvi20rocsparse_direction_NS_24const_host_device_scalarIT2_EEPKiS8_PKS5_SA_S6_PS5_21rocsparse_index_base_b
    .private_segment_fixed_size: 0
    .sgpr_count:     20
    .sgpr_spill_count: 0
    .symbol:         _ZN9rocsparseL19gebsrmvn_4xn_kernelILj128ELj2ELj8E21rocsparse_complex_numIdEEEvi20rocsparse_direction_NS_24const_host_device_scalarIT2_EEPKiS8_PKS5_SA_S6_PS5_21rocsparse_index_base_b.kd
    .uniform_work_group_size: 1
    .uses_dynamic_stack: false
    .vgpr_count:     66
    .vgpr_spill_count: 0
    .wavefront_size: 64
  - .args:
      - .offset:         0
        .size:           4
        .value_kind:     by_value
      - .offset:         4
        .size:           4
        .value_kind:     by_value
      - .offset:         8
        .size:           16
        .value_kind:     by_value
      - .actual_access:  read_only
        .address_space:  global
        .offset:         24
        .size:           8
        .value_kind:     global_buffer
      - .actual_access:  read_only
        .address_space:  global
        .offset:         32
        .size:           8
        .value_kind:     global_buffer
      - .actual_access:  read_only
        .address_space:  global
        .offset:         40
        .size:           8
        .value_kind:     global_buffer
      - .actual_access:  read_only
        .address_space:  global
        .offset:         48
        .size:           8
        .value_kind:     global_buffer
      - .offset:         56
        .size:           16
        .value_kind:     by_value
      - .address_space:  global
        .offset:         72
        .size:           8
        .value_kind:     global_buffer
      - .offset:         80
        .size:           4
        .value_kind:     by_value
      - .offset:         84
        .size:           1
        .value_kind:     by_value
    .group_segment_fixed_size: 0
    .kernarg_segment_align: 8
    .kernarg_segment_size: 88
    .language:       OpenCL C
    .language_version:
      - 2
      - 0
    .max_flat_workgroup_size: 128
    .name:           _ZN9rocsparseL19gebsrmvn_4xn_kernelILj128ELj2ELj16E21rocsparse_complex_numIdEEEvi20rocsparse_direction_NS_24const_host_device_scalarIT2_EEPKiS8_PKS5_SA_S6_PS5_21rocsparse_index_base_b
    .private_segment_fixed_size: 0
    .sgpr_count:     20
    .sgpr_spill_count: 0
    .symbol:         _ZN9rocsparseL19gebsrmvn_4xn_kernelILj128ELj2ELj16E21rocsparse_complex_numIdEEEvi20rocsparse_direction_NS_24const_host_device_scalarIT2_EEPKiS8_PKS5_SA_S6_PS5_21rocsparse_index_base_b.kd
    .uniform_work_group_size: 1
    .uses_dynamic_stack: false
    .vgpr_count:     66
    .vgpr_spill_count: 0
    .wavefront_size: 64
  - .args:
      - .offset:         0
        .size:           4
        .value_kind:     by_value
      - .offset:         4
        .size:           4
        .value_kind:     by_value
      - .offset:         8
        .size:           16
        .value_kind:     by_value
      - .actual_access:  read_only
        .address_space:  global
        .offset:         24
        .size:           8
        .value_kind:     global_buffer
      - .actual_access:  read_only
        .address_space:  global
        .offset:         32
        .size:           8
        .value_kind:     global_buffer
      - .actual_access:  read_only
        .address_space:  global
        .offset:         40
        .size:           8
        .value_kind:     global_buffer
      - .actual_access:  read_only
        .address_space:  global
        .offset:         48
        .size:           8
        .value_kind:     global_buffer
      - .offset:         56
        .size:           16
        .value_kind:     by_value
      - .address_space:  global
        .offset:         72
        .size:           8
        .value_kind:     global_buffer
      - .offset:         80
        .size:           4
        .value_kind:     by_value
      - .offset:         84
        .size:           1
        .value_kind:     by_value
    .group_segment_fixed_size: 0
    .kernarg_segment_align: 8
    .kernarg_segment_size: 88
    .language:       OpenCL C
    .language_version:
      - 2
      - 0
    .max_flat_workgroup_size: 128
    .name:           _ZN9rocsparseL19gebsrmvn_4xn_kernelILj128ELj2ELj32E21rocsparse_complex_numIdEEEvi20rocsparse_direction_NS_24const_host_device_scalarIT2_EEPKiS8_PKS5_SA_S6_PS5_21rocsparse_index_base_b
    .private_segment_fixed_size: 0
    .sgpr_count:     20
    .sgpr_spill_count: 0
    .symbol:         _ZN9rocsparseL19gebsrmvn_4xn_kernelILj128ELj2ELj32E21rocsparse_complex_numIdEEEvi20rocsparse_direction_NS_24const_host_device_scalarIT2_EEPKiS8_PKS5_SA_S6_PS5_21rocsparse_index_base_b.kd
    .uniform_work_group_size: 1
    .uses_dynamic_stack: false
    .vgpr_count:     64
    .vgpr_spill_count: 0
    .wavefront_size: 64
  - .args:
      - .offset:         0
        .size:           4
        .value_kind:     by_value
      - .offset:         4
        .size:           4
        .value_kind:     by_value
      - .offset:         8
        .size:           16
        .value_kind:     by_value
      - .actual_access:  read_only
        .address_space:  global
        .offset:         24
        .size:           8
        .value_kind:     global_buffer
      - .actual_access:  read_only
        .address_space:  global
        .offset:         32
        .size:           8
        .value_kind:     global_buffer
      - .actual_access:  read_only
        .address_space:  global
        .offset:         40
        .size:           8
        .value_kind:     global_buffer
      - .actual_access:  read_only
        .address_space:  global
        .offset:         48
        .size:           8
        .value_kind:     global_buffer
      - .offset:         56
        .size:           16
        .value_kind:     by_value
      - .address_space:  global
        .offset:         72
        .size:           8
        .value_kind:     global_buffer
      - .offset:         80
        .size:           4
        .value_kind:     by_value
      - .offset:         84
        .size:           1
        .value_kind:     by_value
    .group_segment_fixed_size: 0
    .kernarg_segment_align: 8
    .kernarg_segment_size: 88
    .language:       OpenCL C
    .language_version:
      - 2
      - 0
    .max_flat_workgroup_size: 128
    .name:           _ZN9rocsparseL19gebsrmvn_4xn_kernelILj128ELj2ELj64E21rocsparse_complex_numIdEEEvi20rocsparse_direction_NS_24const_host_device_scalarIT2_EEPKiS8_PKS5_SA_S6_PS5_21rocsparse_index_base_b
    .private_segment_fixed_size: 0
    .sgpr_count:     20
    .sgpr_spill_count: 0
    .symbol:         _ZN9rocsparseL19gebsrmvn_4xn_kernelILj128ELj2ELj64E21rocsparse_complex_numIdEEEvi20rocsparse_direction_NS_24const_host_device_scalarIT2_EEPKiS8_PKS5_SA_S6_PS5_21rocsparse_index_base_b.kd
    .uniform_work_group_size: 1
    .uses_dynamic_stack: false
    .vgpr_count:     64
    .vgpr_spill_count: 0
    .wavefront_size: 64
  - .args:
      - .offset:         0
        .size:           4
        .value_kind:     by_value
      - .offset:         4
        .size:           4
        .value_kind:     by_value
      - .offset:         8
        .size:           16
        .value_kind:     by_value
      - .actual_access:  read_only
        .address_space:  global
        .offset:         24
        .size:           8
        .value_kind:     global_buffer
      - .actual_access:  read_only
        .address_space:  global
        .offset:         32
        .size:           8
        .value_kind:     global_buffer
      - .actual_access:  read_only
        .address_space:  global
        .offset:         40
        .size:           8
        .value_kind:     global_buffer
      - .actual_access:  read_only
        .address_space:  global
        .offset:         48
        .size:           8
        .value_kind:     global_buffer
      - .offset:         56
        .size:           16
        .value_kind:     by_value
      - .address_space:  global
        .offset:         72
        .size:           8
        .value_kind:     global_buffer
      - .offset:         80
        .size:           4
        .value_kind:     by_value
      - .offset:         84
        .size:           1
        .value_kind:     by_value
    .group_segment_fixed_size: 0
    .kernarg_segment_align: 8
    .kernarg_segment_size: 88
    .language:       OpenCL C
    .language_version:
      - 2
      - 0
    .max_flat_workgroup_size: 128
    .name:           _ZN9rocsparseL19gebsrmvn_4xn_kernelILj128ELj3ELj4E21rocsparse_complex_numIdEEEvi20rocsparse_direction_NS_24const_host_device_scalarIT2_EEPKiS8_PKS5_SA_S6_PS5_21rocsparse_index_base_b
    .private_segment_fixed_size: 0
    .sgpr_count:     22
    .sgpr_spill_count: 0
    .symbol:         _ZN9rocsparseL19gebsrmvn_4xn_kernelILj128ELj3ELj4E21rocsparse_complex_numIdEEEvi20rocsparse_direction_NS_24const_host_device_scalarIT2_EEPKiS8_PKS5_SA_S6_PS5_21rocsparse_index_base_b.kd
    .uniform_work_group_size: 1
    .uses_dynamic_stack: false
    .vgpr_count:     61
    .vgpr_spill_count: 0
    .wavefront_size: 64
  - .args:
      - .offset:         0
        .size:           4
        .value_kind:     by_value
      - .offset:         4
        .size:           4
        .value_kind:     by_value
      - .offset:         8
        .size:           16
        .value_kind:     by_value
      - .actual_access:  read_only
        .address_space:  global
        .offset:         24
        .size:           8
        .value_kind:     global_buffer
      - .actual_access:  read_only
        .address_space:  global
        .offset:         32
        .size:           8
        .value_kind:     global_buffer
      - .actual_access:  read_only
        .address_space:  global
        .offset:         40
        .size:           8
        .value_kind:     global_buffer
      - .actual_access:  read_only
        .address_space:  global
        .offset:         48
        .size:           8
        .value_kind:     global_buffer
      - .offset:         56
        .size:           16
        .value_kind:     by_value
      - .address_space:  global
        .offset:         72
        .size:           8
        .value_kind:     global_buffer
      - .offset:         80
        .size:           4
        .value_kind:     by_value
      - .offset:         84
        .size:           1
        .value_kind:     by_value
    .group_segment_fixed_size: 0
    .kernarg_segment_align: 8
    .kernarg_segment_size: 88
    .language:       OpenCL C
    .language_version:
      - 2
      - 0
    .max_flat_workgroup_size: 128
    .name:           _ZN9rocsparseL19gebsrmvn_4xn_kernelILj128ELj3ELj8E21rocsparse_complex_numIdEEEvi20rocsparse_direction_NS_24const_host_device_scalarIT2_EEPKiS8_PKS5_SA_S6_PS5_21rocsparse_index_base_b
    .private_segment_fixed_size: 0
    .sgpr_count:     22
    .sgpr_spill_count: 0
    .symbol:         _ZN9rocsparseL19gebsrmvn_4xn_kernelILj128ELj3ELj8E21rocsparse_complex_numIdEEEvi20rocsparse_direction_NS_24const_host_device_scalarIT2_EEPKiS8_PKS5_SA_S6_PS5_21rocsparse_index_base_b.kd
    .uniform_work_group_size: 1
    .uses_dynamic_stack: false
    .vgpr_count:     61
    .vgpr_spill_count: 0
    .wavefront_size: 64
  - .args:
      - .offset:         0
        .size:           4
        .value_kind:     by_value
      - .offset:         4
        .size:           4
        .value_kind:     by_value
      - .offset:         8
        .size:           16
        .value_kind:     by_value
      - .actual_access:  read_only
        .address_space:  global
        .offset:         24
        .size:           8
        .value_kind:     global_buffer
      - .actual_access:  read_only
        .address_space:  global
        .offset:         32
        .size:           8
        .value_kind:     global_buffer
      - .actual_access:  read_only
        .address_space:  global
        .offset:         40
        .size:           8
        .value_kind:     global_buffer
      - .actual_access:  read_only
        .address_space:  global
        .offset:         48
        .size:           8
        .value_kind:     global_buffer
      - .offset:         56
        .size:           16
        .value_kind:     by_value
      - .address_space:  global
        .offset:         72
        .size:           8
        .value_kind:     global_buffer
      - .offset:         80
        .size:           4
        .value_kind:     by_value
      - .offset:         84
        .size:           1
        .value_kind:     by_value
    .group_segment_fixed_size: 0
    .kernarg_segment_align: 8
    .kernarg_segment_size: 88
    .language:       OpenCL C
    .language_version:
      - 2
      - 0
    .max_flat_workgroup_size: 128
    .name:           _ZN9rocsparseL19gebsrmvn_4xn_kernelILj128ELj3ELj16E21rocsparse_complex_numIdEEEvi20rocsparse_direction_NS_24const_host_device_scalarIT2_EEPKiS8_PKS5_SA_S6_PS5_21rocsparse_index_base_b
    .private_segment_fixed_size: 0
    .sgpr_count:     22
    .sgpr_spill_count: 0
    .symbol:         _ZN9rocsparseL19gebsrmvn_4xn_kernelILj128ELj3ELj16E21rocsparse_complex_numIdEEEvi20rocsparse_direction_NS_24const_host_device_scalarIT2_EEPKiS8_PKS5_SA_S6_PS5_21rocsparse_index_base_b.kd
    .uniform_work_group_size: 1
    .uses_dynamic_stack: false
    .vgpr_count:     61
    .vgpr_spill_count: 0
    .wavefront_size: 64
  - .args:
      - .offset:         0
        .size:           4
        .value_kind:     by_value
      - .offset:         4
        .size:           4
        .value_kind:     by_value
      - .offset:         8
        .size:           16
        .value_kind:     by_value
      - .actual_access:  read_only
        .address_space:  global
        .offset:         24
        .size:           8
        .value_kind:     global_buffer
      - .actual_access:  read_only
        .address_space:  global
        .offset:         32
        .size:           8
        .value_kind:     global_buffer
      - .actual_access:  read_only
        .address_space:  global
        .offset:         40
        .size:           8
        .value_kind:     global_buffer
      - .actual_access:  read_only
        .address_space:  global
        .offset:         48
        .size:           8
        .value_kind:     global_buffer
      - .offset:         56
        .size:           16
        .value_kind:     by_value
      - .address_space:  global
        .offset:         72
        .size:           8
        .value_kind:     global_buffer
      - .offset:         80
        .size:           4
        .value_kind:     by_value
      - .offset:         84
        .size:           1
        .value_kind:     by_value
    .group_segment_fixed_size: 0
    .kernarg_segment_align: 8
    .kernarg_segment_size: 88
    .language:       OpenCL C
    .language_version:
      - 2
      - 0
    .max_flat_workgroup_size: 128
    .name:           _ZN9rocsparseL19gebsrmvn_4xn_kernelILj128ELj3ELj32E21rocsparse_complex_numIdEEEvi20rocsparse_direction_NS_24const_host_device_scalarIT2_EEPKiS8_PKS5_SA_S6_PS5_21rocsparse_index_base_b
    .private_segment_fixed_size: 0
    .sgpr_count:     22
    .sgpr_spill_count: 0
    .symbol:         _ZN9rocsparseL19gebsrmvn_4xn_kernelILj128ELj3ELj32E21rocsparse_complex_numIdEEEvi20rocsparse_direction_NS_24const_host_device_scalarIT2_EEPKiS8_PKS5_SA_S6_PS5_21rocsparse_index_base_b.kd
    .uniform_work_group_size: 1
    .uses_dynamic_stack: false
    .vgpr_count:     61
    .vgpr_spill_count: 0
    .wavefront_size: 64
  - .args:
      - .offset:         0
        .size:           4
        .value_kind:     by_value
      - .offset:         4
        .size:           4
        .value_kind:     by_value
      - .offset:         8
        .size:           16
        .value_kind:     by_value
      - .actual_access:  read_only
        .address_space:  global
        .offset:         24
        .size:           8
        .value_kind:     global_buffer
      - .actual_access:  read_only
        .address_space:  global
        .offset:         32
        .size:           8
        .value_kind:     global_buffer
      - .actual_access:  read_only
        .address_space:  global
        .offset:         40
        .size:           8
        .value_kind:     global_buffer
      - .actual_access:  read_only
        .address_space:  global
        .offset:         48
        .size:           8
        .value_kind:     global_buffer
      - .offset:         56
        .size:           16
        .value_kind:     by_value
      - .address_space:  global
        .offset:         72
        .size:           8
        .value_kind:     global_buffer
      - .offset:         80
        .size:           4
        .value_kind:     by_value
      - .offset:         84
        .size:           1
        .value_kind:     by_value
    .group_segment_fixed_size: 0
    .kernarg_segment_align: 8
    .kernarg_segment_size: 88
    .language:       OpenCL C
    .language_version:
      - 2
      - 0
    .max_flat_workgroup_size: 128
    .name:           _ZN9rocsparseL19gebsrmvn_4xn_kernelILj128ELj3ELj64E21rocsparse_complex_numIdEEEvi20rocsparse_direction_NS_24const_host_device_scalarIT2_EEPKiS8_PKS5_SA_S6_PS5_21rocsparse_index_base_b
    .private_segment_fixed_size: 0
    .sgpr_count:     22
    .sgpr_spill_count: 0
    .symbol:         _ZN9rocsparseL19gebsrmvn_4xn_kernelILj128ELj3ELj64E21rocsparse_complex_numIdEEEvi20rocsparse_direction_NS_24const_host_device_scalarIT2_EEPKiS8_PKS5_SA_S6_PS5_21rocsparse_index_base_b.kd
    .uniform_work_group_size: 1
    .uses_dynamic_stack: false
    .vgpr_count:     61
    .vgpr_spill_count: 0
    .wavefront_size: 64
  - .args:
      - .offset:         0
        .size:           4
        .value_kind:     by_value
      - .offset:         4
        .size:           4
        .value_kind:     by_value
      - .offset:         8
        .size:           16
        .value_kind:     by_value
      - .actual_access:  read_only
        .address_space:  global
        .offset:         24
        .size:           8
        .value_kind:     global_buffer
      - .actual_access:  read_only
        .address_space:  global
        .offset:         32
        .size:           8
        .value_kind:     global_buffer
      - .actual_access:  read_only
        .address_space:  global
        .offset:         40
        .size:           8
        .value_kind:     global_buffer
      - .actual_access:  read_only
        .address_space:  global
        .offset:         48
        .size:           8
        .value_kind:     global_buffer
      - .offset:         56
        .size:           16
        .value_kind:     by_value
      - .address_space:  global
        .offset:         72
        .size:           8
        .value_kind:     global_buffer
      - .offset:         80
        .size:           4
        .value_kind:     by_value
      - .offset:         84
        .size:           1
        .value_kind:     by_value
    .group_segment_fixed_size: 0
    .kernarg_segment_align: 8
    .kernarg_segment_size: 88
    .language:       OpenCL C
    .language_version:
      - 2
      - 0
    .max_flat_workgroup_size: 128
    .name:           _ZN9rocsparseL19gebsrmvn_4xn_kernelILj128ELj5ELj4E21rocsparse_complex_numIdEEEvi20rocsparse_direction_NS_24const_host_device_scalarIT2_EEPKiS8_PKS5_SA_S6_PS5_21rocsparse_index_base_b
    .private_segment_fixed_size: 0
    .sgpr_count:     22
    .sgpr_spill_count: 0
    .symbol:         _ZN9rocsparseL19gebsrmvn_4xn_kernelILj128ELj5ELj4E21rocsparse_complex_numIdEEEvi20rocsparse_direction_NS_24const_host_device_scalarIT2_EEPKiS8_PKS5_SA_S6_PS5_21rocsparse_index_base_b.kd
    .uniform_work_group_size: 1
    .uses_dynamic_stack: false
    .vgpr_count:     58
    .vgpr_spill_count: 0
    .wavefront_size: 64
  - .args:
      - .offset:         0
        .size:           4
        .value_kind:     by_value
      - .offset:         4
        .size:           4
        .value_kind:     by_value
      - .offset:         8
        .size:           16
        .value_kind:     by_value
      - .actual_access:  read_only
        .address_space:  global
        .offset:         24
        .size:           8
        .value_kind:     global_buffer
      - .actual_access:  read_only
        .address_space:  global
        .offset:         32
        .size:           8
        .value_kind:     global_buffer
      - .actual_access:  read_only
        .address_space:  global
        .offset:         40
        .size:           8
        .value_kind:     global_buffer
      - .actual_access:  read_only
        .address_space:  global
        .offset:         48
        .size:           8
        .value_kind:     global_buffer
      - .offset:         56
        .size:           16
        .value_kind:     by_value
      - .address_space:  global
        .offset:         72
        .size:           8
        .value_kind:     global_buffer
      - .offset:         80
        .size:           4
        .value_kind:     by_value
      - .offset:         84
        .size:           1
        .value_kind:     by_value
    .group_segment_fixed_size: 0
    .kernarg_segment_align: 8
    .kernarg_segment_size: 88
    .language:       OpenCL C
    .language_version:
      - 2
      - 0
    .max_flat_workgroup_size: 128
    .name:           _ZN9rocsparseL19gebsrmvn_4xn_kernelILj128ELj5ELj8E21rocsparse_complex_numIdEEEvi20rocsparse_direction_NS_24const_host_device_scalarIT2_EEPKiS8_PKS5_SA_S6_PS5_21rocsparse_index_base_b
    .private_segment_fixed_size: 0
    .sgpr_count:     22
    .sgpr_spill_count: 0
    .symbol:         _ZN9rocsparseL19gebsrmvn_4xn_kernelILj128ELj5ELj8E21rocsparse_complex_numIdEEEvi20rocsparse_direction_NS_24const_host_device_scalarIT2_EEPKiS8_PKS5_SA_S6_PS5_21rocsparse_index_base_b.kd
    .uniform_work_group_size: 1
    .uses_dynamic_stack: false
    .vgpr_count:     58
    .vgpr_spill_count: 0
    .wavefront_size: 64
  - .args:
      - .offset:         0
        .size:           4
        .value_kind:     by_value
      - .offset:         4
        .size:           4
        .value_kind:     by_value
      - .offset:         8
        .size:           16
        .value_kind:     by_value
      - .actual_access:  read_only
        .address_space:  global
        .offset:         24
        .size:           8
        .value_kind:     global_buffer
      - .actual_access:  read_only
        .address_space:  global
        .offset:         32
        .size:           8
        .value_kind:     global_buffer
      - .actual_access:  read_only
        .address_space:  global
        .offset:         40
        .size:           8
        .value_kind:     global_buffer
      - .actual_access:  read_only
        .address_space:  global
        .offset:         48
        .size:           8
        .value_kind:     global_buffer
      - .offset:         56
        .size:           16
        .value_kind:     by_value
      - .address_space:  global
        .offset:         72
        .size:           8
        .value_kind:     global_buffer
      - .offset:         80
        .size:           4
        .value_kind:     by_value
      - .offset:         84
        .size:           1
        .value_kind:     by_value
    .group_segment_fixed_size: 0
    .kernarg_segment_align: 8
    .kernarg_segment_size: 88
    .language:       OpenCL C
    .language_version:
      - 2
      - 0
    .max_flat_workgroup_size: 128
    .name:           _ZN9rocsparseL19gebsrmvn_4xn_kernelILj128ELj5ELj16E21rocsparse_complex_numIdEEEvi20rocsparse_direction_NS_24const_host_device_scalarIT2_EEPKiS8_PKS5_SA_S6_PS5_21rocsparse_index_base_b
    .private_segment_fixed_size: 0
    .sgpr_count:     22
    .sgpr_spill_count: 0
    .symbol:         _ZN9rocsparseL19gebsrmvn_4xn_kernelILj128ELj5ELj16E21rocsparse_complex_numIdEEEvi20rocsparse_direction_NS_24const_host_device_scalarIT2_EEPKiS8_PKS5_SA_S6_PS5_21rocsparse_index_base_b.kd
    .uniform_work_group_size: 1
    .uses_dynamic_stack: false
    .vgpr_count:     64
    .vgpr_spill_count: 0
    .wavefront_size: 64
  - .args:
      - .offset:         0
        .size:           4
        .value_kind:     by_value
      - .offset:         4
        .size:           4
        .value_kind:     by_value
      - .offset:         8
        .size:           16
        .value_kind:     by_value
      - .actual_access:  read_only
        .address_space:  global
        .offset:         24
        .size:           8
        .value_kind:     global_buffer
      - .actual_access:  read_only
        .address_space:  global
        .offset:         32
        .size:           8
        .value_kind:     global_buffer
      - .actual_access:  read_only
        .address_space:  global
        .offset:         40
        .size:           8
        .value_kind:     global_buffer
      - .actual_access:  read_only
        .address_space:  global
        .offset:         48
        .size:           8
        .value_kind:     global_buffer
      - .offset:         56
        .size:           16
        .value_kind:     by_value
      - .address_space:  global
        .offset:         72
        .size:           8
        .value_kind:     global_buffer
      - .offset:         80
        .size:           4
        .value_kind:     by_value
      - .offset:         84
        .size:           1
        .value_kind:     by_value
    .group_segment_fixed_size: 0
    .kernarg_segment_align: 8
    .kernarg_segment_size: 88
    .language:       OpenCL C
    .language_version:
      - 2
      - 0
    .max_flat_workgroup_size: 128
    .name:           _ZN9rocsparseL19gebsrmvn_4xn_kernelILj128ELj5ELj32E21rocsparse_complex_numIdEEEvi20rocsparse_direction_NS_24const_host_device_scalarIT2_EEPKiS8_PKS5_SA_S6_PS5_21rocsparse_index_base_b
    .private_segment_fixed_size: 0
    .sgpr_count:     22
    .sgpr_spill_count: 0
    .symbol:         _ZN9rocsparseL19gebsrmvn_4xn_kernelILj128ELj5ELj32E21rocsparse_complex_numIdEEEvi20rocsparse_direction_NS_24const_host_device_scalarIT2_EEPKiS8_PKS5_SA_S6_PS5_21rocsparse_index_base_b.kd
    .uniform_work_group_size: 1
    .uses_dynamic_stack: false
    .vgpr_count:     60
    .vgpr_spill_count: 0
    .wavefront_size: 64
  - .args:
      - .offset:         0
        .size:           4
        .value_kind:     by_value
      - .offset:         4
        .size:           4
        .value_kind:     by_value
      - .offset:         8
        .size:           16
        .value_kind:     by_value
      - .actual_access:  read_only
        .address_space:  global
        .offset:         24
        .size:           8
        .value_kind:     global_buffer
      - .actual_access:  read_only
        .address_space:  global
        .offset:         32
        .size:           8
        .value_kind:     global_buffer
      - .actual_access:  read_only
        .address_space:  global
        .offset:         40
        .size:           8
        .value_kind:     global_buffer
      - .actual_access:  read_only
        .address_space:  global
        .offset:         48
        .size:           8
        .value_kind:     global_buffer
      - .offset:         56
        .size:           16
        .value_kind:     by_value
      - .address_space:  global
        .offset:         72
        .size:           8
        .value_kind:     global_buffer
      - .offset:         80
        .size:           4
        .value_kind:     by_value
      - .offset:         84
        .size:           1
        .value_kind:     by_value
    .group_segment_fixed_size: 0
    .kernarg_segment_align: 8
    .kernarg_segment_size: 88
    .language:       OpenCL C
    .language_version:
      - 2
      - 0
    .max_flat_workgroup_size: 128
    .name:           _ZN9rocsparseL19gebsrmvn_4xn_kernelILj128ELj5ELj64E21rocsparse_complex_numIdEEEvi20rocsparse_direction_NS_24const_host_device_scalarIT2_EEPKiS8_PKS5_SA_S6_PS5_21rocsparse_index_base_b
    .private_segment_fixed_size: 0
    .sgpr_count:     22
    .sgpr_spill_count: 0
    .symbol:         _ZN9rocsparseL19gebsrmvn_4xn_kernelILj128ELj5ELj64E21rocsparse_complex_numIdEEEvi20rocsparse_direction_NS_24const_host_device_scalarIT2_EEPKiS8_PKS5_SA_S6_PS5_21rocsparse_index_base_b.kd
    .uniform_work_group_size: 1
    .uses_dynamic_stack: false
    .vgpr_count:     60
    .vgpr_spill_count: 0
    .wavefront_size: 64
  - .args:
      - .offset:         0
        .size:           4
        .value_kind:     by_value
      - .offset:         4
        .size:           4
        .value_kind:     by_value
      - .offset:         8
        .size:           16
        .value_kind:     by_value
      - .actual_access:  read_only
        .address_space:  global
        .offset:         24
        .size:           8
        .value_kind:     global_buffer
      - .actual_access:  read_only
        .address_space:  global
        .offset:         32
        .size:           8
        .value_kind:     global_buffer
      - .actual_access:  read_only
        .address_space:  global
        .offset:         40
        .size:           8
        .value_kind:     global_buffer
      - .actual_access:  read_only
        .address_space:  global
        .offset:         48
        .size:           8
        .value_kind:     global_buffer
      - .offset:         56
        .size:           16
        .value_kind:     by_value
      - .address_space:  global
        .offset:         72
        .size:           8
        .value_kind:     global_buffer
      - .offset:         80
        .size:           4
        .value_kind:     by_value
      - .offset:         84
        .size:           1
        .value_kind:     by_value
    .group_segment_fixed_size: 0
    .kernarg_segment_align: 8
    .kernarg_segment_size: 88
    .language:       OpenCL C
    .language_version:
      - 2
      - 0
    .max_flat_workgroup_size: 128
    .name:           _ZN9rocsparseL19gebsrmvn_4xn_kernelILj128ELj6ELj4E21rocsparse_complex_numIdEEEvi20rocsparse_direction_NS_24const_host_device_scalarIT2_EEPKiS8_PKS5_SA_S6_PS5_21rocsparse_index_base_b
    .private_segment_fixed_size: 0
    .sgpr_count:     22
    .sgpr_spill_count: 0
    .symbol:         _ZN9rocsparseL19gebsrmvn_4xn_kernelILj128ELj6ELj4E21rocsparse_complex_numIdEEEvi20rocsparse_direction_NS_24const_host_device_scalarIT2_EEPKiS8_PKS5_SA_S6_PS5_21rocsparse_index_base_b.kd
    .uniform_work_group_size: 1
    .uses_dynamic_stack: false
    .vgpr_count:     56
    .vgpr_spill_count: 0
    .wavefront_size: 64
  - .args:
      - .offset:         0
        .size:           4
        .value_kind:     by_value
      - .offset:         4
        .size:           4
        .value_kind:     by_value
      - .offset:         8
        .size:           16
        .value_kind:     by_value
      - .actual_access:  read_only
        .address_space:  global
        .offset:         24
        .size:           8
        .value_kind:     global_buffer
      - .actual_access:  read_only
        .address_space:  global
        .offset:         32
        .size:           8
        .value_kind:     global_buffer
      - .actual_access:  read_only
        .address_space:  global
        .offset:         40
        .size:           8
        .value_kind:     global_buffer
      - .actual_access:  read_only
        .address_space:  global
        .offset:         48
        .size:           8
        .value_kind:     global_buffer
      - .offset:         56
        .size:           16
        .value_kind:     by_value
      - .address_space:  global
        .offset:         72
        .size:           8
        .value_kind:     global_buffer
      - .offset:         80
        .size:           4
        .value_kind:     by_value
      - .offset:         84
        .size:           1
        .value_kind:     by_value
    .group_segment_fixed_size: 0
    .kernarg_segment_align: 8
    .kernarg_segment_size: 88
    .language:       OpenCL C
    .language_version:
      - 2
      - 0
    .max_flat_workgroup_size: 128
    .name:           _ZN9rocsparseL19gebsrmvn_4xn_kernelILj128ELj6ELj8E21rocsparse_complex_numIdEEEvi20rocsparse_direction_NS_24const_host_device_scalarIT2_EEPKiS8_PKS5_SA_S6_PS5_21rocsparse_index_base_b
    .private_segment_fixed_size: 0
    .sgpr_count:     22
    .sgpr_spill_count: 0
    .symbol:         _ZN9rocsparseL19gebsrmvn_4xn_kernelILj128ELj6ELj8E21rocsparse_complex_numIdEEEvi20rocsparse_direction_NS_24const_host_device_scalarIT2_EEPKiS8_PKS5_SA_S6_PS5_21rocsparse_index_base_b.kd
    .uniform_work_group_size: 1
    .uses_dynamic_stack: false
    .vgpr_count:     56
    .vgpr_spill_count: 0
    .wavefront_size: 64
  - .args:
      - .offset:         0
        .size:           4
        .value_kind:     by_value
      - .offset:         4
        .size:           4
        .value_kind:     by_value
      - .offset:         8
        .size:           16
        .value_kind:     by_value
      - .actual_access:  read_only
        .address_space:  global
        .offset:         24
        .size:           8
        .value_kind:     global_buffer
      - .actual_access:  read_only
        .address_space:  global
        .offset:         32
        .size:           8
        .value_kind:     global_buffer
      - .actual_access:  read_only
        .address_space:  global
        .offset:         40
        .size:           8
        .value_kind:     global_buffer
      - .actual_access:  read_only
        .address_space:  global
        .offset:         48
        .size:           8
        .value_kind:     global_buffer
      - .offset:         56
        .size:           16
        .value_kind:     by_value
      - .address_space:  global
        .offset:         72
        .size:           8
        .value_kind:     global_buffer
      - .offset:         80
        .size:           4
        .value_kind:     by_value
      - .offset:         84
        .size:           1
        .value_kind:     by_value
    .group_segment_fixed_size: 0
    .kernarg_segment_align: 8
    .kernarg_segment_size: 88
    .language:       OpenCL C
    .language_version:
      - 2
      - 0
    .max_flat_workgroup_size: 128
    .name:           _ZN9rocsparseL19gebsrmvn_4xn_kernelILj128ELj6ELj16E21rocsparse_complex_numIdEEEvi20rocsparse_direction_NS_24const_host_device_scalarIT2_EEPKiS8_PKS5_SA_S6_PS5_21rocsparse_index_base_b
    .private_segment_fixed_size: 0
    .sgpr_count:     22
    .sgpr_spill_count: 0
    .symbol:         _ZN9rocsparseL19gebsrmvn_4xn_kernelILj128ELj6ELj16E21rocsparse_complex_numIdEEEvi20rocsparse_direction_NS_24const_host_device_scalarIT2_EEPKiS8_PKS5_SA_S6_PS5_21rocsparse_index_base_b.kd
    .uniform_work_group_size: 1
    .uses_dynamic_stack: false
    .vgpr_count:     56
    .vgpr_spill_count: 0
    .wavefront_size: 64
  - .args:
      - .offset:         0
        .size:           4
        .value_kind:     by_value
      - .offset:         4
        .size:           4
        .value_kind:     by_value
      - .offset:         8
        .size:           16
        .value_kind:     by_value
      - .actual_access:  read_only
        .address_space:  global
        .offset:         24
        .size:           8
        .value_kind:     global_buffer
      - .actual_access:  read_only
        .address_space:  global
        .offset:         32
        .size:           8
        .value_kind:     global_buffer
      - .actual_access:  read_only
        .address_space:  global
        .offset:         40
        .size:           8
        .value_kind:     global_buffer
      - .actual_access:  read_only
        .address_space:  global
        .offset:         48
        .size:           8
        .value_kind:     global_buffer
      - .offset:         56
        .size:           16
        .value_kind:     by_value
      - .address_space:  global
        .offset:         72
        .size:           8
        .value_kind:     global_buffer
      - .offset:         80
        .size:           4
        .value_kind:     by_value
      - .offset:         84
        .size:           1
        .value_kind:     by_value
    .group_segment_fixed_size: 0
    .kernarg_segment_align: 8
    .kernarg_segment_size: 88
    .language:       OpenCL C
    .language_version:
      - 2
      - 0
    .max_flat_workgroup_size: 128
    .name:           _ZN9rocsparseL19gebsrmvn_4xn_kernelILj128ELj6ELj32E21rocsparse_complex_numIdEEEvi20rocsparse_direction_NS_24const_host_device_scalarIT2_EEPKiS8_PKS5_SA_S6_PS5_21rocsparse_index_base_b
    .private_segment_fixed_size: 0
    .sgpr_count:     22
    .sgpr_spill_count: 0
    .symbol:         _ZN9rocsparseL19gebsrmvn_4xn_kernelILj128ELj6ELj32E21rocsparse_complex_numIdEEEvi20rocsparse_direction_NS_24const_host_device_scalarIT2_EEPKiS8_PKS5_SA_S6_PS5_21rocsparse_index_base_b.kd
    .uniform_work_group_size: 1
    .uses_dynamic_stack: false
    .vgpr_count:     56
    .vgpr_spill_count: 0
    .wavefront_size: 64
  - .args:
      - .offset:         0
        .size:           4
        .value_kind:     by_value
      - .offset:         4
        .size:           4
        .value_kind:     by_value
      - .offset:         8
        .size:           16
        .value_kind:     by_value
      - .actual_access:  read_only
        .address_space:  global
        .offset:         24
        .size:           8
        .value_kind:     global_buffer
      - .actual_access:  read_only
        .address_space:  global
        .offset:         32
        .size:           8
        .value_kind:     global_buffer
      - .actual_access:  read_only
        .address_space:  global
        .offset:         40
        .size:           8
        .value_kind:     global_buffer
      - .actual_access:  read_only
        .address_space:  global
        .offset:         48
        .size:           8
        .value_kind:     global_buffer
      - .offset:         56
        .size:           16
        .value_kind:     by_value
      - .address_space:  global
        .offset:         72
        .size:           8
        .value_kind:     global_buffer
      - .offset:         80
        .size:           4
        .value_kind:     by_value
      - .offset:         84
        .size:           1
        .value_kind:     by_value
    .group_segment_fixed_size: 0
    .kernarg_segment_align: 8
    .kernarg_segment_size: 88
    .language:       OpenCL C
    .language_version:
      - 2
      - 0
    .max_flat_workgroup_size: 128
    .name:           _ZN9rocsparseL19gebsrmvn_4xn_kernelILj128ELj6ELj64E21rocsparse_complex_numIdEEEvi20rocsparse_direction_NS_24const_host_device_scalarIT2_EEPKiS8_PKS5_SA_S6_PS5_21rocsparse_index_base_b
    .private_segment_fixed_size: 0
    .sgpr_count:     22
    .sgpr_spill_count: 0
    .symbol:         _ZN9rocsparseL19gebsrmvn_4xn_kernelILj128ELj6ELj64E21rocsparse_complex_numIdEEEvi20rocsparse_direction_NS_24const_host_device_scalarIT2_EEPKiS8_PKS5_SA_S6_PS5_21rocsparse_index_base_b.kd
    .uniform_work_group_size: 1
    .uses_dynamic_stack: false
    .vgpr_count:     58
    .vgpr_spill_count: 0
    .wavefront_size: 64
  - .args:
      - .offset:         0
        .size:           4
        .value_kind:     by_value
      - .offset:         4
        .size:           4
        .value_kind:     by_value
      - .offset:         8
        .size:           16
        .value_kind:     by_value
      - .actual_access:  read_only
        .address_space:  global
        .offset:         24
        .size:           8
        .value_kind:     global_buffer
      - .actual_access:  read_only
        .address_space:  global
        .offset:         32
        .size:           8
        .value_kind:     global_buffer
      - .actual_access:  read_only
        .address_space:  global
        .offset:         40
        .size:           8
        .value_kind:     global_buffer
      - .actual_access:  read_only
        .address_space:  global
        .offset:         48
        .size:           8
        .value_kind:     global_buffer
      - .offset:         56
        .size:           16
        .value_kind:     by_value
      - .address_space:  global
        .offset:         72
        .size:           8
        .value_kind:     global_buffer
      - .offset:         80
        .size:           4
        .value_kind:     by_value
      - .offset:         84
        .size:           1
        .value_kind:     by_value
    .group_segment_fixed_size: 0
    .kernarg_segment_align: 8
    .kernarg_segment_size: 88
    .language:       OpenCL C
    .language_version:
      - 2
      - 0
    .max_flat_workgroup_size: 128
    .name:           _ZN9rocsparseL19gebsrmvn_4xn_kernelILj128ELj7ELj4E21rocsparse_complex_numIdEEEvi20rocsparse_direction_NS_24const_host_device_scalarIT2_EEPKiS8_PKS5_SA_S6_PS5_21rocsparse_index_base_b
    .private_segment_fixed_size: 0
    .sgpr_count:     20
    .sgpr_spill_count: 0
    .symbol:         _ZN9rocsparseL19gebsrmvn_4xn_kernelILj128ELj7ELj4E21rocsparse_complex_numIdEEEvi20rocsparse_direction_NS_24const_host_device_scalarIT2_EEPKiS8_PKS5_SA_S6_PS5_21rocsparse_index_base_b.kd
    .uniform_work_group_size: 1
    .uses_dynamic_stack: false
    .vgpr_count:     66
    .vgpr_spill_count: 0
    .wavefront_size: 64
  - .args:
      - .offset:         0
        .size:           4
        .value_kind:     by_value
      - .offset:         4
        .size:           4
        .value_kind:     by_value
      - .offset:         8
        .size:           16
        .value_kind:     by_value
      - .actual_access:  read_only
        .address_space:  global
        .offset:         24
        .size:           8
        .value_kind:     global_buffer
      - .actual_access:  read_only
        .address_space:  global
        .offset:         32
        .size:           8
        .value_kind:     global_buffer
      - .actual_access:  read_only
        .address_space:  global
        .offset:         40
        .size:           8
        .value_kind:     global_buffer
      - .actual_access:  read_only
        .address_space:  global
        .offset:         48
        .size:           8
        .value_kind:     global_buffer
      - .offset:         56
        .size:           16
        .value_kind:     by_value
      - .address_space:  global
        .offset:         72
        .size:           8
        .value_kind:     global_buffer
      - .offset:         80
        .size:           4
        .value_kind:     by_value
      - .offset:         84
        .size:           1
        .value_kind:     by_value
    .group_segment_fixed_size: 0
    .kernarg_segment_align: 8
    .kernarg_segment_size: 88
    .language:       OpenCL C
    .language_version:
      - 2
      - 0
    .max_flat_workgroup_size: 128
    .name:           _ZN9rocsparseL19gebsrmvn_4xn_kernelILj128ELj7ELj8E21rocsparse_complex_numIdEEEvi20rocsparse_direction_NS_24const_host_device_scalarIT2_EEPKiS8_PKS5_SA_S6_PS5_21rocsparse_index_base_b
    .private_segment_fixed_size: 0
    .sgpr_count:     20
    .sgpr_spill_count: 0
    .symbol:         _ZN9rocsparseL19gebsrmvn_4xn_kernelILj128ELj7ELj8E21rocsparse_complex_numIdEEEvi20rocsparse_direction_NS_24const_host_device_scalarIT2_EEPKiS8_PKS5_SA_S6_PS5_21rocsparse_index_base_b.kd
    .uniform_work_group_size: 1
    .uses_dynamic_stack: false
    .vgpr_count:     66
    .vgpr_spill_count: 0
    .wavefront_size: 64
  - .args:
      - .offset:         0
        .size:           4
        .value_kind:     by_value
      - .offset:         4
        .size:           4
        .value_kind:     by_value
      - .offset:         8
        .size:           16
        .value_kind:     by_value
      - .actual_access:  read_only
        .address_space:  global
        .offset:         24
        .size:           8
        .value_kind:     global_buffer
      - .actual_access:  read_only
        .address_space:  global
        .offset:         32
        .size:           8
        .value_kind:     global_buffer
      - .actual_access:  read_only
        .address_space:  global
        .offset:         40
        .size:           8
        .value_kind:     global_buffer
      - .actual_access:  read_only
        .address_space:  global
        .offset:         48
        .size:           8
        .value_kind:     global_buffer
      - .offset:         56
        .size:           16
        .value_kind:     by_value
      - .address_space:  global
        .offset:         72
        .size:           8
        .value_kind:     global_buffer
      - .offset:         80
        .size:           4
        .value_kind:     by_value
      - .offset:         84
        .size:           1
        .value_kind:     by_value
    .group_segment_fixed_size: 0
    .kernarg_segment_align: 8
    .kernarg_segment_size: 88
    .language:       OpenCL C
    .language_version:
      - 2
      - 0
    .max_flat_workgroup_size: 128
    .name:           _ZN9rocsparseL19gebsrmvn_4xn_kernelILj128ELj7ELj16E21rocsparse_complex_numIdEEEvi20rocsparse_direction_NS_24const_host_device_scalarIT2_EEPKiS8_PKS5_SA_S6_PS5_21rocsparse_index_base_b
    .private_segment_fixed_size: 0
    .sgpr_count:     20
    .sgpr_spill_count: 0
    .symbol:         _ZN9rocsparseL19gebsrmvn_4xn_kernelILj128ELj7ELj16E21rocsparse_complex_numIdEEEvi20rocsparse_direction_NS_24const_host_device_scalarIT2_EEPKiS8_PKS5_SA_S6_PS5_21rocsparse_index_base_b.kd
    .uniform_work_group_size: 1
    .uses_dynamic_stack: false
    .vgpr_count:     66
    .vgpr_spill_count: 0
    .wavefront_size: 64
  - .args:
      - .offset:         0
        .size:           4
        .value_kind:     by_value
      - .offset:         4
        .size:           4
        .value_kind:     by_value
      - .offset:         8
        .size:           16
        .value_kind:     by_value
      - .actual_access:  read_only
        .address_space:  global
        .offset:         24
        .size:           8
        .value_kind:     global_buffer
      - .actual_access:  read_only
        .address_space:  global
        .offset:         32
        .size:           8
        .value_kind:     global_buffer
      - .actual_access:  read_only
        .address_space:  global
        .offset:         40
        .size:           8
        .value_kind:     global_buffer
      - .actual_access:  read_only
        .address_space:  global
        .offset:         48
        .size:           8
        .value_kind:     global_buffer
      - .offset:         56
        .size:           16
        .value_kind:     by_value
      - .address_space:  global
        .offset:         72
        .size:           8
        .value_kind:     global_buffer
      - .offset:         80
        .size:           4
        .value_kind:     by_value
      - .offset:         84
        .size:           1
        .value_kind:     by_value
    .group_segment_fixed_size: 0
    .kernarg_segment_align: 8
    .kernarg_segment_size: 88
    .language:       OpenCL C
    .language_version:
      - 2
      - 0
    .max_flat_workgroup_size: 128
    .name:           _ZN9rocsparseL19gebsrmvn_4xn_kernelILj128ELj7ELj32E21rocsparse_complex_numIdEEEvi20rocsparse_direction_NS_24const_host_device_scalarIT2_EEPKiS8_PKS5_SA_S6_PS5_21rocsparse_index_base_b
    .private_segment_fixed_size: 0
    .sgpr_count:     20
    .sgpr_spill_count: 0
    .symbol:         _ZN9rocsparseL19gebsrmvn_4xn_kernelILj128ELj7ELj32E21rocsparse_complex_numIdEEEvi20rocsparse_direction_NS_24const_host_device_scalarIT2_EEPKiS8_PKS5_SA_S6_PS5_21rocsparse_index_base_b.kd
    .uniform_work_group_size: 1
    .uses_dynamic_stack: false
    .vgpr_count:     66
    .vgpr_spill_count: 0
    .wavefront_size: 64
  - .args:
      - .offset:         0
        .size:           4
        .value_kind:     by_value
      - .offset:         4
        .size:           4
        .value_kind:     by_value
      - .offset:         8
        .size:           16
        .value_kind:     by_value
      - .actual_access:  read_only
        .address_space:  global
        .offset:         24
        .size:           8
        .value_kind:     global_buffer
      - .actual_access:  read_only
        .address_space:  global
        .offset:         32
        .size:           8
        .value_kind:     global_buffer
      - .actual_access:  read_only
        .address_space:  global
        .offset:         40
        .size:           8
        .value_kind:     global_buffer
      - .actual_access:  read_only
        .address_space:  global
        .offset:         48
        .size:           8
        .value_kind:     global_buffer
      - .offset:         56
        .size:           16
        .value_kind:     by_value
      - .address_space:  global
        .offset:         72
        .size:           8
        .value_kind:     global_buffer
      - .offset:         80
        .size:           4
        .value_kind:     by_value
      - .offset:         84
        .size:           1
        .value_kind:     by_value
    .group_segment_fixed_size: 0
    .kernarg_segment_align: 8
    .kernarg_segment_size: 88
    .language:       OpenCL C
    .language_version:
      - 2
      - 0
    .max_flat_workgroup_size: 128
    .name:           _ZN9rocsparseL19gebsrmvn_4xn_kernelILj128ELj7ELj64E21rocsparse_complex_numIdEEEvi20rocsparse_direction_NS_24const_host_device_scalarIT2_EEPKiS8_PKS5_SA_S6_PS5_21rocsparse_index_base_b
    .private_segment_fixed_size: 0
    .sgpr_count:     20
    .sgpr_spill_count: 0
    .symbol:         _ZN9rocsparseL19gebsrmvn_4xn_kernelILj128ELj7ELj64E21rocsparse_complex_numIdEEEvi20rocsparse_direction_NS_24const_host_device_scalarIT2_EEPKiS8_PKS5_SA_S6_PS5_21rocsparse_index_base_b.kd
    .uniform_work_group_size: 1
    .uses_dynamic_stack: false
    .vgpr_count:     66
    .vgpr_spill_count: 0
    .wavefront_size: 64
  - .args:
      - .offset:         0
        .size:           4
        .value_kind:     by_value
      - .offset:         4
        .size:           4
        .value_kind:     by_value
      - .offset:         8
        .size:           16
        .value_kind:     by_value
      - .actual_access:  read_only
        .address_space:  global
        .offset:         24
        .size:           8
        .value_kind:     global_buffer
      - .actual_access:  read_only
        .address_space:  global
        .offset:         32
        .size:           8
        .value_kind:     global_buffer
      - .actual_access:  read_only
        .address_space:  global
        .offset:         40
        .size:           8
        .value_kind:     global_buffer
      - .actual_access:  read_only
        .address_space:  global
        .offset:         48
        .size:           8
        .value_kind:     global_buffer
      - .offset:         56
        .size:           16
        .value_kind:     by_value
      - .address_space:  global
        .offset:         72
        .size:           8
        .value_kind:     global_buffer
      - .offset:         80
        .size:           4
        .value_kind:     by_value
      - .offset:         84
        .size:           1
        .value_kind:     by_value
    .group_segment_fixed_size: 0
    .kernarg_segment_align: 8
    .kernarg_segment_size: 88
    .language:       OpenCL C
    .language_version:
      - 2
      - 0
    .max_flat_workgroup_size: 128
    .name:           _ZN9rocsparseL19gebsrmvn_4xn_kernelILj128ELj8ELj4E21rocsparse_complex_numIdEEEvi20rocsparse_direction_NS_24const_host_device_scalarIT2_EEPKiS8_PKS5_SA_S6_PS5_21rocsparse_index_base_b
    .private_segment_fixed_size: 0
    .sgpr_count:     22
    .sgpr_spill_count: 0
    .symbol:         _ZN9rocsparseL19gebsrmvn_4xn_kernelILj128ELj8ELj4E21rocsparse_complex_numIdEEEvi20rocsparse_direction_NS_24const_host_device_scalarIT2_EEPKiS8_PKS5_SA_S6_PS5_21rocsparse_index_base_b.kd
    .uniform_work_group_size: 1
    .uses_dynamic_stack: false
    .vgpr_count:     82
    .vgpr_spill_count: 0
    .wavefront_size: 64
  - .args:
      - .offset:         0
        .size:           4
        .value_kind:     by_value
      - .offset:         4
        .size:           4
        .value_kind:     by_value
      - .offset:         8
        .size:           16
        .value_kind:     by_value
      - .actual_access:  read_only
        .address_space:  global
        .offset:         24
        .size:           8
        .value_kind:     global_buffer
      - .actual_access:  read_only
        .address_space:  global
        .offset:         32
        .size:           8
        .value_kind:     global_buffer
      - .actual_access:  read_only
        .address_space:  global
        .offset:         40
        .size:           8
        .value_kind:     global_buffer
      - .actual_access:  read_only
        .address_space:  global
        .offset:         48
        .size:           8
        .value_kind:     global_buffer
      - .offset:         56
        .size:           16
        .value_kind:     by_value
      - .address_space:  global
        .offset:         72
        .size:           8
        .value_kind:     global_buffer
      - .offset:         80
        .size:           4
        .value_kind:     by_value
      - .offset:         84
        .size:           1
        .value_kind:     by_value
    .group_segment_fixed_size: 0
    .kernarg_segment_align: 8
    .kernarg_segment_size: 88
    .language:       OpenCL C
    .language_version:
      - 2
      - 0
    .max_flat_workgroup_size: 128
    .name:           _ZN9rocsparseL19gebsrmvn_4xn_kernelILj128ELj8ELj8E21rocsparse_complex_numIdEEEvi20rocsparse_direction_NS_24const_host_device_scalarIT2_EEPKiS8_PKS5_SA_S6_PS5_21rocsparse_index_base_b
    .private_segment_fixed_size: 0
    .sgpr_count:     22
    .sgpr_spill_count: 0
    .symbol:         _ZN9rocsparseL19gebsrmvn_4xn_kernelILj128ELj8ELj8E21rocsparse_complex_numIdEEEvi20rocsparse_direction_NS_24const_host_device_scalarIT2_EEPKiS8_PKS5_SA_S6_PS5_21rocsparse_index_base_b.kd
    .uniform_work_group_size: 1
    .uses_dynamic_stack: false
    .vgpr_count:     82
    .vgpr_spill_count: 0
    .wavefront_size: 64
  - .args:
      - .offset:         0
        .size:           4
        .value_kind:     by_value
      - .offset:         4
        .size:           4
        .value_kind:     by_value
      - .offset:         8
        .size:           16
        .value_kind:     by_value
      - .actual_access:  read_only
        .address_space:  global
        .offset:         24
        .size:           8
        .value_kind:     global_buffer
      - .actual_access:  read_only
        .address_space:  global
        .offset:         32
        .size:           8
        .value_kind:     global_buffer
      - .actual_access:  read_only
        .address_space:  global
        .offset:         40
        .size:           8
        .value_kind:     global_buffer
      - .actual_access:  read_only
        .address_space:  global
        .offset:         48
        .size:           8
        .value_kind:     global_buffer
      - .offset:         56
        .size:           16
        .value_kind:     by_value
      - .address_space:  global
        .offset:         72
        .size:           8
        .value_kind:     global_buffer
      - .offset:         80
        .size:           4
        .value_kind:     by_value
      - .offset:         84
        .size:           1
        .value_kind:     by_value
    .group_segment_fixed_size: 0
    .kernarg_segment_align: 8
    .kernarg_segment_size: 88
    .language:       OpenCL C
    .language_version:
      - 2
      - 0
    .max_flat_workgroup_size: 128
    .name:           _ZN9rocsparseL19gebsrmvn_4xn_kernelILj128ELj8ELj16E21rocsparse_complex_numIdEEEvi20rocsparse_direction_NS_24const_host_device_scalarIT2_EEPKiS8_PKS5_SA_S6_PS5_21rocsparse_index_base_b
    .private_segment_fixed_size: 0
    .sgpr_count:     22
    .sgpr_spill_count: 0
    .symbol:         _ZN9rocsparseL19gebsrmvn_4xn_kernelILj128ELj8ELj16E21rocsparse_complex_numIdEEEvi20rocsparse_direction_NS_24const_host_device_scalarIT2_EEPKiS8_PKS5_SA_S6_PS5_21rocsparse_index_base_b.kd
    .uniform_work_group_size: 1
    .uses_dynamic_stack: false
    .vgpr_count:     82
    .vgpr_spill_count: 0
    .wavefront_size: 64
  - .args:
      - .offset:         0
        .size:           4
        .value_kind:     by_value
      - .offset:         4
        .size:           4
        .value_kind:     by_value
      - .offset:         8
        .size:           16
        .value_kind:     by_value
      - .actual_access:  read_only
        .address_space:  global
        .offset:         24
        .size:           8
        .value_kind:     global_buffer
      - .actual_access:  read_only
        .address_space:  global
        .offset:         32
        .size:           8
        .value_kind:     global_buffer
      - .actual_access:  read_only
        .address_space:  global
        .offset:         40
        .size:           8
        .value_kind:     global_buffer
      - .actual_access:  read_only
        .address_space:  global
        .offset:         48
        .size:           8
        .value_kind:     global_buffer
      - .offset:         56
        .size:           16
        .value_kind:     by_value
      - .address_space:  global
        .offset:         72
        .size:           8
        .value_kind:     global_buffer
      - .offset:         80
        .size:           4
        .value_kind:     by_value
      - .offset:         84
        .size:           1
        .value_kind:     by_value
    .group_segment_fixed_size: 0
    .kernarg_segment_align: 8
    .kernarg_segment_size: 88
    .language:       OpenCL C
    .language_version:
      - 2
      - 0
    .max_flat_workgroup_size: 128
    .name:           _ZN9rocsparseL19gebsrmvn_4xn_kernelILj128ELj8ELj32E21rocsparse_complex_numIdEEEvi20rocsparse_direction_NS_24const_host_device_scalarIT2_EEPKiS8_PKS5_SA_S6_PS5_21rocsparse_index_base_b
    .private_segment_fixed_size: 0
    .sgpr_count:     22
    .sgpr_spill_count: 0
    .symbol:         _ZN9rocsparseL19gebsrmvn_4xn_kernelILj128ELj8ELj32E21rocsparse_complex_numIdEEEvi20rocsparse_direction_NS_24const_host_device_scalarIT2_EEPKiS8_PKS5_SA_S6_PS5_21rocsparse_index_base_b.kd
    .uniform_work_group_size: 1
    .uses_dynamic_stack: false
    .vgpr_count:     82
    .vgpr_spill_count: 0
    .wavefront_size: 64
  - .args:
      - .offset:         0
        .size:           4
        .value_kind:     by_value
      - .offset:         4
        .size:           4
        .value_kind:     by_value
      - .offset:         8
        .size:           16
        .value_kind:     by_value
      - .actual_access:  read_only
        .address_space:  global
        .offset:         24
        .size:           8
        .value_kind:     global_buffer
      - .actual_access:  read_only
        .address_space:  global
        .offset:         32
        .size:           8
        .value_kind:     global_buffer
      - .actual_access:  read_only
        .address_space:  global
        .offset:         40
        .size:           8
        .value_kind:     global_buffer
      - .actual_access:  read_only
        .address_space:  global
        .offset:         48
        .size:           8
        .value_kind:     global_buffer
      - .offset:         56
        .size:           16
        .value_kind:     by_value
      - .address_space:  global
        .offset:         72
        .size:           8
        .value_kind:     global_buffer
      - .offset:         80
        .size:           4
        .value_kind:     by_value
      - .offset:         84
        .size:           1
        .value_kind:     by_value
    .group_segment_fixed_size: 0
    .kernarg_segment_align: 8
    .kernarg_segment_size: 88
    .language:       OpenCL C
    .language_version:
      - 2
      - 0
    .max_flat_workgroup_size: 128
    .name:           _ZN9rocsparseL19gebsrmvn_4xn_kernelILj128ELj8ELj64E21rocsparse_complex_numIdEEEvi20rocsparse_direction_NS_24const_host_device_scalarIT2_EEPKiS8_PKS5_SA_S6_PS5_21rocsparse_index_base_b
    .private_segment_fixed_size: 0
    .sgpr_count:     22
    .sgpr_spill_count: 0
    .symbol:         _ZN9rocsparseL19gebsrmvn_4xn_kernelILj128ELj8ELj64E21rocsparse_complex_numIdEEEvi20rocsparse_direction_NS_24const_host_device_scalarIT2_EEPKiS8_PKS5_SA_S6_PS5_21rocsparse_index_base_b.kd
    .uniform_work_group_size: 1
    .uses_dynamic_stack: false
    .vgpr_count:     82
    .vgpr_spill_count: 0
    .wavefront_size: 64
  - .args:
      - .offset:         0
        .size:           4
        .value_kind:     by_value
      - .offset:         4
        .size:           4
        .value_kind:     by_value
      - .offset:         8
        .size:           16
        .value_kind:     by_value
      - .actual_access:  read_only
        .address_space:  global
        .offset:         24
        .size:           8
        .value_kind:     global_buffer
      - .actual_access:  read_only
        .address_space:  global
        .offset:         32
        .size:           8
        .value_kind:     global_buffer
      - .actual_access:  read_only
        .address_space:  global
        .offset:         40
        .size:           8
        .value_kind:     global_buffer
      - .offset:         48
        .size:           4
        .value_kind:     by_value
      - .offset:         52
        .size:           4
        .value_kind:     by_value
      - .actual_access:  read_only
        .address_space:  global
        .offset:         56
        .size:           8
        .value_kind:     global_buffer
      - .offset:         64
        .size:           16
        .value_kind:     by_value
      - .address_space:  global
        .offset:         80
        .size:           8
        .value_kind:     global_buffer
      - .offset:         88
        .size:           4
        .value_kind:     by_value
      - .offset:         92
        .size:           1
        .value_kind:     by_value
    .group_segment_fixed_size: 0
    .kernarg_segment_align: 8
    .kernarg_segment_size: 96
    .language:       OpenCL C
    .language_version:
      - 2
      - 0
    .max_flat_workgroup_size: 64
    .name:           _ZN9rocsparseL23gebsrmvn_general_kernelILj64ELj16E21rocsparse_complex_numIdEEEvi20rocsparse_direction_NS_24const_host_device_scalarIT1_EEPKiS8_PKS5_iiSA_S6_PS5_21rocsparse_index_base_b
    .private_segment_fixed_size: 0
    .sgpr_count:     42
    .sgpr_spill_count: 0
    .symbol:         _ZN9rocsparseL23gebsrmvn_general_kernelILj64ELj16E21rocsparse_complex_numIdEEEvi20rocsparse_direction_NS_24const_host_device_scalarIT1_EEPKiS8_PKS5_iiSA_S6_PS5_21rocsparse_index_base_b.kd
    .uniform_work_group_size: 1
    .uses_dynamic_stack: false
    .vgpr_count:     27
    .vgpr_spill_count: 0
    .wavefront_size: 64
  - .args:
      - .offset:         0
        .size:           4
        .value_kind:     by_value
      - .offset:         4
        .size:           4
        .value_kind:     by_value
      - .offset:         8
        .size:           16
        .value_kind:     by_value
      - .actual_access:  read_only
        .address_space:  global
        .offset:         24
        .size:           8
        .value_kind:     global_buffer
      - .actual_access:  read_only
        .address_space:  global
        .offset:         32
        .size:           8
        .value_kind:     global_buffer
      - .actual_access:  read_only
        .address_space:  global
        .offset:         40
        .size:           8
        .value_kind:     global_buffer
      - .offset:         48
        .size:           4
        .value_kind:     by_value
      - .offset:         52
        .size:           4
        .value_kind:     by_value
      - .actual_access:  read_only
        .address_space:  global
        .offset:         56
        .size:           8
        .value_kind:     global_buffer
      - .offset:         64
        .size:           16
        .value_kind:     by_value
      - .address_space:  global
        .offset:         80
        .size:           8
        .value_kind:     global_buffer
      - .offset:         88
        .size:           4
        .value_kind:     by_value
      - .offset:         92
        .size:           1
        .value_kind:     by_value
    .group_segment_fixed_size: 0
    .kernarg_segment_align: 8
    .kernarg_segment_size: 96
    .language:       OpenCL C
    .language_version:
      - 2
      - 0
    .max_flat_workgroup_size: 128
    .name:           _ZN9rocsparseL23gebsrmvn_general_kernelILj128ELj32E21rocsparse_complex_numIdEEEvi20rocsparse_direction_NS_24const_host_device_scalarIT1_EEPKiS8_PKS5_iiSA_S6_PS5_21rocsparse_index_base_b
    .private_segment_fixed_size: 0
    .sgpr_count:     42
    .sgpr_spill_count: 0
    .symbol:         _ZN9rocsparseL23gebsrmvn_general_kernelILj128ELj32E21rocsparse_complex_numIdEEEvi20rocsparse_direction_NS_24const_host_device_scalarIT1_EEPKiS8_PKS5_iiSA_S6_PS5_21rocsparse_index_base_b.kd
    .uniform_work_group_size: 1
    .uses_dynamic_stack: false
    .vgpr_count:     27
    .vgpr_spill_count: 0
    .wavefront_size: 64
amdhsa.target:   amdgcn-amd-amdhsa--gfx906
amdhsa.version:
  - 1
  - 2
...

	.end_amdgpu_metadata
